;; amdgpu-corpus repo=ROCm/hipCUB kind=compiled arch=gfx1100 opt=O3
	.text
	.amdgcn_target "amdgcn-amd-amdhsa--gfx1100"
	.amdhsa_code_object_version 6
	.section	.text._Z11rank_kernelIiLj4ELb0EL18RadixRankAlgorithm0ELj128ELj1ELj10EEvPKT_Pi,"axG",@progbits,_Z11rank_kernelIiLj4ELb0EL18RadixRankAlgorithm0ELj128ELj1ELj10EEvPKT_Pi,comdat
	.protected	_Z11rank_kernelIiLj4ELb0EL18RadixRankAlgorithm0ELj128ELj1ELj10EEvPKT_Pi ; -- Begin function _Z11rank_kernelIiLj4ELb0EL18RadixRankAlgorithm0ELj128ELj1ELj10EEvPKT_Pi
	.globl	_Z11rank_kernelIiLj4ELb0EL18RadixRankAlgorithm0ELj128ELj1ELj10EEvPKT_Pi
	.p2align	8
	.type	_Z11rank_kernelIiLj4ELb0EL18RadixRankAlgorithm0ELj128ELj1ELj10EEvPKT_Pi,@function
_Z11rank_kernelIiLj4ELb0EL18RadixRankAlgorithm0ELj128ELj1ELj10EEvPKT_Pi: ; @_Z11rank_kernelIiLj4ELb0EL18RadixRankAlgorithm0ELj128ELj1ELj10EEvPKT_Pi
; %bb.0:
	s_load_b128 s[16:19], s[0:1], 0x0
	s_mov_b32 s11, 0
	s_lshl_b32 s10, s15, 7
	v_dual_mov_b32 v2, 0 :: v_dual_lshlrev_b32 v1, 2, v0
	s_lshl_b64 s[12:13], s[10:11], 2
	v_mbcnt_lo_u32_b32 v4, -1, 0
	v_or_b32_e32 v8, 31, v0
	v_lshrrev_b32_e32 v10, 3, v0
	v_lshlrev_b32_e32 v3, 5, v0
	v_cmp_gt_u32_e32 vcc_lo, 4, v0
	v_add_nc_u32_e32 v9, -1, v4
	v_and_b32_e32 v5, 15, v4
	v_and_b32_e32 v7, 16, v4
	;; [unrolled: 1-line block ×3, first 2 shown]
	s_delay_alu instid0(VALU_DEP_4) | instskip(NEXT) | instid1(VALU_DEP_4)
	v_cmp_gt_i32_e64 s7, 0, v9
	v_cmp_eq_u32_e64 s2, 0, v5
	v_cmp_lt_u32_e64 s3, 1, v5
	v_cmp_lt_u32_e64 s4, 3, v5
	s_waitcnt lgkmcnt(0)
	s_add_u32 s0, s16, s12
	s_addc_u32 s1, s17, s13
	v_cmp_lt_u32_e64 s5, 7, v5
	global_load_b32 v6, v1, s[0:1]
	v_cndmask_b32_e64 v5, v9, v4, s7
	v_cmp_lt_u32_e64 s0, 31, v0
	v_cmp_eq_u32_e64 s1, 0, v4
	v_cmp_eq_u32_e64 s6, 0, v7
	v_cmp_eq_u32_e64 s7, v8, v0
	v_and_b32_e32 v4, 12, v10
	v_cmp_eq_u32_e64 s8, 0, v11
	v_cmp_lt_u32_e64 s9, 1, v11
	v_lshlrev_b32_e32 v5, 2, v5
	v_or_b32_e32 v7, 0xffffff80, v0
	s_waitcnt vmcnt(0)
	v_xor_b32_e32 v6, 0x80000000, v6
	s_branch .LBB0_2
.LBB0_1:                                ;   in Loop: Header=BB0_2 Depth=1
	s_add_i32 s11, s11, 1
	s_delay_alu instid0(SALU_CYCLE_1)
	s_cmp_eq_u32 s11, 10
	s_cbranch_scc1 .LBB0_12
.LBB0_2:                                ; =>This Loop Header: Depth=1
                                        ;     Child Loop BB0_4 Depth 2
                                        ;       Child Loop BB0_5 Depth 3
	s_mov_b32 s14, 0
	s_branch .LBB0_4
.LBB0_3:                                ;   in Loop: Header=BB0_4 Depth=2
	s_or_b32 exec_lo, exec_lo, s10
	s_waitcnt lgkmcnt(0)
	v_add_nc_u32_e32 v10, v11, v10
	ds_load_b32 v14, v2 offset:4108
	ds_load_2addr_b32 v[12:13], v3 offset1:1
	s_add_i32 s10, s14, 4
	s_cmp_lt_u32 s14, 28
	s_mov_b32 s14, s10
	ds_bpermute_b32 v10, v5, v10
	s_waitcnt lgkmcnt(0)
	v_cndmask_b32_e64 v15, v10, v11, s1
	ds_load_2addr_b32 v[10:11], v3 offset0:2 offset1:3
	v_lshl_add_u32 v16, v14, 16, v15
	ds_load_2addr_b32 v[14:15], v3 offset0:4 offset1:5
	ds_load_b32 v17, v3 offset:24
	v_add_nc_u32_e32 v12, v16, v12
	s_delay_alu instid0(VALU_DEP_1) | instskip(SKIP_1) | instid1(VALU_DEP_1)
	v_add_nc_u32_e32 v13, v13, v12
	s_waitcnt lgkmcnt(2)
	v_add_nc_u32_e32 v10, v10, v13
	s_delay_alu instid0(VALU_DEP_1) | instskip(SKIP_1) | instid1(VALU_DEP_1)
	v_add_nc_u32_e32 v11, v11, v10
	s_waitcnt lgkmcnt(1)
	;; [unrolled: 4-line block ×3, first 2 shown]
	v_add_nc_u32_e32 v17, v17, v15
	ds_store_2addr_b32 v3, v16, v12 offset1:1
	ds_store_2addr_b32 v3, v13, v10 offset0:2 offset1:3
	ds_store_2addr_b32 v3, v11, v14 offset0:4 offset1:5
	;; [unrolled: 1-line block ×3, first 2 shown]
	s_waitcnt lgkmcnt(0)
	s_barrier
	buffer_gl0_inv
	s_cbranch_scc0 .LBB0_1
.LBB0_4:                                ;   Parent Loop BB0_2 Depth=1
                                        ; =>  This Loop Header: Depth=2
                                        ;       Child Loop BB0_5 Depth 3
	v_dual_mov_b32 v8, v7 :: v_dual_mov_b32 v9, v1
	s_mov_b32 s15, 0
.LBB0_5:                                ;   Parent Loop BB0_2 Depth=1
                                        ;     Parent Loop BB0_4 Depth=2
                                        ; =>    This Inner Loop Header: Depth=3
	s_delay_alu instid0(VALU_DEP_1) | instskip(SKIP_3) | instid1(VALU_DEP_1)
	v_add_nc_u32_e32 v8, 0x80, v8
	ds_store_b32 v9, v2
	v_add_nc_u32_e32 v9, 0x200, v9
	v_cmp_lt_u32_e64 s10, 0x37f, v8
	s_or_b32 s15, s10, s15
	s_delay_alu instid0(SALU_CYCLE_1)
	s_and_not1_b32 exec_lo, exec_lo, s15
	s_cbranch_execnz .LBB0_5
; %bb.6:                                ;   in Loop: Header=BB0_4 Depth=2
	s_or_b32 exec_lo, exec_lo, s15
	s_sub_i32 s10, 28, s14
	s_delay_alu instid0(SALU_CYCLE_1) | instskip(NEXT) | instid1(VALU_DEP_1)
	v_lshlrev_b32_e32 v8, s10, v6
	v_lshrrev_b32_e32 v9, 21, v8
	s_delay_alu instid0(VALU_DEP_1) | instskip(NEXT) | instid1(VALU_DEP_1)
	v_and_or_b32 v9, 0x380, v9, v0
	v_alignbit_b32 v8, v9, v8, 31
	s_delay_alu instid0(VALU_DEP_1)
	v_lshlrev_b32_e32 v8, 1, v8
	ds_load_u16 v9, v8
	s_waitcnt lgkmcnt(0)
	v_add_nc_u16 v10, v9, 1
	ds_store_b16 v8, v10
	s_waitcnt lgkmcnt(0)
	s_barrier
	buffer_gl0_inv
	ds_load_2addr_b32 v[10:11], v3 offset1:1
	ds_load_2addr_b32 v[12:13], v3 offset0:2 offset1:3
	ds_load_2addr_b32 v[14:15], v3 offset0:4 offset1:5
	;; [unrolled: 1-line block ×3, first 2 shown]
	s_waitcnt lgkmcnt(3)
	v_add_nc_u32_e32 v10, v11, v10
	s_waitcnt lgkmcnt(2)
	s_delay_alu instid0(VALU_DEP_1) | instskip(SKIP_1) | instid1(VALU_DEP_1)
	v_add3_u32 v10, v10, v12, v13
	s_waitcnt lgkmcnt(1)
	v_add3_u32 v10, v10, v14, v15
	s_waitcnt lgkmcnt(0)
	s_delay_alu instid0(VALU_DEP_1) | instskip(NEXT) | instid1(VALU_DEP_1)
	v_add3_u32 v10, v10, v16, v17
	v_mov_b32_dpp v11, v10 row_shr:1 row_mask:0xf bank_mask:0xf
	s_delay_alu instid0(VALU_DEP_1) | instskip(NEXT) | instid1(VALU_DEP_1)
	v_cndmask_b32_e64 v11, v11, 0, s2
	v_add_nc_u32_e32 v10, v11, v10
	s_delay_alu instid0(VALU_DEP_1) | instskip(NEXT) | instid1(VALU_DEP_1)
	v_mov_b32_dpp v11, v10 row_shr:2 row_mask:0xf bank_mask:0xf
	v_cndmask_b32_e64 v11, 0, v11, s3
	s_delay_alu instid0(VALU_DEP_1) | instskip(NEXT) | instid1(VALU_DEP_1)
	v_add_nc_u32_e32 v10, v10, v11
	v_mov_b32_dpp v11, v10 row_shr:4 row_mask:0xf bank_mask:0xf
	s_delay_alu instid0(VALU_DEP_1) | instskip(NEXT) | instid1(VALU_DEP_1)
	v_cndmask_b32_e64 v11, 0, v11, s4
	v_add_nc_u32_e32 v10, v10, v11
	s_delay_alu instid0(VALU_DEP_1) | instskip(NEXT) | instid1(VALU_DEP_1)
	v_mov_b32_dpp v11, v10 row_shr:8 row_mask:0xf bank_mask:0xf
	v_cndmask_b32_e64 v11, 0, v11, s5
	s_delay_alu instid0(VALU_DEP_1) | instskip(SKIP_3) | instid1(VALU_DEP_1)
	v_add_nc_u32_e32 v10, v10, v11
	ds_swizzle_b32 v11, v10 offset:swizzle(BROADCAST,32,15)
	s_waitcnt lgkmcnt(0)
	v_cndmask_b32_e64 v11, v11, 0, s6
	v_add_nc_u32_e32 v10, v10, v11
	s_and_saveexec_b32 s10, s7
	s_cbranch_execz .LBB0_8
; %bb.7:                                ;   in Loop: Header=BB0_4 Depth=2
	ds_store_b32 v4, v10 offset:4096
.LBB0_8:                                ;   in Loop: Header=BB0_4 Depth=2
	s_or_b32 exec_lo, exec_lo, s10
	s_waitcnt lgkmcnt(0)
	s_barrier
	buffer_gl0_inv
	s_and_saveexec_b32 s10, vcc_lo
	s_cbranch_execz .LBB0_10
; %bb.9:                                ;   in Loop: Header=BB0_4 Depth=2
	ds_load_b32 v11, v1 offset:4096
	s_waitcnt lgkmcnt(0)
	v_mov_b32_dpp v12, v11 row_shr:1 row_mask:0xf bank_mask:0xf
	s_delay_alu instid0(VALU_DEP_1) | instskip(NEXT) | instid1(VALU_DEP_1)
	v_cndmask_b32_e64 v12, v12, 0, s8
	v_add_nc_u32_e32 v11, v12, v11
	s_delay_alu instid0(VALU_DEP_1) | instskip(NEXT) | instid1(VALU_DEP_1)
	v_mov_b32_dpp v12, v11 row_shr:2 row_mask:0xf bank_mask:0xf
	v_cndmask_b32_e64 v12, 0, v12, s9
	s_delay_alu instid0(VALU_DEP_1)
	v_add_nc_u32_e32 v11, v11, v12
	ds_store_b32 v1, v11 offset:4096
.LBB0_10:                               ;   in Loop: Header=BB0_4 Depth=2
	s_or_b32 exec_lo, exec_lo, s10
	v_mov_b32_e32 v11, 0
	s_waitcnt lgkmcnt(0)
	s_barrier
	buffer_gl0_inv
	s_and_saveexec_b32 s10, s0
	s_cbranch_execz .LBB0_3
; %bb.11:                               ;   in Loop: Header=BB0_4 Depth=2
	ds_load_b32 v11, v4 offset:4092
	s_branch .LBB0_3
.LBB0_12:
	ds_load_u16 v1, v8
	v_and_b32_e32 v2, 0xffff, v9
	v_lshlrev_b32_e32 v0, 2, v0
	s_add_u32 s0, s18, s12
	s_addc_u32 s1, s19, s13
	s_waitcnt lgkmcnt(0)
	v_add_nc_u32_e32 v1, v1, v2
	global_store_b32 v0, v1, s[0:1]
	s_nop 0
	s_sendmsg sendmsg(MSG_DEALLOC_VGPRS)
	s_endpgm
	.section	.rodata,"a",@progbits
	.p2align	6, 0x0
	.amdhsa_kernel _Z11rank_kernelIiLj4ELb0EL18RadixRankAlgorithm0ELj128ELj1ELj10EEvPKT_Pi
		.amdhsa_group_segment_fixed_size 4112
		.amdhsa_private_segment_fixed_size 0
		.amdhsa_kernarg_size 16
		.amdhsa_user_sgpr_count 15
		.amdhsa_user_sgpr_dispatch_ptr 0
		.amdhsa_user_sgpr_queue_ptr 0
		.amdhsa_user_sgpr_kernarg_segment_ptr 1
		.amdhsa_user_sgpr_dispatch_id 0
		.amdhsa_user_sgpr_private_segment_size 0
		.amdhsa_wavefront_size32 1
		.amdhsa_uses_dynamic_stack 0
		.amdhsa_enable_private_segment 0
		.amdhsa_system_sgpr_workgroup_id_x 1
		.amdhsa_system_sgpr_workgroup_id_y 0
		.amdhsa_system_sgpr_workgroup_id_z 0
		.amdhsa_system_sgpr_workgroup_info 0
		.amdhsa_system_vgpr_workitem_id 0
		.amdhsa_next_free_vgpr 18
		.amdhsa_next_free_sgpr 20
		.amdhsa_reserve_vcc 1
		.amdhsa_float_round_mode_32 0
		.amdhsa_float_round_mode_16_64 0
		.amdhsa_float_denorm_mode_32 3
		.amdhsa_float_denorm_mode_16_64 3
		.amdhsa_dx10_clamp 1
		.amdhsa_ieee_mode 1
		.amdhsa_fp16_overflow 0
		.amdhsa_workgroup_processor_mode 1
		.amdhsa_memory_ordered 1
		.amdhsa_forward_progress 0
		.amdhsa_shared_vgpr_count 0
		.amdhsa_exception_fp_ieee_invalid_op 0
		.amdhsa_exception_fp_denorm_src 0
		.amdhsa_exception_fp_ieee_div_zero 0
		.amdhsa_exception_fp_ieee_overflow 0
		.amdhsa_exception_fp_ieee_underflow 0
		.amdhsa_exception_fp_ieee_inexact 0
		.amdhsa_exception_int_div_zero 0
	.end_amdhsa_kernel
	.section	.text._Z11rank_kernelIiLj4ELb0EL18RadixRankAlgorithm0ELj128ELj1ELj10EEvPKT_Pi,"axG",@progbits,_Z11rank_kernelIiLj4ELb0EL18RadixRankAlgorithm0ELj128ELj1ELj10EEvPKT_Pi,comdat
.Lfunc_end0:
	.size	_Z11rank_kernelIiLj4ELb0EL18RadixRankAlgorithm0ELj128ELj1ELj10EEvPKT_Pi, .Lfunc_end0-_Z11rank_kernelIiLj4ELb0EL18RadixRankAlgorithm0ELj128ELj1ELj10EEvPKT_Pi
                                        ; -- End function
	.section	.AMDGPU.csdata,"",@progbits
; Kernel info:
; codeLenInByte = 1032
; NumSgprs: 22
; NumVgprs: 18
; ScratchSize: 0
; MemoryBound: 0
; FloatMode: 240
; IeeeMode: 1
; LDSByteSize: 4112 bytes/workgroup (compile time only)
; SGPRBlocks: 2
; VGPRBlocks: 2
; NumSGPRsForWavesPerEU: 22
; NumVGPRsForWavesPerEU: 18
; Occupancy: 16
; WaveLimiterHint : 0
; COMPUTE_PGM_RSRC2:SCRATCH_EN: 0
; COMPUTE_PGM_RSRC2:USER_SGPR: 15
; COMPUTE_PGM_RSRC2:TRAP_HANDLER: 0
; COMPUTE_PGM_RSRC2:TGID_X_EN: 1
; COMPUTE_PGM_RSRC2:TGID_Y_EN: 0
; COMPUTE_PGM_RSRC2:TGID_Z_EN: 0
; COMPUTE_PGM_RSRC2:TIDIG_COMP_CNT: 0
	.section	.text._Z11rank_kernelIiLj4ELb0EL18RadixRankAlgorithm1ELj128ELj1ELj10EEvPKT_Pi,"axG",@progbits,_Z11rank_kernelIiLj4ELb0EL18RadixRankAlgorithm1ELj128ELj1ELj10EEvPKT_Pi,comdat
	.protected	_Z11rank_kernelIiLj4ELb0EL18RadixRankAlgorithm1ELj128ELj1ELj10EEvPKT_Pi ; -- Begin function _Z11rank_kernelIiLj4ELb0EL18RadixRankAlgorithm1ELj128ELj1ELj10EEvPKT_Pi
	.globl	_Z11rank_kernelIiLj4ELb0EL18RadixRankAlgorithm1ELj128ELj1ELj10EEvPKT_Pi
	.p2align	8
	.type	_Z11rank_kernelIiLj4ELb0EL18RadixRankAlgorithm1ELj128ELj1ELj10EEvPKT_Pi,@function
_Z11rank_kernelIiLj4ELb0EL18RadixRankAlgorithm1ELj128ELj1ELj10EEvPKT_Pi: ; @_Z11rank_kernelIiLj4ELb0EL18RadixRankAlgorithm1ELj128ELj1ELj10EEvPKT_Pi
; %bb.0:
	s_load_b128 s[16:19], s[0:1], 0x0
	s_mov_b32 s11, 0
	s_lshl_b32 s10, s15, 7
	v_dual_mov_b32 v10, 0 :: v_dual_lshlrev_b32 v9, 2, v0
	s_lshl_b64 s[12:13], s[10:11], 2
	v_mbcnt_lo_u32_b32 v2, -1, 0
	v_or_b32_e32 v5, 31, v0
	v_lshrrev_b32_e32 v7, 3, v0
	v_lshlrev_b32_e32 v11, 5, v0
	v_cmp_gt_u32_e32 vcc_lo, 4, v0
	v_add_nc_u32_e32 v6, -1, v2
	v_and_b32_e32 v3, 15, v2
	v_and_b32_e32 v4, 16, v2
	;; [unrolled: 1-line block ×4, first 2 shown]
	v_cmp_gt_i32_e64 s7, 0, v6
	v_cmp_eq_u32_e64 s2, 0, v3
	v_cmp_lt_u32_e64 s3, 1, v3
	v_cmp_lt_u32_e64 s4, 3, v3
	s_waitcnt lgkmcnt(0)
	s_add_u32 s0, s16, s12
	s_addc_u32 s1, s17, s13
	v_cmp_lt_u32_e64 s5, 7, v3
	global_load_b32 v1, v9, s[0:1]
	v_cmp_eq_u32_e64 s1, 0, v2
	v_cndmask_b32_e64 v2, v6, v2, s7
	v_cmp_lt_u32_e64 s0, 31, v0
	v_cmp_eq_u32_e64 s6, 0, v4
	v_cmp_eq_u32_e64 s7, v5, v0
	v_cmp_eq_u32_e64 s8, 0, v8
	v_cmp_lt_u32_e64 s9, 1, v8
	v_lshlrev_b32_e32 v13, 2, v2
	v_or_b32_e32 v15, 0xffffff80, v0
	s_waitcnt vmcnt(0)
	v_xor_b32_e32 v14, 0x80000000, v1
	s_branch .LBB1_2
.LBB1_1:                                ;   in Loop: Header=BB1_2 Depth=1
	s_add_i32 s11, s11, 1
	s_delay_alu instid0(SALU_CYCLE_1)
	s_cmp_eq_u32 s11, 10
	s_cbranch_scc1 .LBB1_12
.LBB1_2:                                ; =>This Loop Header: Depth=1
                                        ;     Child Loop BB1_4 Depth 2
                                        ;       Child Loop BB1_5 Depth 3
	s_mov_b32 s14, 0
	s_branch .LBB1_4
.LBB1_3:                                ;   in Loop: Header=BB1_4 Depth=2
	s_or_b32 exec_lo, exec_lo, s10
	s_waitcnt lgkmcnt(0)
	v_add_nc_u32_e32 v2, v18, v2
	ds_load_b32 v19, v10 offset:4108
	s_add_i32 s10, s14, 4
	s_cmp_lt_u32 s14, 28
	s_mov_b32 s14, s10
	ds_bpermute_b32 v2, v13, v2
	s_waitcnt lgkmcnt(0)
	v_cndmask_b32_e64 v2, v2, v18, s1
	s_delay_alu instid0(VALU_DEP_1) | instskip(NEXT) | instid1(VALU_DEP_1)
	v_lshl_add_u32 v2, v19, 16, v2
	v_add_nc_u32_e32 v7, v2, v7
	s_delay_alu instid0(VALU_DEP_1) | instskip(NEXT) | instid1(VALU_DEP_1)
	v_add_nc_u32_e32 v8, v7, v8
	v_add_nc_u32_e32 v5, v8, v5
	s_delay_alu instid0(VALU_DEP_1) | instskip(NEXT) | instid1(VALU_DEP_1)
	v_add_nc_u32_e32 v6, v5, v6
	;; [unrolled: 3-line block ×3, first 2 shown]
	v_add_nc_u32_e32 v1, v4, v1
	ds_store_2addr_b32 v11, v2, v7 offset1:1
	ds_store_2addr_b32 v11, v8, v5 offset0:2 offset1:3
	ds_store_2addr_b32 v11, v6, v3 offset0:4 offset1:5
	;; [unrolled: 1-line block ×3, first 2 shown]
	s_waitcnt lgkmcnt(0)
	s_barrier
	buffer_gl0_inv
	s_cbranch_scc0 .LBB1_1
.LBB1_4:                                ;   Parent Loop BB1_2 Depth=1
                                        ; =>  This Loop Header: Depth=2
                                        ;       Child Loop BB1_5 Depth 3
	v_dual_mov_b32 v1, v15 :: v_dual_mov_b32 v2, v9
	s_mov_b32 s15, 0
.LBB1_5:                                ;   Parent Loop BB1_2 Depth=1
                                        ;     Parent Loop BB1_4 Depth=2
                                        ; =>    This Inner Loop Header: Depth=3
	s_delay_alu instid0(VALU_DEP_1) | instskip(SKIP_3) | instid1(VALU_DEP_1)
	v_add_nc_u32_e32 v1, 0x80, v1
	ds_store_b32 v2, v10
	v_add_nc_u32_e32 v2, 0x200, v2
	v_cmp_lt_u32_e64 s10, 0x37f, v1
	s_or_b32 s15, s10, s15
	s_delay_alu instid0(SALU_CYCLE_1)
	s_and_not1_b32 exec_lo, exec_lo, s15
	s_cbranch_execnz .LBB1_5
; %bb.6:                                ;   in Loop: Header=BB1_4 Depth=2
	s_or_b32 exec_lo, exec_lo, s15
	s_sub_i32 s10, 28, s14
	s_delay_alu instid0(SALU_CYCLE_1) | instskip(NEXT) | instid1(VALU_DEP_1)
	v_lshlrev_b32_e32 v1, s10, v14
	v_lshrrev_b32_e32 v2, 21, v1
	s_delay_alu instid0(VALU_DEP_1) | instskip(NEXT) | instid1(VALU_DEP_1)
	v_and_or_b32 v2, 0x380, v2, v0
	v_alignbit_b32 v1, v2, v1, 31
	s_delay_alu instid0(VALU_DEP_1)
	v_lshlrev_b32_e32 v16, 1, v1
	ds_load_u16 v17, v16
	s_waitcnt lgkmcnt(0)
	v_add_nc_u16 v1, v17, 1
	ds_store_b16 v16, v1
	s_waitcnt lgkmcnt(0)
	s_barrier
	buffer_gl0_inv
	ds_load_2addr_b32 v[7:8], v11 offset1:1
	ds_load_2addr_b32 v[5:6], v11 offset0:2 offset1:3
	ds_load_2addr_b32 v[3:4], v11 offset0:4 offset1:5
	;; [unrolled: 1-line block ×3, first 2 shown]
	s_waitcnt lgkmcnt(3)
	v_add_nc_u32_e32 v18, v8, v7
	s_waitcnt lgkmcnt(2)
	s_delay_alu instid0(VALU_DEP_1) | instskip(SKIP_1) | instid1(VALU_DEP_1)
	v_add3_u32 v18, v18, v5, v6
	s_waitcnt lgkmcnt(1)
	v_add3_u32 v18, v18, v3, v4
	s_waitcnt lgkmcnt(0)
	s_delay_alu instid0(VALU_DEP_1) | instskip(NEXT) | instid1(VALU_DEP_1)
	v_add3_u32 v2, v18, v1, v2
	v_mov_b32_dpp v18, v2 row_shr:1 row_mask:0xf bank_mask:0xf
	s_delay_alu instid0(VALU_DEP_1) | instskip(NEXT) | instid1(VALU_DEP_1)
	v_cndmask_b32_e64 v18, v18, 0, s2
	v_add_nc_u32_e32 v2, v18, v2
	s_delay_alu instid0(VALU_DEP_1) | instskip(NEXT) | instid1(VALU_DEP_1)
	v_mov_b32_dpp v18, v2 row_shr:2 row_mask:0xf bank_mask:0xf
	v_cndmask_b32_e64 v18, 0, v18, s3
	s_delay_alu instid0(VALU_DEP_1) | instskip(NEXT) | instid1(VALU_DEP_1)
	v_add_nc_u32_e32 v2, v2, v18
	v_mov_b32_dpp v18, v2 row_shr:4 row_mask:0xf bank_mask:0xf
	s_delay_alu instid0(VALU_DEP_1) | instskip(NEXT) | instid1(VALU_DEP_1)
	v_cndmask_b32_e64 v18, 0, v18, s4
	v_add_nc_u32_e32 v2, v2, v18
	s_delay_alu instid0(VALU_DEP_1) | instskip(NEXT) | instid1(VALU_DEP_1)
	v_mov_b32_dpp v18, v2 row_shr:8 row_mask:0xf bank_mask:0xf
	v_cndmask_b32_e64 v18, 0, v18, s5
	s_delay_alu instid0(VALU_DEP_1) | instskip(SKIP_3) | instid1(VALU_DEP_1)
	v_add_nc_u32_e32 v2, v2, v18
	ds_swizzle_b32 v18, v2 offset:swizzle(BROADCAST,32,15)
	s_waitcnt lgkmcnt(0)
	v_cndmask_b32_e64 v18, v18, 0, s6
	v_add_nc_u32_e32 v2, v2, v18
	s_and_saveexec_b32 s10, s7
	s_cbranch_execz .LBB1_8
; %bb.7:                                ;   in Loop: Header=BB1_4 Depth=2
	ds_store_b32 v12, v2 offset:4096
.LBB1_8:                                ;   in Loop: Header=BB1_4 Depth=2
	s_or_b32 exec_lo, exec_lo, s10
	s_waitcnt lgkmcnt(0)
	s_barrier
	buffer_gl0_inv
	s_and_saveexec_b32 s10, vcc_lo
	s_cbranch_execz .LBB1_10
; %bb.9:                                ;   in Loop: Header=BB1_4 Depth=2
	ds_load_b32 v18, v9 offset:4096
	s_waitcnt lgkmcnt(0)
	v_mov_b32_dpp v19, v18 row_shr:1 row_mask:0xf bank_mask:0xf
	s_delay_alu instid0(VALU_DEP_1) | instskip(NEXT) | instid1(VALU_DEP_1)
	v_cndmask_b32_e64 v19, v19, 0, s8
	v_add_nc_u32_e32 v18, v19, v18
	s_delay_alu instid0(VALU_DEP_1) | instskip(NEXT) | instid1(VALU_DEP_1)
	v_mov_b32_dpp v19, v18 row_shr:2 row_mask:0xf bank_mask:0xf
	v_cndmask_b32_e64 v19, 0, v19, s9
	s_delay_alu instid0(VALU_DEP_1)
	v_add_nc_u32_e32 v18, v18, v19
	ds_store_b32 v9, v18 offset:4096
.LBB1_10:                               ;   in Loop: Header=BB1_4 Depth=2
	s_or_b32 exec_lo, exec_lo, s10
	v_mov_b32_e32 v18, 0
	s_waitcnt lgkmcnt(0)
	s_barrier
	buffer_gl0_inv
	s_and_saveexec_b32 s10, s0
	s_cbranch_execz .LBB1_3
; %bb.11:                               ;   in Loop: Header=BB1_4 Depth=2
	ds_load_b32 v18, v12 offset:4092
	s_branch .LBB1_3
.LBB1_12:
	ds_load_u16 v1, v16
	v_and_b32_e32 v2, 0xffff, v17
	v_lshlrev_b32_e32 v0, 2, v0
	s_add_u32 s0, s18, s12
	s_addc_u32 s1, s19, s13
	s_waitcnt lgkmcnt(0)
	v_add_nc_u32_e32 v1, v1, v2
	global_store_b32 v0, v1, s[0:1]
	s_nop 0
	s_sendmsg sendmsg(MSG_DEALLOC_VGPRS)
	s_endpgm
	.section	.rodata,"a",@progbits
	.p2align	6, 0x0
	.amdhsa_kernel _Z11rank_kernelIiLj4ELb0EL18RadixRankAlgorithm1ELj128ELj1ELj10EEvPKT_Pi
		.amdhsa_group_segment_fixed_size 4112
		.amdhsa_private_segment_fixed_size 0
		.amdhsa_kernarg_size 16
		.amdhsa_user_sgpr_count 15
		.amdhsa_user_sgpr_dispatch_ptr 0
		.amdhsa_user_sgpr_queue_ptr 0
		.amdhsa_user_sgpr_kernarg_segment_ptr 1
		.amdhsa_user_sgpr_dispatch_id 0
		.amdhsa_user_sgpr_private_segment_size 0
		.amdhsa_wavefront_size32 1
		.amdhsa_uses_dynamic_stack 0
		.amdhsa_enable_private_segment 0
		.amdhsa_system_sgpr_workgroup_id_x 1
		.amdhsa_system_sgpr_workgroup_id_y 0
		.amdhsa_system_sgpr_workgroup_id_z 0
		.amdhsa_system_sgpr_workgroup_info 0
		.amdhsa_system_vgpr_workitem_id 0
		.amdhsa_next_free_vgpr 20
		.amdhsa_next_free_sgpr 20
		.amdhsa_reserve_vcc 1
		.amdhsa_float_round_mode_32 0
		.amdhsa_float_round_mode_16_64 0
		.amdhsa_float_denorm_mode_32 3
		.amdhsa_float_denorm_mode_16_64 3
		.amdhsa_dx10_clamp 1
		.amdhsa_ieee_mode 1
		.amdhsa_fp16_overflow 0
		.amdhsa_workgroup_processor_mode 1
		.amdhsa_memory_ordered 1
		.amdhsa_forward_progress 0
		.amdhsa_shared_vgpr_count 0
		.amdhsa_exception_fp_ieee_invalid_op 0
		.amdhsa_exception_fp_denorm_src 0
		.amdhsa_exception_fp_ieee_div_zero 0
		.amdhsa_exception_fp_ieee_overflow 0
		.amdhsa_exception_fp_ieee_underflow 0
		.amdhsa_exception_fp_ieee_inexact 0
		.amdhsa_exception_int_div_zero 0
	.end_amdhsa_kernel
	.section	.text._Z11rank_kernelIiLj4ELb0EL18RadixRankAlgorithm1ELj128ELj1ELj10EEvPKT_Pi,"axG",@progbits,_Z11rank_kernelIiLj4ELb0EL18RadixRankAlgorithm1ELj128ELj1ELj10EEvPKT_Pi,comdat
.Lfunc_end1:
	.size	_Z11rank_kernelIiLj4ELb0EL18RadixRankAlgorithm1ELj128ELj1ELj10EEvPKT_Pi, .Lfunc_end1-_Z11rank_kernelIiLj4ELb0EL18RadixRankAlgorithm1ELj128ELj1ELj10EEvPKT_Pi
                                        ; -- End function
	.section	.AMDGPU.csdata,"",@progbits
; Kernel info:
; codeLenInByte = 988
; NumSgprs: 22
; NumVgprs: 20
; ScratchSize: 0
; MemoryBound: 0
; FloatMode: 240
; IeeeMode: 1
; LDSByteSize: 4112 bytes/workgroup (compile time only)
; SGPRBlocks: 2
; VGPRBlocks: 2
; NumSGPRsForWavesPerEU: 22
; NumVGPRsForWavesPerEU: 20
; Occupancy: 16
; WaveLimiterHint : 0
; COMPUTE_PGM_RSRC2:SCRATCH_EN: 0
; COMPUTE_PGM_RSRC2:USER_SGPR: 15
; COMPUTE_PGM_RSRC2:TRAP_HANDLER: 0
; COMPUTE_PGM_RSRC2:TGID_X_EN: 1
; COMPUTE_PGM_RSRC2:TGID_Y_EN: 0
; COMPUTE_PGM_RSRC2:TGID_Z_EN: 0
; COMPUTE_PGM_RSRC2:TIDIG_COMP_CNT: 0
	.section	.text._Z11rank_kernelIiLj4ELb0EL18RadixRankAlgorithm2ELj128ELj1ELj10EEvPKT_Pi,"axG",@progbits,_Z11rank_kernelIiLj4ELb0EL18RadixRankAlgorithm2ELj128ELj1ELj10EEvPKT_Pi,comdat
	.protected	_Z11rank_kernelIiLj4ELb0EL18RadixRankAlgorithm2ELj128ELj1ELj10EEvPKT_Pi ; -- Begin function _Z11rank_kernelIiLj4ELb0EL18RadixRankAlgorithm2ELj128ELj1ELj10EEvPKT_Pi
	.globl	_Z11rank_kernelIiLj4ELb0EL18RadixRankAlgorithm2ELj128ELj1ELj10EEvPKT_Pi
	.p2align	8
	.type	_Z11rank_kernelIiLj4ELb0EL18RadixRankAlgorithm2ELj128ELj1ELj10EEvPKT_Pi,@function
_Z11rank_kernelIiLj4ELb0EL18RadixRankAlgorithm2ELj128ELj1ELj10EEvPKT_Pi: ; @_Z11rank_kernelIiLj4ELb0EL18RadixRankAlgorithm2ELj128ELj1ELj10EEvPKT_Pi
; %bb.0:
	s_clause 0x1
	s_load_b128 s[16:19], s[0:1], 0x0
	s_load_b32 s7, s[0:1], 0x1c
	v_and_b32_e32 v1, 0x3ff, v0
	s_mov_b32 s21, 0
	s_lshl_b32 s20, s15, 7
	v_mov_b32_e32 v3, 0
	s_lshl_b64 s[12:13], s[20:21], 2
	v_lshlrev_b32_e32 v2, 2, v1
	v_mbcnt_lo_u32_b32 v4, -1, 0
	v_bfe_u32 v5, v0, 10, 10
	v_bfe_u32 v0, v0, 20, 10
	v_lshrrev_b32_e32 v11, 3, v1
	v_cmp_gt_u32_e64 s5, 4, v1
	v_and_b32_e32 v6, 15, v4
	v_add_nc_u32_e32 v9, -1, v4
	v_and_b32_e32 v8, 16, v4
	v_cmp_eq_u32_e32 vcc_lo, 0, v4
	v_and_b32_e32 v10, 3, v4
	v_cmp_lt_u32_e64 s2, 3, v6
	v_cmp_lt_u32_e64 s3, 7, v6
	s_waitcnt lgkmcnt(0)
	s_add_u32 s0, s16, s12
	s_addc_u32 s1, s17, s13
	s_lshr_b32 s6, s7, 16
	global_load_b32 v7, v2, s[0:1]
	v_mad_u32_u24 v0, v0, s6, v5
	s_and_b32 s7, s7, 0xffff
	v_cmp_eq_u32_e64 s0, 0, v6
	v_cmp_lt_u32_e64 s1, 1, v6
	v_cmp_eq_u32_e64 s4, 0, v8
	v_mad_u64_u32 v[5:6], null, v0, s7, v[1:2]
	v_cmp_gt_i32_e64 s7, 0, v9
	v_or_b32_e32 v8, 31, v1
	v_and_b32_e32 v0, 12, v11
	v_cmp_lt_u32_e64 s6, 31, v1
	v_cmp_lt_u32_e64 s8, 1, v10
	v_cndmask_b32_e64 v4, v9, v4, s7
	v_cmp_eq_u32_e64 s7, 0, v10
	v_cmp_eq_u32_e64 s9, v8, v1
	v_lshrrev_b32_e32 v5, 5, v5
	s_delay_alu instid0(VALU_DEP_4)
	v_lshlrev_b32_e32 v4, 2, v4
	s_waitcnt vmcnt(0)
	v_xor_b32_e32 v6, 0x80000000, v7
	v_add_nc_u32_e32 v7, -4, v0
	s_branch .LBB2_2
.LBB2_1:                                ;   in Loop: Header=BB2_2 Depth=1
	s_add_i32 s21, s21, 1
	s_delay_alu instid0(SALU_CYCLE_1)
	s_cmp_eq_u32 s21, 10
	s_cbranch_scc1 .LBB2_12
.LBB2_2:                                ; =>This Loop Header: Depth=1
                                        ;     Child Loop BB2_4 Depth 2
	s_mov_b32 s14, -4
	s_mov_b32 s15, 28
	s_branch .LBB2_4
.LBB2_3:                                ;   in Loop: Header=BB2_4 Depth=2
	s_or_b32 exec_lo, exec_lo, s10
	s_waitcnt lgkmcnt(0)
	v_add_nc_u32_e32 v10, v11, v10
	s_add_i32 s14, s14, 4
	s_add_i32 s15, s15, -4
	s_cmp_lt_u32 s14, 28
	ds_bpermute_b32 v10, v4, v10
	s_waitcnt lgkmcnt(0)
	v_cndmask_b32_e32 v10, v10, v11, vcc_lo
	ds_store_b32 v2, v10 offset:16
	s_waitcnt lgkmcnt(0)
	s_barrier
	buffer_gl0_inv
	s_cbranch_scc0 .LBB2_1
.LBB2_4:                                ;   Parent Loop BB2_2 Depth=1
                                        ; =>  This Inner Loop Header: Depth=2
	v_lshlrev_b32_e32 v8, s15, v6
	ds_store_b32 v2, v3 offset:16
	s_waitcnt lgkmcnt(0)
	s_barrier
	buffer_gl0_inv
	v_bfe_u32 v9, v8, 28, 1
	v_lshrrev_b32_e32 v11, 28, v8
	v_not_b32_e32 v14, v8
	; wave barrier
	s_delay_alu instid0(VALU_DEP_3) | instskip(NEXT) | instid1(VALU_DEP_1)
	v_add_co_u32 v9, s10, v9, -1
	v_cndmask_b32_e64 v10, 0, 1, s10
	s_delay_alu instid0(VALU_DEP_4) | instskip(SKIP_1) | instid1(VALU_DEP_3)
	v_lshlrev_b32_e32 v12, 30, v11
	v_lshlrev_b32_e32 v13, 29, v11
	v_cmp_ne_u32_e64 s10, 0, v10
	s_delay_alu instid0(VALU_DEP_3) | instskip(SKIP_1) | instid1(VALU_DEP_4)
	v_not_b32_e32 v10, v12
	v_cmp_gt_i32_e64 s11, 0, v12
	v_not_b32_e32 v12, v13
	s_delay_alu instid0(VALU_DEP_4) | instskip(NEXT) | instid1(VALU_DEP_4)
	v_xor_b32_e32 v9, s10, v9
	v_ashrrev_i32_e32 v10, 31, v10
	v_cmp_gt_i32_e64 s10, 0, v13
	s_delay_alu instid0(VALU_DEP_4) | instskip(NEXT) | instid1(VALU_DEP_4)
	v_ashrrev_i32_e32 v12, 31, v12
	v_and_b32_e32 v9, exec_lo, v9
	s_delay_alu instid0(VALU_DEP_4) | instskip(SKIP_3) | instid1(VALU_DEP_4)
	v_xor_b32_e32 v10, s11, v10
	v_cmp_gt_i32_e64 s11, 0, v8
	v_ashrrev_i32_e32 v8, 31, v14
	v_xor_b32_e32 v12, s10, v12
	v_and_b32_e32 v9, v9, v10
	s_delay_alu instid0(VALU_DEP_3) | instskip(NEXT) | instid1(VALU_DEP_2)
	v_xor_b32_e32 v8, s11, v8
	v_and_b32_e32 v9, v9, v12
	s_delay_alu instid0(VALU_DEP_1) | instskip(SKIP_1) | instid1(VALU_DEP_2)
	v_and_b32_e32 v10, v9, v8
	v_mad_u32_u24 v9, v11, 5, v5
	v_mbcnt_lo_u32_b32 v8, v10, 0
	v_cmp_ne_u32_e64 s11, 0, v10
	s_delay_alu instid0(VALU_DEP_3) | instskip(NEXT) | instid1(VALU_DEP_3)
	v_lshl_add_u32 v9, v9, 2, 16
	v_cmp_eq_u32_e64 s10, 0, v8
	s_delay_alu instid0(VALU_DEP_1) | instskip(NEXT) | instid1(SALU_CYCLE_1)
	s_and_b32 s11, s11, s10
	s_and_saveexec_b32 s10, s11
	s_cbranch_execz .LBB2_6
; %bb.5:                                ;   in Loop: Header=BB2_4 Depth=2
	v_bcnt_u32_b32 v10, v10, 0
	ds_store_b32 v9, v10
.LBB2_6:                                ;   in Loop: Header=BB2_4 Depth=2
	s_or_b32 exec_lo, exec_lo, s10
	; wave barrier
	s_waitcnt lgkmcnt(0)
	s_barrier
	buffer_gl0_inv
	ds_load_b32 v10, v2 offset:16
	s_waitcnt lgkmcnt(0)
	v_mov_b32_dpp v11, v10 row_shr:1 row_mask:0xf bank_mask:0xf
	s_delay_alu instid0(VALU_DEP_1) | instskip(NEXT) | instid1(VALU_DEP_1)
	v_cndmask_b32_e64 v11, v11, 0, s0
	v_add_nc_u32_e32 v10, v11, v10
	s_delay_alu instid0(VALU_DEP_1) | instskip(NEXT) | instid1(VALU_DEP_1)
	v_mov_b32_dpp v11, v10 row_shr:2 row_mask:0xf bank_mask:0xf
	v_cndmask_b32_e64 v11, 0, v11, s1
	s_delay_alu instid0(VALU_DEP_1) | instskip(NEXT) | instid1(VALU_DEP_1)
	v_add_nc_u32_e32 v10, v10, v11
	v_mov_b32_dpp v11, v10 row_shr:4 row_mask:0xf bank_mask:0xf
	s_delay_alu instid0(VALU_DEP_1) | instskip(NEXT) | instid1(VALU_DEP_1)
	v_cndmask_b32_e64 v11, 0, v11, s2
	v_add_nc_u32_e32 v10, v10, v11
	s_delay_alu instid0(VALU_DEP_1) | instskip(NEXT) | instid1(VALU_DEP_1)
	v_mov_b32_dpp v11, v10 row_shr:8 row_mask:0xf bank_mask:0xf
	v_cndmask_b32_e64 v11, 0, v11, s3
	s_delay_alu instid0(VALU_DEP_1) | instskip(SKIP_3) | instid1(VALU_DEP_1)
	v_add_nc_u32_e32 v10, v10, v11
	ds_swizzle_b32 v11, v10 offset:swizzle(BROADCAST,32,15)
	s_waitcnt lgkmcnt(0)
	v_cndmask_b32_e64 v11, v11, 0, s4
	v_add_nc_u32_e32 v10, v10, v11
	s_and_saveexec_b32 s10, s9
	s_cbranch_execz .LBB2_8
; %bb.7:                                ;   in Loop: Header=BB2_4 Depth=2
	ds_store_b32 v0, v10
.LBB2_8:                                ;   in Loop: Header=BB2_4 Depth=2
	s_or_b32 exec_lo, exec_lo, s10
	s_waitcnt lgkmcnt(0)
	s_barrier
	buffer_gl0_inv
	s_and_saveexec_b32 s10, s5
	s_cbranch_execz .LBB2_10
; %bb.9:                                ;   in Loop: Header=BB2_4 Depth=2
	ds_load_b32 v11, v2
	s_waitcnt lgkmcnt(0)
	v_mov_b32_dpp v12, v11 row_shr:1 row_mask:0xf bank_mask:0xf
	s_delay_alu instid0(VALU_DEP_1) | instskip(NEXT) | instid1(VALU_DEP_1)
	v_cndmask_b32_e64 v12, v12, 0, s7
	v_add_nc_u32_e32 v11, v12, v11
	s_delay_alu instid0(VALU_DEP_1) | instskip(NEXT) | instid1(VALU_DEP_1)
	v_mov_b32_dpp v12, v11 row_shr:2 row_mask:0xf bank_mask:0xf
	v_cndmask_b32_e64 v12, 0, v12, s8
	s_delay_alu instid0(VALU_DEP_1)
	v_add_nc_u32_e32 v11, v11, v12
	ds_store_b32 v2, v11
.LBB2_10:                               ;   in Loop: Header=BB2_4 Depth=2
	s_or_b32 exec_lo, exec_lo, s10
	v_mov_b32_e32 v11, 0
	s_waitcnt lgkmcnt(0)
	s_barrier
	buffer_gl0_inv
	s_and_saveexec_b32 s10, s6
	s_cbranch_execz .LBB2_3
; %bb.11:                               ;   in Loop: Header=BB2_4 Depth=2
	ds_load_b32 v11, v7
	s_branch .LBB2_3
.LBB2_12:
	ds_load_b32 v0, v9
	v_lshlrev_b32_e32 v1, 2, v1
	s_add_u32 s0, s18, s12
	s_addc_u32 s1, s19, s13
	s_waitcnt lgkmcnt(0)
	v_add_nc_u32_e32 v0, v0, v8
	global_store_b32 v1, v0, s[0:1]
	s_nop 0
	s_sendmsg sendmsg(MSG_DEALLOC_VGPRS)
	s_endpgm
	.section	.rodata,"a",@progbits
	.p2align	6, 0x0
	.amdhsa_kernel _Z11rank_kernelIiLj4ELb0EL18RadixRankAlgorithm2ELj128ELj1ELj10EEvPKT_Pi
		.amdhsa_group_segment_fixed_size 528
		.amdhsa_private_segment_fixed_size 0
		.amdhsa_kernarg_size 272
		.amdhsa_user_sgpr_count 15
		.amdhsa_user_sgpr_dispatch_ptr 0
		.amdhsa_user_sgpr_queue_ptr 0
		.amdhsa_user_sgpr_kernarg_segment_ptr 1
		.amdhsa_user_sgpr_dispatch_id 0
		.amdhsa_user_sgpr_private_segment_size 0
		.amdhsa_wavefront_size32 1
		.amdhsa_uses_dynamic_stack 0
		.amdhsa_enable_private_segment 0
		.amdhsa_system_sgpr_workgroup_id_x 1
		.amdhsa_system_sgpr_workgroup_id_y 0
		.amdhsa_system_sgpr_workgroup_id_z 0
		.amdhsa_system_sgpr_workgroup_info 0
		.amdhsa_system_vgpr_workitem_id 2
		.amdhsa_next_free_vgpr 15
		.amdhsa_next_free_sgpr 22
		.amdhsa_reserve_vcc 1
		.amdhsa_float_round_mode_32 0
		.amdhsa_float_round_mode_16_64 0
		.amdhsa_float_denorm_mode_32 3
		.amdhsa_float_denorm_mode_16_64 3
		.amdhsa_dx10_clamp 1
		.amdhsa_ieee_mode 1
		.amdhsa_fp16_overflow 0
		.amdhsa_workgroup_processor_mode 1
		.amdhsa_memory_ordered 1
		.amdhsa_forward_progress 0
		.amdhsa_shared_vgpr_count 0
		.amdhsa_exception_fp_ieee_invalid_op 0
		.amdhsa_exception_fp_denorm_src 0
		.amdhsa_exception_fp_ieee_div_zero 0
		.amdhsa_exception_fp_ieee_overflow 0
		.amdhsa_exception_fp_ieee_underflow 0
		.amdhsa_exception_fp_ieee_inexact 0
		.amdhsa_exception_int_div_zero 0
	.end_amdhsa_kernel
	.section	.text._Z11rank_kernelIiLj4ELb0EL18RadixRankAlgorithm2ELj128ELj1ELj10EEvPKT_Pi,"axG",@progbits,_Z11rank_kernelIiLj4ELb0EL18RadixRankAlgorithm2ELj128ELj1ELj10EEvPKT_Pi,comdat
.Lfunc_end2:
	.size	_Z11rank_kernelIiLj4ELb0EL18RadixRankAlgorithm2ELj128ELj1ELj10EEvPKT_Pi, .Lfunc_end2-_Z11rank_kernelIiLj4ELb0EL18RadixRankAlgorithm2ELj128ELj1ELj10EEvPKT_Pi
                                        ; -- End function
	.section	.AMDGPU.csdata,"",@progbits
; Kernel info:
; codeLenInByte = 1004
; NumSgprs: 24
; NumVgprs: 15
; ScratchSize: 0
; MemoryBound: 0
; FloatMode: 240
; IeeeMode: 1
; LDSByteSize: 528 bytes/workgroup (compile time only)
; SGPRBlocks: 2
; VGPRBlocks: 1
; NumSGPRsForWavesPerEU: 24
; NumVGPRsForWavesPerEU: 15
; Occupancy: 16
; WaveLimiterHint : 0
; COMPUTE_PGM_RSRC2:SCRATCH_EN: 0
; COMPUTE_PGM_RSRC2:USER_SGPR: 15
; COMPUTE_PGM_RSRC2:TRAP_HANDLER: 0
; COMPUTE_PGM_RSRC2:TGID_X_EN: 1
; COMPUTE_PGM_RSRC2:TGID_Y_EN: 0
; COMPUTE_PGM_RSRC2:TGID_Z_EN: 0
; COMPUTE_PGM_RSRC2:TIDIG_COMP_CNT: 2
	.section	.text._Z11rank_kernelIiLj4ELb0EL18RadixRankAlgorithm0ELj128ELj4ELj10EEvPKT_Pi,"axG",@progbits,_Z11rank_kernelIiLj4ELb0EL18RadixRankAlgorithm0ELj128ELj4ELj10EEvPKT_Pi,comdat
	.protected	_Z11rank_kernelIiLj4ELb0EL18RadixRankAlgorithm0ELj128ELj4ELj10EEvPKT_Pi ; -- Begin function _Z11rank_kernelIiLj4ELb0EL18RadixRankAlgorithm0ELj128ELj4ELj10EEvPKT_Pi
	.globl	_Z11rank_kernelIiLj4ELb0EL18RadixRankAlgorithm0ELj128ELj4ELj10EEvPKT_Pi
	.p2align	8
	.type	_Z11rank_kernelIiLj4ELb0EL18RadixRankAlgorithm0ELj128ELj4ELj10EEvPKT_Pi,@function
_Z11rank_kernelIiLj4ELb0EL18RadixRankAlgorithm0ELj128ELj4ELj10EEvPKT_Pi: ; @_Z11rank_kernelIiLj4ELb0EL18RadixRankAlgorithm0ELj128ELj4ELj10EEvPKT_Pi
; %bb.0:
	s_load_b128 s[16:19], s[0:1], 0x0
	s_mov_b32 s11, 0
	s_lshl_b32 s10, s15, 9
	v_dual_mov_b32 v2, 0 :: v_dual_lshlrev_b32 v1, 4, v0
	s_lshl_b64 s[12:13], s[10:11], 2
	v_mbcnt_lo_u32_b32 v4, -1, 0
	v_or_b32_e32 v11, 31, v0
	v_lshrrev_b32_e32 v13, 3, v0
	v_lshlrev_b32_e32 v3, 5, v0
	v_cmp_gt_u32_e32 vcc_lo, 4, v0
	v_add_nc_u32_e32 v12, -1, v4
	v_and_b32_e32 v5, 15, v4
	v_and_b32_e32 v10, 16, v4
	;; [unrolled: 1-line block ×3, first 2 shown]
	s_delay_alu instid0(VALU_DEP_4) | instskip(NEXT) | instid1(VALU_DEP_4)
	v_cmp_gt_i32_e64 s7, 0, v12
	v_cmp_eq_u32_e64 s2, 0, v5
	v_cmp_lt_u32_e64 s3, 1, v5
	v_cmp_lt_u32_e64 s4, 3, v5
	s_waitcnt lgkmcnt(0)
	s_add_u32 s0, s16, s12
	s_addc_u32 s1, s17, s13
	v_cmp_lt_u32_e64 s5, 7, v5
	global_load_b128 v[6:9], v1, s[0:1]
	v_cndmask_b32_e64 v5, v12, v4, s7
	v_lshlrev_b32_e32 v1, 2, v0
	v_cmp_lt_u32_e64 s0, 31, v0
	v_cmp_eq_u32_e64 s1, 0, v4
	v_cmp_eq_u32_e64 s6, 0, v10
	;; [unrolled: 1-line block ×3, first 2 shown]
	v_and_b32_e32 v4, 12, v13
	v_cmp_eq_u32_e64 s8, 0, v14
	v_cmp_lt_u32_e64 s9, 1, v14
	v_lshlrev_b32_e32 v5, 2, v5
	v_or_b32_e32 v10, 0xffffff80, v0
	s_waitcnt vmcnt(0)
	v_xor_b32_e32 v6, 0x80000000, v6
	v_xor_b32_e32 v7, 0x80000000, v7
	;; [unrolled: 1-line block ×4, first 2 shown]
	s_branch .LBB3_2
.LBB3_1:                                ;   in Loop: Header=BB3_2 Depth=1
	s_add_i32 s11, s11, 1
	s_delay_alu instid0(SALU_CYCLE_1)
	s_cmp_eq_u32 s11, 10
	s_cbranch_scc1 .LBB3_12
.LBB3_2:                                ; =>This Loop Header: Depth=1
                                        ;     Child Loop BB3_4 Depth 2
                                        ;       Child Loop BB3_5 Depth 3
	s_mov_b32 s14, 0
	s_branch .LBB3_4
.LBB3_3:                                ;   in Loop: Header=BB3_4 Depth=2
	s_or_b32 exec_lo, exec_lo, s10
	s_waitcnt lgkmcnt(0)
	v_add_nc_u32_e32 v19, v20, v19
	ds_load_b32 v23, v2 offset:4108
	ds_load_2addr_b32 v[21:22], v3 offset1:1
	s_add_i32 s10, s14, 4
	s_cmp_lt_u32 s14, 28
	s_mov_b32 s14, s10
	ds_bpermute_b32 v19, v5, v19
	s_waitcnt lgkmcnt(0)
	v_cndmask_b32_e64 v24, v19, v20, s1
	ds_load_2addr_b32 v[19:20], v3 offset0:2 offset1:3
	v_lshl_add_u32 v25, v23, 16, v24
	ds_load_2addr_b32 v[23:24], v3 offset0:4 offset1:5
	ds_load_b32 v26, v3 offset:24
	v_add_nc_u32_e32 v21, v25, v21
	s_delay_alu instid0(VALU_DEP_1) | instskip(SKIP_1) | instid1(VALU_DEP_1)
	v_add_nc_u32_e32 v22, v22, v21
	s_waitcnt lgkmcnt(2)
	v_add_nc_u32_e32 v19, v19, v22
	s_delay_alu instid0(VALU_DEP_1) | instskip(SKIP_1) | instid1(VALU_DEP_1)
	v_add_nc_u32_e32 v20, v20, v19
	s_waitcnt lgkmcnt(1)
	;; [unrolled: 4-line block ×3, first 2 shown]
	v_add_nc_u32_e32 v26, v26, v24
	ds_store_2addr_b32 v3, v25, v21 offset1:1
	ds_store_2addr_b32 v3, v22, v19 offset0:2 offset1:3
	ds_store_2addr_b32 v3, v20, v23 offset0:4 offset1:5
	;; [unrolled: 1-line block ×3, first 2 shown]
	s_waitcnt lgkmcnt(0)
	s_barrier
	buffer_gl0_inv
	s_cbranch_scc0 .LBB3_1
.LBB3_4:                                ;   Parent Loop BB3_2 Depth=1
                                        ; =>  This Loop Header: Depth=2
                                        ;       Child Loop BB3_5 Depth 3
	v_dual_mov_b32 v11, v10 :: v_dual_mov_b32 v12, v1
	s_mov_b32 s15, 0
.LBB3_5:                                ;   Parent Loop BB3_2 Depth=1
                                        ;     Parent Loop BB3_4 Depth=2
                                        ; =>    This Inner Loop Header: Depth=3
	s_delay_alu instid0(VALU_DEP_1) | instskip(SKIP_3) | instid1(VALU_DEP_1)
	v_add_nc_u32_e32 v11, 0x80, v11
	ds_store_b32 v12, v2
	v_add_nc_u32_e32 v12, 0x200, v12
	v_cmp_lt_u32_e64 s10, 0x37f, v11
	s_or_b32 s15, s10, s15
	s_delay_alu instid0(SALU_CYCLE_1)
	s_and_not1_b32 exec_lo, exec_lo, s15
	s_cbranch_execnz .LBB3_5
; %bb.6:                                ;   in Loop: Header=BB3_4 Depth=2
	s_or_b32 exec_lo, exec_lo, s15
	s_sub_i32 s10, 28, s14
	s_delay_alu instid0(SALU_CYCLE_1) | instskip(SKIP_1) | instid1(VALU_DEP_2)
	v_lshlrev_b32_e32 v11, s10, v6
	v_lshlrev_b32_e32 v13, s10, v7
	v_lshrrev_b32_e32 v12, 21, v11
	s_delay_alu instid0(VALU_DEP_2) | instskip(NEXT) | instid1(VALU_DEP_2)
	v_lshrrev_b32_e32 v14, 21, v13
	v_and_or_b32 v12, 0x380, v12, v0
	s_delay_alu instid0(VALU_DEP_2) | instskip(NEXT) | instid1(VALU_DEP_2)
	v_and_or_b32 v14, 0x380, v14, v0
	v_alignbit_b32 v11, v12, v11, 31
	s_delay_alu instid0(VALU_DEP_2) | instskip(NEXT) | instid1(VALU_DEP_2)
	v_alignbit_b32 v13, v14, v13, 31
	v_lshlrev_b32_e32 v12, 1, v11
	s_delay_alu instid0(VALU_DEP_2)
	v_lshlrev_b32_e32 v14, 1, v13
	ds_load_u16 v11, v12
	s_waitcnt lgkmcnt(0)
	v_add_nc_u16 v15, v11, 1
	ds_store_b16 v12, v15
	ds_load_u16 v13, v14
	v_lshlrev_b32_e32 v15, s10, v8
	s_delay_alu instid0(VALU_DEP_1) | instskip(NEXT) | instid1(VALU_DEP_1)
	v_lshrrev_b32_e32 v16, 21, v15
	v_and_or_b32 v16, 0x380, v16, v0
	s_delay_alu instid0(VALU_DEP_1) | instskip(SKIP_2) | instid1(VALU_DEP_2)
	v_alignbit_b32 v15, v16, v15, 31
	s_waitcnt lgkmcnt(0)
	v_add_nc_u16 v17, v13, 1
	v_lshlrev_b32_e32 v16, 1, v15
	ds_store_b16 v14, v17
	ds_load_u16 v15, v16
	v_lshlrev_b32_e32 v17, s10, v9
	s_delay_alu instid0(VALU_DEP_1) | instskip(NEXT) | instid1(VALU_DEP_1)
	v_lshrrev_b32_e32 v18, 21, v17
	v_and_or_b32 v18, 0x380, v18, v0
	s_delay_alu instid0(VALU_DEP_1) | instskip(SKIP_2) | instid1(VALU_DEP_2)
	v_alignbit_b32 v17, v18, v17, 31
	s_waitcnt lgkmcnt(0)
	v_add_nc_u16 v19, v15, 1
	v_lshlrev_b32_e32 v18, 1, v17
	ds_store_b16 v16, v19
	ds_load_u16 v17, v18
	s_waitcnt lgkmcnt(0)
	v_add_nc_u16 v19, v17, 1
	ds_store_b16 v18, v19
	s_waitcnt lgkmcnt(0)
	s_barrier
	buffer_gl0_inv
	ds_load_2addr_b32 v[19:20], v3 offset1:1
	ds_load_2addr_b32 v[21:22], v3 offset0:2 offset1:3
	ds_load_2addr_b32 v[23:24], v3 offset0:4 offset1:5
	;; [unrolled: 1-line block ×3, first 2 shown]
	s_waitcnt lgkmcnt(3)
	v_add_nc_u32_e32 v19, v20, v19
	s_waitcnt lgkmcnt(2)
	s_delay_alu instid0(VALU_DEP_1) | instskip(SKIP_1) | instid1(VALU_DEP_1)
	v_add3_u32 v19, v19, v21, v22
	s_waitcnt lgkmcnt(1)
	v_add3_u32 v19, v19, v23, v24
	s_waitcnt lgkmcnt(0)
	s_delay_alu instid0(VALU_DEP_1) | instskip(NEXT) | instid1(VALU_DEP_1)
	v_add3_u32 v19, v19, v25, v26
	v_mov_b32_dpp v20, v19 row_shr:1 row_mask:0xf bank_mask:0xf
	s_delay_alu instid0(VALU_DEP_1) | instskip(NEXT) | instid1(VALU_DEP_1)
	v_cndmask_b32_e64 v20, v20, 0, s2
	v_add_nc_u32_e32 v19, v20, v19
	s_delay_alu instid0(VALU_DEP_1) | instskip(NEXT) | instid1(VALU_DEP_1)
	v_mov_b32_dpp v20, v19 row_shr:2 row_mask:0xf bank_mask:0xf
	v_cndmask_b32_e64 v20, 0, v20, s3
	s_delay_alu instid0(VALU_DEP_1) | instskip(NEXT) | instid1(VALU_DEP_1)
	v_add_nc_u32_e32 v19, v19, v20
	v_mov_b32_dpp v20, v19 row_shr:4 row_mask:0xf bank_mask:0xf
	s_delay_alu instid0(VALU_DEP_1) | instskip(NEXT) | instid1(VALU_DEP_1)
	v_cndmask_b32_e64 v20, 0, v20, s4
	v_add_nc_u32_e32 v19, v19, v20
	s_delay_alu instid0(VALU_DEP_1) | instskip(NEXT) | instid1(VALU_DEP_1)
	v_mov_b32_dpp v20, v19 row_shr:8 row_mask:0xf bank_mask:0xf
	v_cndmask_b32_e64 v20, 0, v20, s5
	s_delay_alu instid0(VALU_DEP_1) | instskip(SKIP_3) | instid1(VALU_DEP_1)
	v_add_nc_u32_e32 v19, v19, v20
	ds_swizzle_b32 v20, v19 offset:swizzle(BROADCAST,32,15)
	s_waitcnt lgkmcnt(0)
	v_cndmask_b32_e64 v20, v20, 0, s6
	v_add_nc_u32_e32 v19, v19, v20
	s_and_saveexec_b32 s10, s7
	s_cbranch_execz .LBB3_8
; %bb.7:                                ;   in Loop: Header=BB3_4 Depth=2
	ds_store_b32 v4, v19 offset:4096
.LBB3_8:                                ;   in Loop: Header=BB3_4 Depth=2
	s_or_b32 exec_lo, exec_lo, s10
	s_waitcnt lgkmcnt(0)
	s_barrier
	buffer_gl0_inv
	s_and_saveexec_b32 s10, vcc_lo
	s_cbranch_execz .LBB3_10
; %bb.9:                                ;   in Loop: Header=BB3_4 Depth=2
	ds_load_b32 v20, v1 offset:4096
	s_waitcnt lgkmcnt(0)
	v_mov_b32_dpp v21, v20 row_shr:1 row_mask:0xf bank_mask:0xf
	s_delay_alu instid0(VALU_DEP_1) | instskip(NEXT) | instid1(VALU_DEP_1)
	v_cndmask_b32_e64 v21, v21, 0, s8
	v_add_nc_u32_e32 v20, v21, v20
	s_delay_alu instid0(VALU_DEP_1) | instskip(NEXT) | instid1(VALU_DEP_1)
	v_mov_b32_dpp v21, v20 row_shr:2 row_mask:0xf bank_mask:0xf
	v_cndmask_b32_e64 v21, 0, v21, s9
	s_delay_alu instid0(VALU_DEP_1)
	v_add_nc_u32_e32 v20, v20, v21
	ds_store_b32 v1, v20 offset:4096
.LBB3_10:                               ;   in Loop: Header=BB3_4 Depth=2
	s_or_b32 exec_lo, exec_lo, s10
	v_mov_b32_e32 v20, 0
	s_waitcnt lgkmcnt(0)
	s_barrier
	buffer_gl0_inv
	s_and_saveexec_b32 s10, s0
	s_cbranch_execz .LBB3_3
; %bb.11:                               ;   in Loop: Header=BB3_4 Depth=2
	ds_load_b32 v20, v4 offset:4092
	s_branch .LBB3_3
.LBB3_12:
	ds_load_u16 v0, v12
	ds_load_u16 v3, v14
	;; [unrolled: 1-line block ×4, first 2 shown]
	v_and_b32_e32 v2, 0xffff, v11
	v_and_b32_e32 v6, 0xffff, v13
	;; [unrolled: 1-line block ×4, first 2 shown]
	s_add_u32 s0, s18, s12
	s_addc_u32 s1, s19, s13
	s_waitcnt lgkmcnt(3)
	v_add_nc_u32_e32 v2, v0, v2
	s_waitcnt lgkmcnt(2)
	v_add_nc_u32_e32 v3, v3, v6
	;; [unrolled: 2-line block ×4, first 2 shown]
	v_lshlrev_b32_e32 v0, 2, v1
	global_store_b128 v0, v[2:5], s[0:1]
	s_nop 0
	s_sendmsg sendmsg(MSG_DEALLOC_VGPRS)
	s_endpgm
	.section	.rodata,"a",@progbits
	.p2align	6, 0x0
	.amdhsa_kernel _Z11rank_kernelIiLj4ELb0EL18RadixRankAlgorithm0ELj128ELj4ELj10EEvPKT_Pi
		.amdhsa_group_segment_fixed_size 4112
		.amdhsa_private_segment_fixed_size 0
		.amdhsa_kernarg_size 16
		.amdhsa_user_sgpr_count 15
		.amdhsa_user_sgpr_dispatch_ptr 0
		.amdhsa_user_sgpr_queue_ptr 0
		.amdhsa_user_sgpr_kernarg_segment_ptr 1
		.amdhsa_user_sgpr_dispatch_id 0
		.amdhsa_user_sgpr_private_segment_size 0
		.amdhsa_wavefront_size32 1
		.amdhsa_uses_dynamic_stack 0
		.amdhsa_enable_private_segment 0
		.amdhsa_system_sgpr_workgroup_id_x 1
		.amdhsa_system_sgpr_workgroup_id_y 0
		.amdhsa_system_sgpr_workgroup_id_z 0
		.amdhsa_system_sgpr_workgroup_info 0
		.amdhsa_system_vgpr_workitem_id 0
		.amdhsa_next_free_vgpr 27
		.amdhsa_next_free_sgpr 20
		.amdhsa_reserve_vcc 1
		.amdhsa_float_round_mode_32 0
		.amdhsa_float_round_mode_16_64 0
		.amdhsa_float_denorm_mode_32 3
		.amdhsa_float_denorm_mode_16_64 3
		.amdhsa_dx10_clamp 1
		.amdhsa_ieee_mode 1
		.amdhsa_fp16_overflow 0
		.amdhsa_workgroup_processor_mode 1
		.amdhsa_memory_ordered 1
		.amdhsa_forward_progress 0
		.amdhsa_shared_vgpr_count 0
		.amdhsa_exception_fp_ieee_invalid_op 0
		.amdhsa_exception_fp_denorm_src 0
		.amdhsa_exception_fp_ieee_div_zero 0
		.amdhsa_exception_fp_ieee_overflow 0
		.amdhsa_exception_fp_ieee_underflow 0
		.amdhsa_exception_fp_ieee_inexact 0
		.amdhsa_exception_int_div_zero 0
	.end_amdhsa_kernel
	.section	.text._Z11rank_kernelIiLj4ELb0EL18RadixRankAlgorithm0ELj128ELj4ELj10EEvPKT_Pi,"axG",@progbits,_Z11rank_kernelIiLj4ELb0EL18RadixRankAlgorithm0ELj128ELj4ELj10EEvPKT_Pi,comdat
.Lfunc_end3:
	.size	_Z11rank_kernelIiLj4ELb0EL18RadixRankAlgorithm0ELj128ELj4ELj10EEvPKT_Pi, .Lfunc_end3-_Z11rank_kernelIiLj4ELb0EL18RadixRankAlgorithm0ELj128ELj4ELj10EEvPKT_Pi
                                        ; -- End function
	.section	.AMDGPU.csdata,"",@progbits
; Kernel info:
; codeLenInByte = 1336
; NumSgprs: 22
; NumVgprs: 27
; ScratchSize: 0
; MemoryBound: 0
; FloatMode: 240
; IeeeMode: 1
; LDSByteSize: 4112 bytes/workgroup (compile time only)
; SGPRBlocks: 2
; VGPRBlocks: 3
; NumSGPRsForWavesPerEU: 22
; NumVGPRsForWavesPerEU: 27
; Occupancy: 16
; WaveLimiterHint : 0
; COMPUTE_PGM_RSRC2:SCRATCH_EN: 0
; COMPUTE_PGM_RSRC2:USER_SGPR: 15
; COMPUTE_PGM_RSRC2:TRAP_HANDLER: 0
; COMPUTE_PGM_RSRC2:TGID_X_EN: 1
; COMPUTE_PGM_RSRC2:TGID_Y_EN: 0
; COMPUTE_PGM_RSRC2:TGID_Z_EN: 0
; COMPUTE_PGM_RSRC2:TIDIG_COMP_CNT: 0
	.section	.text._Z11rank_kernelIiLj4ELb0EL18RadixRankAlgorithm1ELj128ELj4ELj10EEvPKT_Pi,"axG",@progbits,_Z11rank_kernelIiLj4ELb0EL18RadixRankAlgorithm1ELj128ELj4ELj10EEvPKT_Pi,comdat
	.protected	_Z11rank_kernelIiLj4ELb0EL18RadixRankAlgorithm1ELj128ELj4ELj10EEvPKT_Pi ; -- Begin function _Z11rank_kernelIiLj4ELb0EL18RadixRankAlgorithm1ELj128ELj4ELj10EEvPKT_Pi
	.globl	_Z11rank_kernelIiLj4ELb0EL18RadixRankAlgorithm1ELj128ELj4ELj10EEvPKT_Pi
	.p2align	8
	.type	_Z11rank_kernelIiLj4ELb0EL18RadixRankAlgorithm1ELj128ELj4ELj10EEvPKT_Pi,@function
_Z11rank_kernelIiLj4ELb0EL18RadixRankAlgorithm1ELj128ELj4ELj10EEvPKT_Pi: ; @_Z11rank_kernelIiLj4ELb0EL18RadixRankAlgorithm1ELj128ELj4ELj10EEvPKT_Pi
; %bb.0:
	s_load_b128 s[16:19], s[0:1], 0x0
	s_mov_b32 s11, 0
	s_lshl_b32 s10, s15, 9
	v_dual_mov_b32 v10, 0 :: v_dual_lshlrev_b32 v1, 4, v0
	s_lshl_b64 s[12:13], s[10:11], 2
	v_mbcnt_lo_u32_b32 v5, -1, 0
	v_or_b32_e32 v8, 31, v0
	v_lshrrev_b32_e32 v13, 3, v0
	v_lshlrev_b32_e32 v9, 2, v0
	v_lshlrev_b32_e32 v11, 5, v0
	v_add_nc_u32_e32 v12, -1, v5
	v_and_b32_e32 v6, 15, v5
	v_and_b32_e32 v7, 16, v5
	;; [unrolled: 1-line block ×3, first 2 shown]
	v_cmp_gt_u32_e32 vcc_lo, 4, v0
	v_cmp_gt_i32_e64 s7, 0, v12
	v_cmp_eq_u32_e64 s2, 0, v6
	v_cmp_lt_u32_e64 s3, 1, v6
	v_cmp_lt_u32_e64 s4, 3, v6
	s_waitcnt lgkmcnt(0)
	s_add_u32 s0, s16, s12
	s_addc_u32 s1, s17, s13
	v_cmp_lt_u32_e64 s5, 7, v6
	global_load_b128 v[1:4], v1, s[0:1]
	v_cmp_eq_u32_e64 s1, 0, v5
	v_cndmask_b32_e64 v5, v12, v5, s7
	v_cmp_lt_u32_e64 s0, 31, v0
	v_cmp_eq_u32_e64 s6, 0, v7
	v_cmp_eq_u32_e64 s7, v8, v0
	v_and_b32_e32 v12, 12, v13
	v_cmp_eq_u32_e64 s8, 0, v14
	v_cmp_lt_u32_e64 s9, 1, v14
	v_lshlrev_b32_e32 v13, 2, v5
	v_or_b32_e32 v18, 0xffffff80, v0
	s_waitcnt vmcnt(0)
	v_xor_b32_e32 v14, 0x80000000, v1
	v_xor_b32_e32 v15, 0x80000000, v2
	;; [unrolled: 1-line block ×4, first 2 shown]
	s_branch .LBB4_2
.LBB4_1:                                ;   in Loop: Header=BB4_2 Depth=1
	s_add_i32 s11, s11, 1
	s_delay_alu instid0(SALU_CYCLE_1)
	s_cmp_eq_u32 s11, 10
	s_cbranch_scc1 .LBB4_12
.LBB4_2:                                ; =>This Loop Header: Depth=1
                                        ;     Child Loop BB4_4 Depth 2
                                        ;       Child Loop BB4_5 Depth 3
	s_mov_b32 s14, 0
	s_branch .LBB4_4
.LBB4_3:                                ;   in Loop: Header=BB4_4 Depth=2
	s_or_b32 exec_lo, exec_lo, s10
	s_waitcnt lgkmcnt(0)
	v_add_nc_u32_e32 v2, v27, v2
	ds_load_b32 v28, v10 offset:4108
	s_add_i32 s10, s14, 4
	s_cmp_lt_u32 s14, 28
	s_mov_b32 s14, s10
	ds_bpermute_b32 v2, v13, v2
	s_waitcnt lgkmcnt(0)
	v_cndmask_b32_e64 v2, v2, v27, s1
	s_delay_alu instid0(VALU_DEP_1) | instskip(NEXT) | instid1(VALU_DEP_1)
	v_lshl_add_u32 v2, v28, 16, v2
	v_add_nc_u32_e32 v7, v2, v7
	s_delay_alu instid0(VALU_DEP_1) | instskip(NEXT) | instid1(VALU_DEP_1)
	v_add_nc_u32_e32 v8, v7, v8
	v_add_nc_u32_e32 v5, v8, v5
	s_delay_alu instid0(VALU_DEP_1) | instskip(NEXT) | instid1(VALU_DEP_1)
	v_add_nc_u32_e32 v6, v5, v6
	;; [unrolled: 3-line block ×3, first 2 shown]
	v_add_nc_u32_e32 v1, v4, v1
	ds_store_2addr_b32 v11, v2, v7 offset1:1
	ds_store_2addr_b32 v11, v8, v5 offset0:2 offset1:3
	ds_store_2addr_b32 v11, v6, v3 offset0:4 offset1:5
	;; [unrolled: 1-line block ×3, first 2 shown]
	s_waitcnt lgkmcnt(0)
	s_barrier
	buffer_gl0_inv
	s_cbranch_scc0 .LBB4_1
.LBB4_4:                                ;   Parent Loop BB4_2 Depth=1
                                        ; =>  This Loop Header: Depth=2
                                        ;       Child Loop BB4_5 Depth 3
	v_dual_mov_b32 v1, v18 :: v_dual_mov_b32 v2, v9
	s_mov_b32 s15, 0
.LBB4_5:                                ;   Parent Loop BB4_2 Depth=1
                                        ;     Parent Loop BB4_4 Depth=2
                                        ; =>    This Inner Loop Header: Depth=3
	s_delay_alu instid0(VALU_DEP_1) | instskip(SKIP_3) | instid1(VALU_DEP_1)
	v_add_nc_u32_e32 v1, 0x80, v1
	ds_store_b32 v2, v10
	v_add_nc_u32_e32 v2, 0x200, v2
	v_cmp_lt_u32_e64 s10, 0x37f, v1
	s_or_b32 s15, s10, s15
	s_delay_alu instid0(SALU_CYCLE_1)
	s_and_not1_b32 exec_lo, exec_lo, s15
	s_cbranch_execnz .LBB4_5
; %bb.6:                                ;   in Loop: Header=BB4_4 Depth=2
	s_or_b32 exec_lo, exec_lo, s15
	s_sub_i32 s10, 28, s14
	s_delay_alu instid0(SALU_CYCLE_1) | instskip(NEXT) | instid1(VALU_DEP_1)
	v_lshlrev_b32_e32 v1, s10, v14
	v_lshrrev_b32_e32 v2, 21, v1
	s_delay_alu instid0(VALU_DEP_1) | instskip(NEXT) | instid1(VALU_DEP_1)
	v_and_or_b32 v2, 0x380, v2, v0
	v_alignbit_b32 v1, v2, v1, 31
	s_delay_alu instid0(VALU_DEP_1) | instskip(SKIP_3) | instid1(VALU_DEP_1)
	v_lshlrev_b32_e32 v20, 1, v1
	v_lshlrev_b32_e32 v1, s10, v15
	ds_load_u16 v19, v20
	v_lshrrev_b32_e32 v2, 21, v1
	v_and_or_b32 v2, 0x380, v2, v0
	s_delay_alu instid0(VALU_DEP_1) | instskip(NEXT) | instid1(VALU_DEP_1)
	v_alignbit_b32 v1, v2, v1, 31
	v_lshlrev_b32_e32 v22, 1, v1
	v_lshlrev_b32_e32 v1, s10, v16
	s_waitcnt lgkmcnt(0)
	v_add_nc_u16 v2, v19, 1
	ds_store_b16 v20, v2
	ds_load_u16 v21, v22
	v_lshrrev_b32_e32 v2, 21, v1
	s_delay_alu instid0(VALU_DEP_1) | instskip(NEXT) | instid1(VALU_DEP_1)
	v_and_or_b32 v2, 0x380, v2, v0
	v_alignbit_b32 v1, v2, v1, 31
	s_delay_alu instid0(VALU_DEP_1)
	v_lshlrev_b32_e32 v24, 1, v1
	v_lshlrev_b32_e32 v1, s10, v17
	s_waitcnt lgkmcnt(0)
	v_add_nc_u16 v2, v21, 1
	ds_store_b16 v22, v2
	ds_load_u16 v23, v24
	v_lshrrev_b32_e32 v2, 21, v1
	s_delay_alu instid0(VALU_DEP_1) | instskip(NEXT) | instid1(VALU_DEP_1)
	v_and_or_b32 v2, 0x380, v2, v0
	v_alignbit_b32 v1, v2, v1, 31
	s_delay_alu instid0(VALU_DEP_1)
	v_lshlrev_b32_e32 v26, 1, v1
	s_waitcnt lgkmcnt(0)
	v_add_nc_u16 v2, v23, 1
	ds_store_b16 v24, v2
	ds_load_u16 v25, v26
	s_waitcnt lgkmcnt(0)
	v_add_nc_u16 v1, v25, 1
	ds_store_b16 v26, v1
	s_waitcnt lgkmcnt(0)
	s_barrier
	buffer_gl0_inv
	ds_load_2addr_b32 v[7:8], v11 offset1:1
	ds_load_2addr_b32 v[5:6], v11 offset0:2 offset1:3
	ds_load_2addr_b32 v[3:4], v11 offset0:4 offset1:5
	;; [unrolled: 1-line block ×3, first 2 shown]
	s_waitcnt lgkmcnt(3)
	v_add_nc_u32_e32 v27, v8, v7
	s_waitcnt lgkmcnt(2)
	s_delay_alu instid0(VALU_DEP_1) | instskip(SKIP_1) | instid1(VALU_DEP_1)
	v_add3_u32 v27, v27, v5, v6
	s_waitcnt lgkmcnt(1)
	v_add3_u32 v27, v27, v3, v4
	s_waitcnt lgkmcnt(0)
	s_delay_alu instid0(VALU_DEP_1) | instskip(NEXT) | instid1(VALU_DEP_1)
	v_add3_u32 v2, v27, v1, v2
	v_mov_b32_dpp v27, v2 row_shr:1 row_mask:0xf bank_mask:0xf
	s_delay_alu instid0(VALU_DEP_1) | instskip(NEXT) | instid1(VALU_DEP_1)
	v_cndmask_b32_e64 v27, v27, 0, s2
	v_add_nc_u32_e32 v2, v27, v2
	s_delay_alu instid0(VALU_DEP_1) | instskip(NEXT) | instid1(VALU_DEP_1)
	v_mov_b32_dpp v27, v2 row_shr:2 row_mask:0xf bank_mask:0xf
	v_cndmask_b32_e64 v27, 0, v27, s3
	s_delay_alu instid0(VALU_DEP_1) | instskip(NEXT) | instid1(VALU_DEP_1)
	v_add_nc_u32_e32 v2, v2, v27
	v_mov_b32_dpp v27, v2 row_shr:4 row_mask:0xf bank_mask:0xf
	s_delay_alu instid0(VALU_DEP_1) | instskip(NEXT) | instid1(VALU_DEP_1)
	v_cndmask_b32_e64 v27, 0, v27, s4
	v_add_nc_u32_e32 v2, v2, v27
	s_delay_alu instid0(VALU_DEP_1) | instskip(NEXT) | instid1(VALU_DEP_1)
	v_mov_b32_dpp v27, v2 row_shr:8 row_mask:0xf bank_mask:0xf
	v_cndmask_b32_e64 v27, 0, v27, s5
	s_delay_alu instid0(VALU_DEP_1) | instskip(SKIP_3) | instid1(VALU_DEP_1)
	v_add_nc_u32_e32 v2, v2, v27
	ds_swizzle_b32 v27, v2 offset:swizzle(BROADCAST,32,15)
	s_waitcnt lgkmcnt(0)
	v_cndmask_b32_e64 v27, v27, 0, s6
	v_add_nc_u32_e32 v2, v2, v27
	s_and_saveexec_b32 s10, s7
	s_cbranch_execz .LBB4_8
; %bb.7:                                ;   in Loop: Header=BB4_4 Depth=2
	ds_store_b32 v12, v2 offset:4096
.LBB4_8:                                ;   in Loop: Header=BB4_4 Depth=2
	s_or_b32 exec_lo, exec_lo, s10
	s_waitcnt lgkmcnt(0)
	s_barrier
	buffer_gl0_inv
	s_and_saveexec_b32 s10, vcc_lo
	s_cbranch_execz .LBB4_10
; %bb.9:                                ;   in Loop: Header=BB4_4 Depth=2
	ds_load_b32 v27, v9 offset:4096
	s_waitcnt lgkmcnt(0)
	v_mov_b32_dpp v28, v27 row_shr:1 row_mask:0xf bank_mask:0xf
	s_delay_alu instid0(VALU_DEP_1) | instskip(NEXT) | instid1(VALU_DEP_1)
	v_cndmask_b32_e64 v28, v28, 0, s8
	v_add_nc_u32_e32 v27, v28, v27
	s_delay_alu instid0(VALU_DEP_1) | instskip(NEXT) | instid1(VALU_DEP_1)
	v_mov_b32_dpp v28, v27 row_shr:2 row_mask:0xf bank_mask:0xf
	v_cndmask_b32_e64 v28, 0, v28, s9
	s_delay_alu instid0(VALU_DEP_1)
	v_add_nc_u32_e32 v27, v27, v28
	ds_store_b32 v9, v27 offset:4096
.LBB4_10:                               ;   in Loop: Header=BB4_4 Depth=2
	s_or_b32 exec_lo, exec_lo, s10
	v_mov_b32_e32 v27, 0
	s_waitcnt lgkmcnt(0)
	s_barrier
	buffer_gl0_inv
	s_and_saveexec_b32 s10, s0
	s_cbranch_execz .LBB4_3
; %bb.11:                               ;   in Loop: Header=BB4_4 Depth=2
	ds_load_b32 v27, v12 offset:4092
	s_branch .LBB4_3
.LBB4_12:
	ds_load_u16 v0, v20
	ds_load_u16 v1, v22
	;; [unrolled: 1-line block ×4, first 2 shown]
	v_and_b32_e32 v4, 0xffff, v19
	v_and_b32_e32 v5, 0xffff, v21
	;; [unrolled: 1-line block ×4, first 2 shown]
	s_add_u32 s0, s18, s12
	s_addc_u32 s1, s19, s13
	s_waitcnt lgkmcnt(3)
	v_add_nc_u32_e32 v0, v0, v4
	s_waitcnt lgkmcnt(2)
	v_add_nc_u32_e32 v1, v1, v5
	;; [unrolled: 2-line block ×4, first 2 shown]
	v_lshlrev_b32_e32 v4, 2, v9
	global_store_b128 v4, v[0:3], s[0:1]
	s_nop 0
	s_sendmsg sendmsg(MSG_DEALLOC_VGPRS)
	s_endpgm
	.section	.rodata,"a",@progbits
	.p2align	6, 0x0
	.amdhsa_kernel _Z11rank_kernelIiLj4ELb0EL18RadixRankAlgorithm1ELj128ELj4ELj10EEvPKT_Pi
		.amdhsa_group_segment_fixed_size 4112
		.amdhsa_private_segment_fixed_size 0
		.amdhsa_kernarg_size 16
		.amdhsa_user_sgpr_count 15
		.amdhsa_user_sgpr_dispatch_ptr 0
		.amdhsa_user_sgpr_queue_ptr 0
		.amdhsa_user_sgpr_kernarg_segment_ptr 1
		.amdhsa_user_sgpr_dispatch_id 0
		.amdhsa_user_sgpr_private_segment_size 0
		.amdhsa_wavefront_size32 1
		.amdhsa_uses_dynamic_stack 0
		.amdhsa_enable_private_segment 0
		.amdhsa_system_sgpr_workgroup_id_x 1
		.amdhsa_system_sgpr_workgroup_id_y 0
		.amdhsa_system_sgpr_workgroup_id_z 0
		.amdhsa_system_sgpr_workgroup_info 0
		.amdhsa_system_vgpr_workitem_id 0
		.amdhsa_next_free_vgpr 29
		.amdhsa_next_free_sgpr 20
		.amdhsa_reserve_vcc 1
		.amdhsa_float_round_mode_32 0
		.amdhsa_float_round_mode_16_64 0
		.amdhsa_float_denorm_mode_32 3
		.amdhsa_float_denorm_mode_16_64 3
		.amdhsa_dx10_clamp 1
		.amdhsa_ieee_mode 1
		.amdhsa_fp16_overflow 0
		.amdhsa_workgroup_processor_mode 1
		.amdhsa_memory_ordered 1
		.amdhsa_forward_progress 0
		.amdhsa_shared_vgpr_count 0
		.amdhsa_exception_fp_ieee_invalid_op 0
		.amdhsa_exception_fp_denorm_src 0
		.amdhsa_exception_fp_ieee_div_zero 0
		.amdhsa_exception_fp_ieee_overflow 0
		.amdhsa_exception_fp_ieee_underflow 0
		.amdhsa_exception_fp_ieee_inexact 0
		.amdhsa_exception_int_div_zero 0
	.end_amdhsa_kernel
	.section	.text._Z11rank_kernelIiLj4ELb0EL18RadixRankAlgorithm1ELj128ELj4ELj10EEvPKT_Pi,"axG",@progbits,_Z11rank_kernelIiLj4ELb0EL18RadixRankAlgorithm1ELj128ELj4ELj10EEvPKT_Pi,comdat
.Lfunc_end4:
	.size	_Z11rank_kernelIiLj4ELb0EL18RadixRankAlgorithm1ELj128ELj4ELj10EEvPKT_Pi, .Lfunc_end4-_Z11rank_kernelIiLj4ELb0EL18RadixRankAlgorithm1ELj128ELj4ELj10EEvPKT_Pi
                                        ; -- End function
	.section	.AMDGPU.csdata,"",@progbits
; Kernel info:
; codeLenInByte = 1288
; NumSgprs: 22
; NumVgprs: 29
; ScratchSize: 0
; MemoryBound: 0
; FloatMode: 240
; IeeeMode: 1
; LDSByteSize: 4112 bytes/workgroup (compile time only)
; SGPRBlocks: 2
; VGPRBlocks: 3
; NumSGPRsForWavesPerEU: 22
; NumVGPRsForWavesPerEU: 29
; Occupancy: 16
; WaveLimiterHint : 0
; COMPUTE_PGM_RSRC2:SCRATCH_EN: 0
; COMPUTE_PGM_RSRC2:USER_SGPR: 15
; COMPUTE_PGM_RSRC2:TRAP_HANDLER: 0
; COMPUTE_PGM_RSRC2:TGID_X_EN: 1
; COMPUTE_PGM_RSRC2:TGID_Y_EN: 0
; COMPUTE_PGM_RSRC2:TGID_Z_EN: 0
; COMPUTE_PGM_RSRC2:TIDIG_COMP_CNT: 0
	.section	.text._Z11rank_kernelIiLj4ELb0EL18RadixRankAlgorithm2ELj128ELj4ELj10EEvPKT_Pi,"axG",@progbits,_Z11rank_kernelIiLj4ELb0EL18RadixRankAlgorithm2ELj128ELj4ELj10EEvPKT_Pi,comdat
	.protected	_Z11rank_kernelIiLj4ELb0EL18RadixRankAlgorithm2ELj128ELj4ELj10EEvPKT_Pi ; -- Begin function _Z11rank_kernelIiLj4ELb0EL18RadixRankAlgorithm2ELj128ELj4ELj10EEvPKT_Pi
	.globl	_Z11rank_kernelIiLj4ELb0EL18RadixRankAlgorithm2ELj128ELj4ELj10EEvPKT_Pi
	.p2align	8
	.type	_Z11rank_kernelIiLj4ELb0EL18RadixRankAlgorithm2ELj128ELj4ELj10EEvPKT_Pi,@function
_Z11rank_kernelIiLj4ELb0EL18RadixRankAlgorithm2ELj128ELj4ELj10EEvPKT_Pi: ; @_Z11rank_kernelIiLj4ELb0EL18RadixRankAlgorithm2ELj128ELj4ELj10EEvPKT_Pi
; %bb.0:
	s_clause 0x1
	s_load_b128 s[16:19], s[0:1], 0x0
	s_load_b32 s7, s[0:1], 0x1c
	v_and_b32_e32 v2, 0x3ff, v0
	s_mov_b32 s21, 0
	s_lshl_b32 s20, s15, 9
	v_mbcnt_lo_u32_b32 v3, -1, 0
	s_lshl_b64 s[12:13], s[20:21], 2
	v_lshlrev_b32_e32 v1, 4, v2
	v_bfe_u32 v4, v0, 10, 10
	v_bfe_u32 v9, v0, 20, 10
	v_and_b32_e32 v10, 15, v3
	v_add_nc_u32_e32 v12, -1, v3
	v_and_b32_e32 v11, 16, v3
	v_cmp_eq_u32_e32 vcc_lo, 0, v3
	v_and_b32_e32 v13, 3, v3
	v_cmp_lt_u32_e64 s2, 3, v10
	v_cmp_lt_u32_e64 s3, 7, v10
	v_cmp_eq_u32_e64 s4, 0, v11
	s_delay_alu instid0(VALU_DEP_4)
	v_cmp_lt_u32_e64 s8, 1, v13
	s_waitcnt lgkmcnt(0)
	s_add_u32 s0, s16, s12
	s_addc_u32 s1, s17, s13
	s_lshr_b32 s5, s7, 16
	global_load_b128 v[5:8], v1, s[0:1]
	v_mov_b32_e32 v1, 0
	v_mad_u32_u24 v4, v9, s5, v4
	s_and_b32 s7, s7, 0xffff
	v_cmp_eq_u32_e64 s0, 0, v10
	v_cmp_lt_u32_e64 s1, 1, v10
	v_or_b32_e32 v11, 31, v2
	v_mad_u64_u32 v[9:10], null, v4, s7, v[2:3]
	v_cmp_gt_i32_e64 s7, 0, v12
	v_lshrrev_b32_e32 v4, 3, v2
	v_lshlrev_b32_e32 v0, 2, v2
	v_cmp_gt_u32_e64 s5, 4, v2
	v_cmp_lt_u32_e64 s6, 31, v2
	v_cndmask_b32_e64 v3, v12, v3, s7
	v_cmp_eq_u32_e64 s9, v11, v2
	v_cmp_eq_u32_e64 s7, 0, v13
	s_delay_alu instid0(VALU_DEP_3) | instskip(SKIP_2) | instid1(VALU_DEP_2)
	v_lshlrev_b32_e32 v2, 2, v3
	v_and_b32_e32 v3, 12, v4
	v_lshrrev_b32_e32 v4, 5, v9
	v_add_nc_u32_e32 v9, -4, v3
	s_waitcnt vmcnt(0)
	v_xor_b32_e32 v5, 0x80000000, v5
	v_xor_b32_e32 v6, 0x80000000, v6
	;; [unrolled: 1-line block ×4, first 2 shown]
	s_branch .LBB5_2
.LBB5_1:                                ;   in Loop: Header=BB5_2 Depth=1
	s_add_i32 s21, s21, 1
	s_delay_alu instid0(SALU_CYCLE_1)
	s_cmp_eq_u32 s21, 10
	s_cbranch_scc1 .LBB5_18
.LBB5_2:                                ; =>This Loop Header: Depth=1
                                        ;     Child Loop BB5_4 Depth 2
	s_mov_b32 s14, -4
	s_mov_b32 s15, 28
	s_branch .LBB5_4
.LBB5_3:                                ;   in Loop: Header=BB5_4 Depth=2
	s_or_b32 exec_lo, exec_lo, s10
	s_waitcnt lgkmcnt(0)
	v_add_nc_u32_e32 v21, v22, v21
	s_add_i32 s14, s14, 4
	s_add_i32 s15, s15, -4
	s_cmp_lt_u32 s14, 28
	ds_bpermute_b32 v21, v2, v21
	s_waitcnt lgkmcnt(0)
	v_cndmask_b32_e32 v21, v21, v22, vcc_lo
	ds_store_b32 v0, v21 offset:16
	s_waitcnt lgkmcnt(0)
	s_barrier
	buffer_gl0_inv
	s_cbranch_scc0 .LBB5_1
.LBB5_4:                                ;   Parent Loop BB5_2 Depth=1
                                        ; =>  This Inner Loop Header: Depth=2
	v_lshlrev_b32_e32 v10, s15, v5
	ds_store_b32 v0, v1 offset:16
	s_waitcnt lgkmcnt(0)
	s_barrier
	buffer_gl0_inv
	v_bfe_u32 v11, v10, 28, 1
	v_lshrrev_b32_e32 v13, 28, v10
	v_not_b32_e32 v16, v10
	; wave barrier
	s_delay_alu instid0(VALU_DEP_3) | instskip(NEXT) | instid1(VALU_DEP_1)
	v_add_co_u32 v11, s10, v11, -1
	v_cndmask_b32_e64 v12, 0, 1, s10
	s_delay_alu instid0(VALU_DEP_4) | instskip(SKIP_1) | instid1(VALU_DEP_3)
	v_lshlrev_b32_e32 v14, 30, v13
	v_lshlrev_b32_e32 v15, 29, v13
	v_cmp_ne_u32_e64 s10, 0, v12
	s_delay_alu instid0(VALU_DEP_3) | instskip(SKIP_1) | instid1(VALU_DEP_4)
	v_not_b32_e32 v12, v14
	v_cmp_gt_i32_e64 s11, 0, v14
	v_not_b32_e32 v14, v15
	s_delay_alu instid0(VALU_DEP_4) | instskip(NEXT) | instid1(VALU_DEP_4)
	v_xor_b32_e32 v11, s10, v11
	v_ashrrev_i32_e32 v12, 31, v12
	v_cmp_gt_i32_e64 s10, 0, v15
	s_delay_alu instid0(VALU_DEP_4) | instskip(NEXT) | instid1(VALU_DEP_4)
	v_ashrrev_i32_e32 v14, 31, v14
	v_and_b32_e32 v11, exec_lo, v11
	s_delay_alu instid0(VALU_DEP_4) | instskip(SKIP_3) | instid1(VALU_DEP_4)
	v_xor_b32_e32 v12, s11, v12
	v_cmp_gt_i32_e64 s11, 0, v10
	v_ashrrev_i32_e32 v10, 31, v16
	v_xor_b32_e32 v14, s10, v14
	v_and_b32_e32 v11, v11, v12
	s_delay_alu instid0(VALU_DEP_3) | instskip(NEXT) | instid1(VALU_DEP_2)
	v_xor_b32_e32 v10, s11, v10
	v_and_b32_e32 v11, v11, v14
	s_delay_alu instid0(VALU_DEP_1) | instskip(SKIP_1) | instid1(VALU_DEP_2)
	v_and_b32_e32 v12, v11, v10
	v_mad_u32_u24 v11, v13, 5, v4
	v_mbcnt_lo_u32_b32 v10, v12, 0
	v_cmp_ne_u32_e64 s11, 0, v12
	s_delay_alu instid0(VALU_DEP_3) | instskip(NEXT) | instid1(VALU_DEP_3)
	v_lshl_add_u32 v11, v11, 2, 16
	v_cmp_eq_u32_e64 s10, 0, v10
	s_delay_alu instid0(VALU_DEP_1) | instskip(NEXT) | instid1(SALU_CYCLE_1)
	s_and_b32 s11, s11, s10
	s_and_saveexec_b32 s10, s11
	s_cbranch_execz .LBB5_6
; %bb.5:                                ;   in Loop: Header=BB5_4 Depth=2
	v_bcnt_u32_b32 v12, v12, 0
	ds_store_b32 v11, v12
.LBB5_6:                                ;   in Loop: Header=BB5_4 Depth=2
	s_or_b32 exec_lo, exec_lo, s10
	v_lshlrev_b32_e32 v12, s15, v6
	; wave barrier
	s_delay_alu instid0(VALU_DEP_1) | instskip(SKIP_2) | instid1(VALU_DEP_3)
	v_bfe_u32 v13, v12, 28, 1
	v_lshrrev_b32_e32 v14, 28, v12
	v_not_b32_e32 v18, v12
	v_add_co_u32 v13, s10, v13, -1
	s_delay_alu instid0(VALU_DEP_1) | instskip(NEXT) | instid1(VALU_DEP_4)
	v_cndmask_b32_e64 v15, 0, 1, s10
	v_lshlrev_b32_e32 v16, 30, v14
	v_lshlrev_b32_e32 v17, 29, v14
	s_delay_alu instid0(VALU_DEP_3) | instskip(NEXT) | instid1(VALU_DEP_3)
	v_cmp_ne_u32_e64 s10, 0, v15
	v_not_b32_e32 v15, v16
	v_cmp_gt_i32_e64 s11, 0, v16
	s_delay_alu instid0(VALU_DEP_4) | instskip(NEXT) | instid1(VALU_DEP_4)
	v_not_b32_e32 v16, v17
	v_xor_b32_e32 v13, s10, v13
	s_delay_alu instid0(VALU_DEP_4) | instskip(SKIP_1) | instid1(VALU_DEP_4)
	v_ashrrev_i32_e32 v15, 31, v15
	v_cmp_gt_i32_e64 s10, 0, v17
	v_ashrrev_i32_e32 v16, 31, v16
	s_delay_alu instid0(VALU_DEP_4) | instskip(NEXT) | instid1(VALU_DEP_4)
	v_and_b32_e32 v13, exec_lo, v13
	v_xor_b32_e32 v15, s11, v15
	v_cmp_gt_i32_e64 s11, 0, v12
	v_mul_u32_u24_e32 v12, 5, v14
	v_ashrrev_i32_e32 v14, 31, v18
	v_xor_b32_e32 v16, s10, v16
	v_and_b32_e32 v13, v13, v15
	s_delay_alu instid0(VALU_DEP_4) | instskip(NEXT) | instid1(VALU_DEP_4)
	v_add_lshl_u32 v17, v4, v12, 2
	v_xor_b32_e32 v14, s11, v14
	s_delay_alu instid0(VALU_DEP_3) | instskip(SKIP_3) | instid1(VALU_DEP_2)
	v_and_b32_e32 v13, v13, v16
	ds_load_b32 v12, v17 offset:16
	; wave barrier
	v_and_b32_e32 v15, v13, v14
	v_add_nc_u32_e32 v14, 16, v17
	v_mbcnt_lo_u32_b32 v13, v15, 0
	v_cmp_ne_u32_e64 s11, 0, v15
	s_delay_alu instid0(VALU_DEP_2) | instskip(NEXT) | instid1(VALU_DEP_1)
	v_cmp_eq_u32_e64 s10, 0, v13
	s_and_b32 s11, s11, s10
	s_delay_alu instid0(SALU_CYCLE_1)
	s_and_saveexec_b32 s10, s11
	s_cbranch_execz .LBB5_8
; %bb.7:                                ;   in Loop: Header=BB5_4 Depth=2
	s_waitcnt lgkmcnt(0)
	v_bcnt_u32_b32 v15, v15, v12
	ds_store_b32 v14, v15
.LBB5_8:                                ;   in Loop: Header=BB5_4 Depth=2
	s_or_b32 exec_lo, exec_lo, s10
	v_lshlrev_b32_e32 v15, s15, v7
	; wave barrier
	s_delay_alu instid0(VALU_DEP_1) | instskip(SKIP_2) | instid1(VALU_DEP_3)
	v_bfe_u32 v16, v15, 28, 1
	v_lshrrev_b32_e32 v17, 28, v15
	v_not_b32_e32 v21, v15
	v_add_co_u32 v16, s10, v16, -1
	s_delay_alu instid0(VALU_DEP_1) | instskip(NEXT) | instid1(VALU_DEP_4)
	v_cndmask_b32_e64 v18, 0, 1, s10
	v_lshlrev_b32_e32 v19, 30, v17
	v_lshlrev_b32_e32 v20, 29, v17
	s_delay_alu instid0(VALU_DEP_3) | instskip(NEXT) | instid1(VALU_DEP_3)
	v_cmp_ne_u32_e64 s10, 0, v18
	v_not_b32_e32 v18, v19
	v_cmp_gt_i32_e64 s11, 0, v19
	s_delay_alu instid0(VALU_DEP_4) | instskip(NEXT) | instid1(VALU_DEP_4)
	v_not_b32_e32 v19, v20
	v_xor_b32_e32 v16, s10, v16
	s_delay_alu instid0(VALU_DEP_4) | instskip(SKIP_1) | instid1(VALU_DEP_4)
	v_ashrrev_i32_e32 v18, 31, v18
	v_cmp_gt_i32_e64 s10, 0, v20
	v_ashrrev_i32_e32 v19, 31, v19
	s_delay_alu instid0(VALU_DEP_4) | instskip(NEXT) | instid1(VALU_DEP_4)
	v_and_b32_e32 v16, exec_lo, v16
	v_xor_b32_e32 v18, s11, v18
	v_cmp_gt_i32_e64 s11, 0, v15
	v_mul_u32_u24_e32 v15, 5, v17
	v_ashrrev_i32_e32 v17, 31, v21
	v_xor_b32_e32 v19, s10, v19
	v_and_b32_e32 v16, v16, v18
	s_delay_alu instid0(VALU_DEP_4) | instskip(NEXT) | instid1(VALU_DEP_4)
	v_add_lshl_u32 v20, v4, v15, 2
	v_xor_b32_e32 v17, s11, v17
	s_delay_alu instid0(VALU_DEP_3) | instskip(SKIP_3) | instid1(VALU_DEP_2)
	v_and_b32_e32 v16, v16, v19
	ds_load_b32 v15, v20 offset:16
	; wave barrier
	v_and_b32_e32 v18, v16, v17
	v_add_nc_u32_e32 v17, 16, v20
	v_mbcnt_lo_u32_b32 v16, v18, 0
	v_cmp_ne_u32_e64 s11, 0, v18
	s_delay_alu instid0(VALU_DEP_2) | instskip(NEXT) | instid1(VALU_DEP_1)
	v_cmp_eq_u32_e64 s10, 0, v16
	s_and_b32 s11, s11, s10
	s_delay_alu instid0(SALU_CYCLE_1)
	s_and_saveexec_b32 s10, s11
	s_cbranch_execz .LBB5_10
; %bb.9:                                ;   in Loop: Header=BB5_4 Depth=2
	s_waitcnt lgkmcnt(0)
	v_bcnt_u32_b32 v18, v18, v15
	ds_store_b32 v17, v18
.LBB5_10:                               ;   in Loop: Header=BB5_4 Depth=2
	s_or_b32 exec_lo, exec_lo, s10
	v_lshlrev_b32_e32 v18, s15, v8
	; wave barrier
	s_delay_alu instid0(VALU_DEP_1) | instskip(SKIP_2) | instid1(VALU_DEP_3)
	v_bfe_u32 v19, v18, 28, 1
	v_lshrrev_b32_e32 v20, 28, v18
	v_not_b32_e32 v24, v18
	v_add_co_u32 v19, s10, v19, -1
	s_delay_alu instid0(VALU_DEP_1) | instskip(NEXT) | instid1(VALU_DEP_4)
	v_cndmask_b32_e64 v21, 0, 1, s10
	v_lshlrev_b32_e32 v22, 30, v20
	v_lshlrev_b32_e32 v23, 29, v20
	s_delay_alu instid0(VALU_DEP_3) | instskip(NEXT) | instid1(VALU_DEP_3)
	v_cmp_ne_u32_e64 s10, 0, v21
	v_not_b32_e32 v21, v22
	v_cmp_gt_i32_e64 s11, 0, v22
	s_delay_alu instid0(VALU_DEP_4) | instskip(NEXT) | instid1(VALU_DEP_4)
	v_not_b32_e32 v22, v23
	v_xor_b32_e32 v19, s10, v19
	s_delay_alu instid0(VALU_DEP_4) | instskip(SKIP_1) | instid1(VALU_DEP_4)
	v_ashrrev_i32_e32 v21, 31, v21
	v_cmp_gt_i32_e64 s10, 0, v23
	v_ashrrev_i32_e32 v22, 31, v22
	s_delay_alu instid0(VALU_DEP_4) | instskip(NEXT) | instid1(VALU_DEP_4)
	v_and_b32_e32 v19, exec_lo, v19
	v_xor_b32_e32 v21, s11, v21
	v_cmp_gt_i32_e64 s11, 0, v18
	v_mul_u32_u24_e32 v18, 5, v20
	v_ashrrev_i32_e32 v20, 31, v24
	v_xor_b32_e32 v22, s10, v22
	v_and_b32_e32 v19, v19, v21
	s_delay_alu instid0(VALU_DEP_4) | instskip(NEXT) | instid1(VALU_DEP_4)
	v_add_lshl_u32 v23, v4, v18, 2
	v_xor_b32_e32 v20, s11, v20
	s_delay_alu instid0(VALU_DEP_3) | instskip(SKIP_3) | instid1(VALU_DEP_2)
	v_and_b32_e32 v19, v19, v22
	ds_load_b32 v18, v23 offset:16
	; wave barrier
	v_and_b32_e32 v21, v19, v20
	v_add_nc_u32_e32 v20, 16, v23
	v_mbcnt_lo_u32_b32 v19, v21, 0
	v_cmp_ne_u32_e64 s11, 0, v21
	s_delay_alu instid0(VALU_DEP_2) | instskip(NEXT) | instid1(VALU_DEP_1)
	v_cmp_eq_u32_e64 s10, 0, v19
	s_and_b32 s11, s11, s10
	s_delay_alu instid0(SALU_CYCLE_1)
	s_and_saveexec_b32 s10, s11
	s_cbranch_execz .LBB5_12
; %bb.11:                               ;   in Loop: Header=BB5_4 Depth=2
	s_waitcnt lgkmcnt(0)
	v_bcnt_u32_b32 v21, v21, v18
	ds_store_b32 v20, v21
.LBB5_12:                               ;   in Loop: Header=BB5_4 Depth=2
	s_or_b32 exec_lo, exec_lo, s10
	; wave barrier
	s_waitcnt lgkmcnt(0)
	s_barrier
	buffer_gl0_inv
	ds_load_b32 v21, v0 offset:16
	s_waitcnt lgkmcnt(0)
	v_mov_b32_dpp v22, v21 row_shr:1 row_mask:0xf bank_mask:0xf
	s_delay_alu instid0(VALU_DEP_1) | instskip(NEXT) | instid1(VALU_DEP_1)
	v_cndmask_b32_e64 v22, v22, 0, s0
	v_add_nc_u32_e32 v21, v22, v21
	s_delay_alu instid0(VALU_DEP_1) | instskip(NEXT) | instid1(VALU_DEP_1)
	v_mov_b32_dpp v22, v21 row_shr:2 row_mask:0xf bank_mask:0xf
	v_cndmask_b32_e64 v22, 0, v22, s1
	s_delay_alu instid0(VALU_DEP_1) | instskip(NEXT) | instid1(VALU_DEP_1)
	v_add_nc_u32_e32 v21, v21, v22
	v_mov_b32_dpp v22, v21 row_shr:4 row_mask:0xf bank_mask:0xf
	s_delay_alu instid0(VALU_DEP_1) | instskip(NEXT) | instid1(VALU_DEP_1)
	v_cndmask_b32_e64 v22, 0, v22, s2
	v_add_nc_u32_e32 v21, v21, v22
	s_delay_alu instid0(VALU_DEP_1) | instskip(NEXT) | instid1(VALU_DEP_1)
	v_mov_b32_dpp v22, v21 row_shr:8 row_mask:0xf bank_mask:0xf
	v_cndmask_b32_e64 v22, 0, v22, s3
	s_delay_alu instid0(VALU_DEP_1) | instskip(SKIP_3) | instid1(VALU_DEP_1)
	v_add_nc_u32_e32 v21, v21, v22
	ds_swizzle_b32 v22, v21 offset:swizzle(BROADCAST,32,15)
	s_waitcnt lgkmcnt(0)
	v_cndmask_b32_e64 v22, v22, 0, s4
	v_add_nc_u32_e32 v21, v21, v22
	s_and_saveexec_b32 s10, s9
	s_delay_alu instid0(SALU_CYCLE_1)
	s_xor_b32 s10, exec_lo, s10
	s_cbranch_execz .LBB5_14
; %bb.13:                               ;   in Loop: Header=BB5_4 Depth=2
	ds_store_b32 v3, v21
.LBB5_14:                               ;   in Loop: Header=BB5_4 Depth=2
	s_or_b32 exec_lo, exec_lo, s10
	s_waitcnt lgkmcnt(0)
	s_barrier
	buffer_gl0_inv
	s_and_saveexec_b32 s10, s5
	s_cbranch_execz .LBB5_16
; %bb.15:                               ;   in Loop: Header=BB5_4 Depth=2
	ds_load_b32 v22, v0
	s_waitcnt lgkmcnt(0)
	v_mov_b32_dpp v23, v22 row_shr:1 row_mask:0xf bank_mask:0xf
	s_delay_alu instid0(VALU_DEP_1) | instskip(NEXT) | instid1(VALU_DEP_1)
	v_cndmask_b32_e64 v23, v23, 0, s7
	v_add_nc_u32_e32 v22, v23, v22
	s_delay_alu instid0(VALU_DEP_1) | instskip(NEXT) | instid1(VALU_DEP_1)
	v_mov_b32_dpp v23, v22 row_shr:2 row_mask:0xf bank_mask:0xf
	v_cndmask_b32_e64 v23, 0, v23, s8
	s_delay_alu instid0(VALU_DEP_1)
	v_add_nc_u32_e32 v22, v22, v23
	ds_store_b32 v0, v22
.LBB5_16:                               ;   in Loop: Header=BB5_4 Depth=2
	s_or_b32 exec_lo, exec_lo, s10
	v_mov_b32_e32 v22, 0
	s_waitcnt lgkmcnt(0)
	s_barrier
	buffer_gl0_inv
	s_and_saveexec_b32 s10, s6
	s_cbranch_execz .LBB5_3
; %bb.17:                               ;   in Loop: Header=BB5_4 Depth=2
	ds_load_b32 v22, v9
	s_branch .LBB5_3
.LBB5_18:
	ds_load_b32 v1, v11
	ds_load_b32 v2, v14
	;; [unrolled: 1-line block ×4, first 2 shown]
	v_lshlrev_b32_e32 v0, 2, v0
	s_add_u32 s0, s18, s12
	s_addc_u32 s1, s19, s13
	s_waitcnt lgkmcnt(3)
	v_add_nc_u32_e32 v1, v1, v10
	s_waitcnt lgkmcnt(2)
	v_add3_u32 v2, v13, v12, v2
	s_waitcnt lgkmcnt(1)
	v_add3_u32 v3, v16, v15, v3
	;; [unrolled: 2-line block ×3, first 2 shown]
	global_store_b128 v0, v[1:4], s[0:1]
	s_nop 0
	s_sendmsg sendmsg(MSG_DEALLOC_VGPRS)
	s_endpgm
	.section	.rodata,"a",@progbits
	.p2align	6, 0x0
	.amdhsa_kernel _Z11rank_kernelIiLj4ELb0EL18RadixRankAlgorithm2ELj128ELj4ELj10EEvPKT_Pi
		.amdhsa_group_segment_fixed_size 528
		.amdhsa_private_segment_fixed_size 0
		.amdhsa_kernarg_size 272
		.amdhsa_user_sgpr_count 15
		.amdhsa_user_sgpr_dispatch_ptr 0
		.amdhsa_user_sgpr_queue_ptr 0
		.amdhsa_user_sgpr_kernarg_segment_ptr 1
		.amdhsa_user_sgpr_dispatch_id 0
		.amdhsa_user_sgpr_private_segment_size 0
		.amdhsa_wavefront_size32 1
		.amdhsa_uses_dynamic_stack 0
		.amdhsa_enable_private_segment 0
		.amdhsa_system_sgpr_workgroup_id_x 1
		.amdhsa_system_sgpr_workgroup_id_y 0
		.amdhsa_system_sgpr_workgroup_id_z 0
		.amdhsa_system_sgpr_workgroup_info 0
		.amdhsa_system_vgpr_workitem_id 2
		.amdhsa_next_free_vgpr 25
		.amdhsa_next_free_sgpr 22
		.amdhsa_reserve_vcc 1
		.amdhsa_float_round_mode_32 0
		.amdhsa_float_round_mode_16_64 0
		.amdhsa_float_denorm_mode_32 3
		.amdhsa_float_denorm_mode_16_64 3
		.amdhsa_dx10_clamp 1
		.amdhsa_ieee_mode 1
		.amdhsa_fp16_overflow 0
		.amdhsa_workgroup_processor_mode 1
		.amdhsa_memory_ordered 1
		.amdhsa_forward_progress 0
		.amdhsa_shared_vgpr_count 0
		.amdhsa_exception_fp_ieee_invalid_op 0
		.amdhsa_exception_fp_denorm_src 0
		.amdhsa_exception_fp_ieee_div_zero 0
		.amdhsa_exception_fp_ieee_overflow 0
		.amdhsa_exception_fp_ieee_underflow 0
		.amdhsa_exception_fp_ieee_inexact 0
		.amdhsa_exception_int_div_zero 0
	.end_amdhsa_kernel
	.section	.text._Z11rank_kernelIiLj4ELb0EL18RadixRankAlgorithm2ELj128ELj4ELj10EEvPKT_Pi,"axG",@progbits,_Z11rank_kernelIiLj4ELb0EL18RadixRankAlgorithm2ELj128ELj4ELj10EEvPKT_Pi,comdat
.Lfunc_end5:
	.size	_Z11rank_kernelIiLj4ELb0EL18RadixRankAlgorithm2ELj128ELj4ELj10EEvPKT_Pi, .Lfunc_end5-_Z11rank_kernelIiLj4ELb0EL18RadixRankAlgorithm2ELj128ELj4ELj10EEvPKT_Pi
                                        ; -- End function
	.section	.AMDGPU.csdata,"",@progbits
; Kernel info:
; codeLenInByte = 1860
; NumSgprs: 24
; NumVgprs: 25
; ScratchSize: 0
; MemoryBound: 0
; FloatMode: 240
; IeeeMode: 1
; LDSByteSize: 528 bytes/workgroup (compile time only)
; SGPRBlocks: 2
; VGPRBlocks: 3
; NumSGPRsForWavesPerEU: 24
; NumVGPRsForWavesPerEU: 25
; Occupancy: 16
; WaveLimiterHint : 0
; COMPUTE_PGM_RSRC2:SCRATCH_EN: 0
; COMPUTE_PGM_RSRC2:USER_SGPR: 15
; COMPUTE_PGM_RSRC2:TRAP_HANDLER: 0
; COMPUTE_PGM_RSRC2:TGID_X_EN: 1
; COMPUTE_PGM_RSRC2:TGID_Y_EN: 0
; COMPUTE_PGM_RSRC2:TGID_Z_EN: 0
; COMPUTE_PGM_RSRC2:TIDIG_COMP_CNT: 2
	.section	.text._Z11rank_kernelIiLj4ELb0EL18RadixRankAlgorithm0ELj128ELj8ELj10EEvPKT_Pi,"axG",@progbits,_Z11rank_kernelIiLj4ELb0EL18RadixRankAlgorithm0ELj128ELj8ELj10EEvPKT_Pi,comdat
	.protected	_Z11rank_kernelIiLj4ELb0EL18RadixRankAlgorithm0ELj128ELj8ELj10EEvPKT_Pi ; -- Begin function _Z11rank_kernelIiLj4ELb0EL18RadixRankAlgorithm0ELj128ELj8ELj10EEvPKT_Pi
	.globl	_Z11rank_kernelIiLj4ELb0EL18RadixRankAlgorithm0ELj128ELj8ELj10EEvPKT_Pi
	.p2align	8
	.type	_Z11rank_kernelIiLj4ELb0EL18RadixRankAlgorithm0ELj128ELj8ELj10EEvPKT_Pi,@function
_Z11rank_kernelIiLj4ELb0EL18RadixRankAlgorithm0ELj128ELj8ELj10EEvPKT_Pi: ; @_Z11rank_kernelIiLj4ELb0EL18RadixRankAlgorithm0ELj128ELj8ELj10EEvPKT_Pi
; %bb.0:
	s_load_b128 s[16:19], s[0:1], 0x0
	s_mov_b32 s11, 0
	s_lshl_b32 s10, s15, 10
	v_dual_mov_b32 v3, 0 :: v_dual_lshlrev_b32 v2, 5, v0
	s_lshl_b64 s[12:13], s[10:11], 2
	v_mbcnt_lo_u32_b32 v5, -1, 0
	v_or_b32_e32 v16, 31, v0
	v_lshrrev_b32_e32 v18, 3, v0
	v_lshlrev_b32_e32 v1, 3, v0
	v_cmp_gt_u32_e32 vcc_lo, 4, v0
	v_add_nc_u32_e32 v17, -1, v5
	v_and_b32_e32 v6, 15, v5
	v_and_b32_e32 v15, 16, v5
	;; [unrolled: 1-line block ×3, first 2 shown]
	v_lshlrev_b32_e32 v4, 2, v0
	v_cmp_gt_i32_e64 s7, 0, v17
	v_cmp_eq_u32_e64 s2, 0, v6
	v_cmp_lt_u32_e64 s3, 1, v6
	v_cmp_lt_u32_e64 s4, 3, v6
	s_waitcnt lgkmcnt(0)
	s_add_u32 s0, s16, s12
	s_addc_u32 s1, s17, s13
	v_cmp_lt_u32_e64 s5, 7, v6
	s_clause 0x1
	global_load_b128 v[7:10], v2, s[0:1]
	global_load_b128 v[11:14], v2, s[0:1] offset:16
	v_cndmask_b32_e64 v6, v17, v5, s7
	v_cmp_lt_u32_e64 s0, 31, v0
	v_cmp_eq_u32_e64 s1, 0, v5
	v_cmp_eq_u32_e64 s6, 0, v15
	;; [unrolled: 1-line block ×3, first 2 shown]
	v_and_b32_e32 v5, 12, v18
	v_cmp_eq_u32_e64 s8, 0, v19
	v_cmp_lt_u32_e64 s9, 1, v19
	v_lshlrev_b32_e32 v6, 2, v6
	v_or_b32_e32 v15, 0xffffff80, v0
	s_waitcnt vmcnt(1)
	v_xor_b32_e32 v7, 0x80000000, v7
	v_xor_b32_e32 v8, 0x80000000, v8
	v_xor_b32_e32 v9, 0x80000000, v9
	v_xor_b32_e32 v10, 0x80000000, v10
	s_waitcnt vmcnt(0)
	v_xor_b32_e32 v11, 0x80000000, v11
	v_xor_b32_e32 v12, 0x80000000, v12
	;; [unrolled: 1-line block ×4, first 2 shown]
	s_branch .LBB6_2
.LBB6_1:                                ;   in Loop: Header=BB6_2 Depth=1
	s_add_i32 s11, s11, 1
	s_delay_alu instid0(SALU_CYCLE_1)
	s_cmp_eq_u32 s11, 10
	s_cbranch_scc1 .LBB6_12
.LBB6_2:                                ; =>This Loop Header: Depth=1
                                        ;     Child Loop BB6_4 Depth 2
                                        ;       Child Loop BB6_5 Depth 3
	s_mov_b32 s14, 0
	s_branch .LBB6_4
.LBB6_3:                                ;   in Loop: Header=BB6_4 Depth=2
	s_or_b32 exec_lo, exec_lo, s10
	s_waitcnt lgkmcnt(0)
	v_add_nc_u32_e32 v32, v33, v32
	ds_load_b32 v36, v3 offset:4108
	ds_load_2addr_b32 v[34:35], v2 offset1:1
	s_add_i32 s10, s14, 4
	s_cmp_lt_u32 s14, 28
	s_mov_b32 s14, s10
	ds_bpermute_b32 v32, v6, v32
	s_waitcnt lgkmcnt(0)
	v_cndmask_b32_e64 v37, v32, v33, s1
	ds_load_2addr_b32 v[32:33], v2 offset0:2 offset1:3
	v_lshl_add_u32 v38, v36, 16, v37
	ds_load_2addr_b32 v[36:37], v2 offset0:4 offset1:5
	ds_load_b32 v39, v2 offset:24
	v_add_nc_u32_e32 v34, v38, v34
	s_delay_alu instid0(VALU_DEP_1) | instskip(SKIP_1) | instid1(VALU_DEP_1)
	v_add_nc_u32_e32 v35, v35, v34
	s_waitcnt lgkmcnt(2)
	v_add_nc_u32_e32 v32, v32, v35
	s_delay_alu instid0(VALU_DEP_1) | instskip(SKIP_1) | instid1(VALU_DEP_1)
	v_add_nc_u32_e32 v33, v33, v32
	s_waitcnt lgkmcnt(1)
	;; [unrolled: 4-line block ×3, first 2 shown]
	v_add_nc_u32_e32 v39, v39, v37
	ds_store_2addr_b32 v2, v38, v34 offset1:1
	ds_store_2addr_b32 v2, v35, v32 offset0:2 offset1:3
	ds_store_2addr_b32 v2, v33, v36 offset0:4 offset1:5
	;; [unrolled: 1-line block ×3, first 2 shown]
	s_waitcnt lgkmcnt(0)
	s_barrier
	buffer_gl0_inv
	s_cbranch_scc0 .LBB6_1
.LBB6_4:                                ;   Parent Loop BB6_2 Depth=1
                                        ; =>  This Loop Header: Depth=2
                                        ;       Child Loop BB6_5 Depth 3
	v_dual_mov_b32 v16, v15 :: v_dual_mov_b32 v17, v4
	s_mov_b32 s15, 0
.LBB6_5:                                ;   Parent Loop BB6_2 Depth=1
                                        ;     Parent Loop BB6_4 Depth=2
                                        ; =>    This Inner Loop Header: Depth=3
	s_delay_alu instid0(VALU_DEP_1) | instskip(SKIP_3) | instid1(VALU_DEP_1)
	v_add_nc_u32_e32 v16, 0x80, v16
	ds_store_b32 v17, v3
	v_add_nc_u32_e32 v17, 0x200, v17
	v_cmp_lt_u32_e64 s10, 0x37f, v16
	s_or_b32 s15, s10, s15
	s_delay_alu instid0(SALU_CYCLE_1)
	s_and_not1_b32 exec_lo, exec_lo, s15
	s_cbranch_execnz .LBB6_5
; %bb.6:                                ;   in Loop: Header=BB6_4 Depth=2
	s_or_b32 exec_lo, exec_lo, s15
	s_sub_i32 s10, 28, s14
	s_delay_alu instid0(SALU_CYCLE_1) | instskip(SKIP_1) | instid1(VALU_DEP_2)
	v_lshlrev_b32_e32 v16, s10, v7
	v_lshlrev_b32_e32 v18, s10, v8
	v_lshrrev_b32_e32 v17, 21, v16
	s_delay_alu instid0(VALU_DEP_2) | instskip(NEXT) | instid1(VALU_DEP_2)
	v_lshrrev_b32_e32 v19, 21, v18
	v_and_or_b32 v17, 0x380, v17, v0
	s_delay_alu instid0(VALU_DEP_2) | instskip(NEXT) | instid1(VALU_DEP_2)
	v_and_or_b32 v19, 0x380, v19, v0
	v_alignbit_b32 v16, v17, v16, 31
	s_delay_alu instid0(VALU_DEP_2) | instskip(NEXT) | instid1(VALU_DEP_2)
	v_alignbit_b32 v18, v19, v18, 31
	v_lshlrev_b32_e32 v17, 1, v16
	s_delay_alu instid0(VALU_DEP_2)
	v_lshlrev_b32_e32 v19, 1, v18
	ds_load_u16 v16, v17
	s_waitcnt lgkmcnt(0)
	v_add_nc_u16 v20, v16, 1
	ds_store_b16 v17, v20
	ds_load_u16 v18, v19
	v_lshlrev_b32_e32 v20, s10, v9
	s_delay_alu instid0(VALU_DEP_1) | instskip(NEXT) | instid1(VALU_DEP_1)
	v_lshrrev_b32_e32 v21, 21, v20
	v_and_or_b32 v21, 0x380, v21, v0
	s_delay_alu instid0(VALU_DEP_1) | instskip(SKIP_2) | instid1(VALU_DEP_2)
	v_alignbit_b32 v20, v21, v20, 31
	s_waitcnt lgkmcnt(0)
	v_add_nc_u16 v22, v18, 1
	v_lshlrev_b32_e32 v21, 1, v20
	ds_store_b16 v19, v22
	ds_load_u16 v20, v21
	v_lshlrev_b32_e32 v22, s10, v10
	s_delay_alu instid0(VALU_DEP_1) | instskip(NEXT) | instid1(VALU_DEP_1)
	v_lshrrev_b32_e32 v23, 21, v22
	v_and_or_b32 v23, 0x380, v23, v0
	s_delay_alu instid0(VALU_DEP_1) | instskip(SKIP_2) | instid1(VALU_DEP_2)
	v_alignbit_b32 v22, v23, v22, 31
	s_waitcnt lgkmcnt(0)
	v_add_nc_u16 v24, v20, 1
	v_lshlrev_b32_e32 v23, 1, v22
	;; [unrolled: 11-line block ×6, first 2 shown]
	ds_store_b16 v29, v32
	ds_load_u16 v30, v31
	s_waitcnt lgkmcnt(0)
	v_add_nc_u16 v32, v30, 1
	ds_store_b16 v31, v32
	s_waitcnt lgkmcnt(0)
	s_barrier
	buffer_gl0_inv
	ds_load_2addr_b32 v[32:33], v2 offset1:1
	ds_load_2addr_b32 v[34:35], v2 offset0:2 offset1:3
	ds_load_2addr_b32 v[36:37], v2 offset0:4 offset1:5
	;; [unrolled: 1-line block ×3, first 2 shown]
	s_waitcnt lgkmcnt(3)
	v_add_nc_u32_e32 v32, v33, v32
	s_waitcnt lgkmcnt(2)
	s_delay_alu instid0(VALU_DEP_1) | instskip(SKIP_1) | instid1(VALU_DEP_1)
	v_add3_u32 v32, v32, v34, v35
	s_waitcnt lgkmcnt(1)
	v_add3_u32 v32, v32, v36, v37
	s_waitcnt lgkmcnt(0)
	s_delay_alu instid0(VALU_DEP_1) | instskip(NEXT) | instid1(VALU_DEP_1)
	v_add3_u32 v32, v32, v38, v39
	v_mov_b32_dpp v33, v32 row_shr:1 row_mask:0xf bank_mask:0xf
	s_delay_alu instid0(VALU_DEP_1) | instskip(NEXT) | instid1(VALU_DEP_1)
	v_cndmask_b32_e64 v33, v33, 0, s2
	v_add_nc_u32_e32 v32, v33, v32
	s_delay_alu instid0(VALU_DEP_1) | instskip(NEXT) | instid1(VALU_DEP_1)
	v_mov_b32_dpp v33, v32 row_shr:2 row_mask:0xf bank_mask:0xf
	v_cndmask_b32_e64 v33, 0, v33, s3
	s_delay_alu instid0(VALU_DEP_1) | instskip(NEXT) | instid1(VALU_DEP_1)
	v_add_nc_u32_e32 v32, v32, v33
	v_mov_b32_dpp v33, v32 row_shr:4 row_mask:0xf bank_mask:0xf
	s_delay_alu instid0(VALU_DEP_1) | instskip(NEXT) | instid1(VALU_DEP_1)
	v_cndmask_b32_e64 v33, 0, v33, s4
	v_add_nc_u32_e32 v32, v32, v33
	s_delay_alu instid0(VALU_DEP_1) | instskip(NEXT) | instid1(VALU_DEP_1)
	v_mov_b32_dpp v33, v32 row_shr:8 row_mask:0xf bank_mask:0xf
	v_cndmask_b32_e64 v33, 0, v33, s5
	s_delay_alu instid0(VALU_DEP_1) | instskip(SKIP_3) | instid1(VALU_DEP_1)
	v_add_nc_u32_e32 v32, v32, v33
	ds_swizzle_b32 v33, v32 offset:swizzle(BROADCAST,32,15)
	s_waitcnt lgkmcnt(0)
	v_cndmask_b32_e64 v33, v33, 0, s6
	v_add_nc_u32_e32 v32, v32, v33
	s_and_saveexec_b32 s10, s7
	s_cbranch_execz .LBB6_8
; %bb.7:                                ;   in Loop: Header=BB6_4 Depth=2
	ds_store_b32 v5, v32 offset:4096
.LBB6_8:                                ;   in Loop: Header=BB6_4 Depth=2
	s_or_b32 exec_lo, exec_lo, s10
	s_waitcnt lgkmcnt(0)
	s_barrier
	buffer_gl0_inv
	s_and_saveexec_b32 s10, vcc_lo
	s_cbranch_execz .LBB6_10
; %bb.9:                                ;   in Loop: Header=BB6_4 Depth=2
	ds_load_b32 v33, v4 offset:4096
	s_waitcnt lgkmcnt(0)
	v_mov_b32_dpp v34, v33 row_shr:1 row_mask:0xf bank_mask:0xf
	s_delay_alu instid0(VALU_DEP_1) | instskip(NEXT) | instid1(VALU_DEP_1)
	v_cndmask_b32_e64 v34, v34, 0, s8
	v_add_nc_u32_e32 v33, v34, v33
	s_delay_alu instid0(VALU_DEP_1) | instskip(NEXT) | instid1(VALU_DEP_1)
	v_mov_b32_dpp v34, v33 row_shr:2 row_mask:0xf bank_mask:0xf
	v_cndmask_b32_e64 v34, 0, v34, s9
	s_delay_alu instid0(VALU_DEP_1)
	v_add_nc_u32_e32 v33, v33, v34
	ds_store_b32 v4, v33 offset:4096
.LBB6_10:                               ;   in Loop: Header=BB6_4 Depth=2
	s_or_b32 exec_lo, exec_lo, s10
	v_mov_b32_e32 v33, 0
	s_waitcnt lgkmcnt(0)
	s_barrier
	buffer_gl0_inv
	s_and_saveexec_b32 s10, s0
	s_cbranch_execz .LBB6_3
; %bb.11:                               ;   in Loop: Header=BB6_4 Depth=2
	ds_load_b32 v33, v5 offset:4092
	s_branch .LBB6_3
.LBB6_12:
	ds_load_u16 v0, v17
	ds_load_u16 v3, v19
	;; [unrolled: 1-line block ×8, first 2 shown]
	v_and_b32_e32 v2, 0xffff, v16
	v_and_b32_e32 v10, 0xffff, v18
	;; [unrolled: 1-line block ×8, first 2 shown]
	s_add_u32 s0, s18, s12
	s_addc_u32 s1, s19, s13
	s_waitcnt lgkmcnt(7)
	v_add_nc_u32_e32 v2, v0, v2
	s_waitcnt lgkmcnt(6)
	v_add_nc_u32_e32 v3, v3, v10
	;; [unrolled: 2-line block ×4, first 2 shown]
	v_lshlrev_b32_e32 v0, 2, v1
	s_waitcnt lgkmcnt(3)
	v_add_nc_u32_e32 v6, v6, v13
	s_waitcnt lgkmcnt(2)
	v_add_nc_u32_e32 v7, v7, v14
	;; [unrolled: 2-line block ×4, first 2 shown]
	s_clause 0x1
	global_store_b128 v0, v[2:5], s[0:1]
	global_store_b128 v0, v[6:9], s[0:1] offset:16
	s_nop 0
	s_sendmsg sendmsg(MSG_DEALLOC_VGPRS)
	s_endpgm
	.section	.rodata,"a",@progbits
	.p2align	6, 0x0
	.amdhsa_kernel _Z11rank_kernelIiLj4ELb0EL18RadixRankAlgorithm0ELj128ELj8ELj10EEvPKT_Pi
		.amdhsa_group_segment_fixed_size 4112
		.amdhsa_private_segment_fixed_size 0
		.amdhsa_kernarg_size 16
		.amdhsa_user_sgpr_count 15
		.amdhsa_user_sgpr_dispatch_ptr 0
		.amdhsa_user_sgpr_queue_ptr 0
		.amdhsa_user_sgpr_kernarg_segment_ptr 1
		.amdhsa_user_sgpr_dispatch_id 0
		.amdhsa_user_sgpr_private_segment_size 0
		.amdhsa_wavefront_size32 1
		.amdhsa_uses_dynamic_stack 0
		.amdhsa_enable_private_segment 0
		.amdhsa_system_sgpr_workgroup_id_x 1
		.amdhsa_system_sgpr_workgroup_id_y 0
		.amdhsa_system_sgpr_workgroup_id_z 0
		.amdhsa_system_sgpr_workgroup_info 0
		.amdhsa_system_vgpr_workitem_id 0
		.amdhsa_next_free_vgpr 40
		.amdhsa_next_free_sgpr 20
		.amdhsa_reserve_vcc 1
		.amdhsa_float_round_mode_32 0
		.amdhsa_float_round_mode_16_64 0
		.amdhsa_float_denorm_mode_32 3
		.amdhsa_float_denorm_mode_16_64 3
		.amdhsa_dx10_clamp 1
		.amdhsa_ieee_mode 1
		.amdhsa_fp16_overflow 0
		.amdhsa_workgroup_processor_mode 1
		.amdhsa_memory_ordered 1
		.amdhsa_forward_progress 0
		.amdhsa_shared_vgpr_count 0
		.amdhsa_exception_fp_ieee_invalid_op 0
		.amdhsa_exception_fp_denorm_src 0
		.amdhsa_exception_fp_ieee_div_zero 0
		.amdhsa_exception_fp_ieee_overflow 0
		.amdhsa_exception_fp_ieee_underflow 0
		.amdhsa_exception_fp_ieee_inexact 0
		.amdhsa_exception_int_div_zero 0
	.end_amdhsa_kernel
	.section	.text._Z11rank_kernelIiLj4ELb0EL18RadixRankAlgorithm0ELj128ELj8ELj10EEvPKT_Pi,"axG",@progbits,_Z11rank_kernelIiLj4ELb0EL18RadixRankAlgorithm0ELj128ELj8ELj10EEvPKT_Pi,comdat
.Lfunc_end6:
	.size	_Z11rank_kernelIiLj4ELb0EL18RadixRankAlgorithm0ELj128ELj8ELj10EEvPKT_Pi, .Lfunc_end6-_Z11rank_kernelIiLj4ELb0EL18RadixRankAlgorithm0ELj128ELj8ELj10EEvPKT_Pi
                                        ; -- End function
	.section	.AMDGPU.csdata,"",@progbits
; Kernel info:
; codeLenInByte = 1760
; NumSgprs: 22
; NumVgprs: 40
; ScratchSize: 0
; MemoryBound: 0
; FloatMode: 240
; IeeeMode: 1
; LDSByteSize: 4112 bytes/workgroup (compile time only)
; SGPRBlocks: 2
; VGPRBlocks: 4
; NumSGPRsForWavesPerEU: 22
; NumVGPRsForWavesPerEU: 40
; Occupancy: 16
; WaveLimiterHint : 0
; COMPUTE_PGM_RSRC2:SCRATCH_EN: 0
; COMPUTE_PGM_RSRC2:USER_SGPR: 15
; COMPUTE_PGM_RSRC2:TRAP_HANDLER: 0
; COMPUTE_PGM_RSRC2:TGID_X_EN: 1
; COMPUTE_PGM_RSRC2:TGID_Y_EN: 0
; COMPUTE_PGM_RSRC2:TGID_Z_EN: 0
; COMPUTE_PGM_RSRC2:TIDIG_COMP_CNT: 0
	.section	.text._Z11rank_kernelIiLj4ELb0EL18RadixRankAlgorithm1ELj128ELj8ELj10EEvPKT_Pi,"axG",@progbits,_Z11rank_kernelIiLj4ELb0EL18RadixRankAlgorithm1ELj128ELj8ELj10EEvPKT_Pi,comdat
	.protected	_Z11rank_kernelIiLj4ELb0EL18RadixRankAlgorithm1ELj128ELj8ELj10EEvPKT_Pi ; -- Begin function _Z11rank_kernelIiLj4ELb0EL18RadixRankAlgorithm1ELj128ELj8ELj10EEvPKT_Pi
	.globl	_Z11rank_kernelIiLj4ELb0EL18RadixRankAlgorithm1ELj128ELj8ELj10EEvPKT_Pi
	.p2align	8
	.type	_Z11rank_kernelIiLj4ELb0EL18RadixRankAlgorithm1ELj128ELj8ELj10EEvPKT_Pi,@function
_Z11rank_kernelIiLj4ELb0EL18RadixRankAlgorithm1ELj128ELj8ELj10EEvPKT_Pi: ; @_Z11rank_kernelIiLj4ELb0EL18RadixRankAlgorithm1ELj128ELj8ELj10EEvPKT_Pi
; %bb.0:
	s_load_b128 s[16:19], s[0:1], 0x0
	s_mov_b32 s11, 0
	s_lshl_b32 s10, s15, 10
	v_dual_mov_b32 v11, 0 :: v_dual_lshlrev_b32 v10, 5, v0
	s_lshl_b64 s[12:13], s[10:11], 2
	v_mbcnt_lo_u32_b32 v13, -1, 0
	v_or_b32_e32 v16, 31, v0
	v_lshrrev_b32_e32 v18, 3, v0
	v_lshlrev_b32_e32 v9, 3, v0
	v_cmp_gt_u32_e32 vcc_lo, 4, v0
	v_add_nc_u32_e32 v17, -1, v13
	v_and_b32_e32 v14, 15, v13
	v_and_b32_e32 v15, 16, v13
	;; [unrolled: 1-line block ×3, first 2 shown]
	v_lshlrev_b32_e32 v12, 2, v0
	v_cmp_gt_i32_e64 s7, 0, v17
	v_cmp_eq_u32_e64 s2, 0, v14
	v_cmp_lt_u32_e64 s3, 1, v14
	v_cmp_lt_u32_e64 s4, 3, v14
	s_waitcnt lgkmcnt(0)
	s_add_u32 s0, s16, s12
	s_addc_u32 s1, s17, s13
	v_cmp_lt_u32_e64 s5, 7, v14
	s_clause 0x1
	global_load_b128 v[1:4], v10, s[0:1]
	global_load_b128 v[5:8], v10, s[0:1] offset:16
	v_cndmask_b32_e64 v14, v17, v13, s7
	v_cmp_lt_u32_e64 s0, 31, v0
	v_cmp_eq_u32_e64 s1, 0, v13
	v_cmp_eq_u32_e64 s6, 0, v15
	;; [unrolled: 1-line block ×3, first 2 shown]
	v_and_b32_e32 v13, 12, v18
	v_cmp_eq_u32_e64 s8, 0, v19
	v_cmp_lt_u32_e64 s9, 1, v19
	v_lshlrev_b32_e32 v14, 2, v14
	v_or_b32_e32 v23, 0xffffff80, v0
	s_waitcnt vmcnt(1)
	v_xor_b32_e32 v15, 0x80000000, v1
	v_xor_b32_e32 v16, 0x80000000, v2
	;; [unrolled: 1-line block ×4, first 2 shown]
	s_waitcnt vmcnt(0)
	v_xor_b32_e32 v19, 0x80000000, v5
	v_xor_b32_e32 v20, 0x80000000, v6
	;; [unrolled: 1-line block ×4, first 2 shown]
	s_branch .LBB7_2
.LBB7_1:                                ;   in Loop: Header=BB7_2 Depth=1
	s_add_i32 s11, s11, 1
	s_delay_alu instid0(SALU_CYCLE_1)
	s_cmp_eq_u32 s11, 10
	s_cbranch_scc1 .LBB7_12
.LBB7_2:                                ; =>This Loop Header: Depth=1
                                        ;     Child Loop BB7_4 Depth 2
                                        ;       Child Loop BB7_5 Depth 3
	s_mov_b32 s14, 0
	s_branch .LBB7_4
.LBB7_3:                                ;   in Loop: Header=BB7_4 Depth=2
	s_or_b32 exec_lo, exec_lo, s10
	s_waitcnt lgkmcnt(0)
	v_add_nc_u32_e32 v2, v40, v2
	ds_load_b32 v41, v11 offset:4108
	s_add_i32 s10, s14, 4
	s_cmp_lt_u32 s14, 28
	s_mov_b32 s14, s10
	ds_bpermute_b32 v2, v14, v2
	s_waitcnt lgkmcnt(0)
	v_cndmask_b32_e64 v2, v2, v40, s1
	s_delay_alu instid0(VALU_DEP_1) | instskip(NEXT) | instid1(VALU_DEP_1)
	v_lshl_add_u32 v2, v41, 16, v2
	v_add_nc_u32_e32 v7, v2, v7
	s_delay_alu instid0(VALU_DEP_1) | instskip(NEXT) | instid1(VALU_DEP_1)
	v_add_nc_u32_e32 v8, v7, v8
	v_add_nc_u32_e32 v5, v8, v5
	s_delay_alu instid0(VALU_DEP_1) | instskip(NEXT) | instid1(VALU_DEP_1)
	v_add_nc_u32_e32 v6, v5, v6
	;; [unrolled: 3-line block ×3, first 2 shown]
	v_add_nc_u32_e32 v1, v4, v1
	ds_store_2addr_b32 v10, v2, v7 offset1:1
	ds_store_2addr_b32 v10, v8, v5 offset0:2 offset1:3
	ds_store_2addr_b32 v10, v6, v3 offset0:4 offset1:5
	;; [unrolled: 1-line block ×3, first 2 shown]
	s_waitcnt lgkmcnt(0)
	s_barrier
	buffer_gl0_inv
	s_cbranch_scc0 .LBB7_1
.LBB7_4:                                ;   Parent Loop BB7_2 Depth=1
                                        ; =>  This Loop Header: Depth=2
                                        ;       Child Loop BB7_5 Depth 3
	v_dual_mov_b32 v1, v23 :: v_dual_mov_b32 v2, v12
	s_mov_b32 s15, 0
.LBB7_5:                                ;   Parent Loop BB7_2 Depth=1
                                        ;     Parent Loop BB7_4 Depth=2
                                        ; =>    This Inner Loop Header: Depth=3
	s_delay_alu instid0(VALU_DEP_1) | instskip(SKIP_3) | instid1(VALU_DEP_1)
	v_add_nc_u32_e32 v1, 0x80, v1
	ds_store_b32 v2, v11
	v_add_nc_u32_e32 v2, 0x200, v2
	v_cmp_lt_u32_e64 s10, 0x37f, v1
	s_or_b32 s15, s10, s15
	s_delay_alu instid0(SALU_CYCLE_1)
	s_and_not1_b32 exec_lo, exec_lo, s15
	s_cbranch_execnz .LBB7_5
; %bb.6:                                ;   in Loop: Header=BB7_4 Depth=2
	s_or_b32 exec_lo, exec_lo, s15
	s_sub_i32 s10, 28, s14
	s_delay_alu instid0(SALU_CYCLE_1) | instskip(NEXT) | instid1(VALU_DEP_1)
	v_lshlrev_b32_e32 v1, s10, v15
	v_lshrrev_b32_e32 v2, 21, v1
	s_delay_alu instid0(VALU_DEP_1) | instskip(NEXT) | instid1(VALU_DEP_1)
	v_and_or_b32 v2, 0x380, v2, v0
	v_alignbit_b32 v1, v2, v1, 31
	s_delay_alu instid0(VALU_DEP_1) | instskip(SKIP_3) | instid1(VALU_DEP_1)
	v_lshlrev_b32_e32 v25, 1, v1
	v_lshlrev_b32_e32 v1, s10, v16
	ds_load_u16 v24, v25
	v_lshrrev_b32_e32 v2, 21, v1
	v_and_or_b32 v2, 0x380, v2, v0
	s_delay_alu instid0(VALU_DEP_1) | instskip(NEXT) | instid1(VALU_DEP_1)
	v_alignbit_b32 v1, v2, v1, 31
	v_lshlrev_b32_e32 v27, 1, v1
	v_lshlrev_b32_e32 v1, s10, v17
	s_waitcnt lgkmcnt(0)
	v_add_nc_u16 v2, v24, 1
	ds_store_b16 v25, v2
	ds_load_u16 v26, v27
	v_lshrrev_b32_e32 v2, 21, v1
	s_delay_alu instid0(VALU_DEP_1) | instskip(NEXT) | instid1(VALU_DEP_1)
	v_and_or_b32 v2, 0x380, v2, v0
	v_alignbit_b32 v1, v2, v1, 31
	s_delay_alu instid0(VALU_DEP_1)
	v_lshlrev_b32_e32 v29, 1, v1
	v_lshlrev_b32_e32 v1, s10, v18
	s_waitcnt lgkmcnt(0)
	v_add_nc_u16 v2, v26, 1
	ds_store_b16 v27, v2
	ds_load_u16 v28, v29
	v_lshrrev_b32_e32 v2, 21, v1
	s_delay_alu instid0(VALU_DEP_1) | instskip(NEXT) | instid1(VALU_DEP_1)
	v_and_or_b32 v2, 0x380, v2, v0
	v_alignbit_b32 v1, v2, v1, 31
	s_delay_alu instid0(VALU_DEP_1)
	;; [unrolled: 11-line block ×6, first 2 shown]
	v_lshlrev_b32_e32 v39, 1, v1
	s_waitcnt lgkmcnt(0)
	v_add_nc_u16 v2, v36, 1
	ds_store_b16 v37, v2
	ds_load_u16 v38, v39
	s_waitcnt lgkmcnt(0)
	v_add_nc_u16 v1, v38, 1
	ds_store_b16 v39, v1
	s_waitcnt lgkmcnt(0)
	s_barrier
	buffer_gl0_inv
	ds_load_2addr_b32 v[7:8], v10 offset1:1
	ds_load_2addr_b32 v[5:6], v10 offset0:2 offset1:3
	ds_load_2addr_b32 v[3:4], v10 offset0:4 offset1:5
	;; [unrolled: 1-line block ×3, first 2 shown]
	s_waitcnt lgkmcnt(3)
	v_add_nc_u32_e32 v40, v8, v7
	s_waitcnt lgkmcnt(2)
	s_delay_alu instid0(VALU_DEP_1) | instskip(SKIP_1) | instid1(VALU_DEP_1)
	v_add3_u32 v40, v40, v5, v6
	s_waitcnt lgkmcnt(1)
	v_add3_u32 v40, v40, v3, v4
	s_waitcnt lgkmcnt(0)
	s_delay_alu instid0(VALU_DEP_1) | instskip(NEXT) | instid1(VALU_DEP_1)
	v_add3_u32 v2, v40, v1, v2
	v_mov_b32_dpp v40, v2 row_shr:1 row_mask:0xf bank_mask:0xf
	s_delay_alu instid0(VALU_DEP_1) | instskip(NEXT) | instid1(VALU_DEP_1)
	v_cndmask_b32_e64 v40, v40, 0, s2
	v_add_nc_u32_e32 v2, v40, v2
	s_delay_alu instid0(VALU_DEP_1) | instskip(NEXT) | instid1(VALU_DEP_1)
	v_mov_b32_dpp v40, v2 row_shr:2 row_mask:0xf bank_mask:0xf
	v_cndmask_b32_e64 v40, 0, v40, s3
	s_delay_alu instid0(VALU_DEP_1) | instskip(NEXT) | instid1(VALU_DEP_1)
	v_add_nc_u32_e32 v2, v2, v40
	v_mov_b32_dpp v40, v2 row_shr:4 row_mask:0xf bank_mask:0xf
	s_delay_alu instid0(VALU_DEP_1) | instskip(NEXT) | instid1(VALU_DEP_1)
	v_cndmask_b32_e64 v40, 0, v40, s4
	v_add_nc_u32_e32 v2, v2, v40
	s_delay_alu instid0(VALU_DEP_1) | instskip(NEXT) | instid1(VALU_DEP_1)
	v_mov_b32_dpp v40, v2 row_shr:8 row_mask:0xf bank_mask:0xf
	v_cndmask_b32_e64 v40, 0, v40, s5
	s_delay_alu instid0(VALU_DEP_1) | instskip(SKIP_3) | instid1(VALU_DEP_1)
	v_add_nc_u32_e32 v2, v2, v40
	ds_swizzle_b32 v40, v2 offset:swizzle(BROADCAST,32,15)
	s_waitcnt lgkmcnt(0)
	v_cndmask_b32_e64 v40, v40, 0, s6
	v_add_nc_u32_e32 v2, v2, v40
	s_and_saveexec_b32 s10, s7
	s_cbranch_execz .LBB7_8
; %bb.7:                                ;   in Loop: Header=BB7_4 Depth=2
	ds_store_b32 v13, v2 offset:4096
.LBB7_8:                                ;   in Loop: Header=BB7_4 Depth=2
	s_or_b32 exec_lo, exec_lo, s10
	s_waitcnt lgkmcnt(0)
	s_barrier
	buffer_gl0_inv
	s_and_saveexec_b32 s10, vcc_lo
	s_cbranch_execz .LBB7_10
; %bb.9:                                ;   in Loop: Header=BB7_4 Depth=2
	ds_load_b32 v40, v12 offset:4096
	s_waitcnt lgkmcnt(0)
	v_mov_b32_dpp v41, v40 row_shr:1 row_mask:0xf bank_mask:0xf
	s_delay_alu instid0(VALU_DEP_1) | instskip(NEXT) | instid1(VALU_DEP_1)
	v_cndmask_b32_e64 v41, v41, 0, s8
	v_add_nc_u32_e32 v40, v41, v40
	s_delay_alu instid0(VALU_DEP_1) | instskip(NEXT) | instid1(VALU_DEP_1)
	v_mov_b32_dpp v41, v40 row_shr:2 row_mask:0xf bank_mask:0xf
	v_cndmask_b32_e64 v41, 0, v41, s9
	s_delay_alu instid0(VALU_DEP_1)
	v_add_nc_u32_e32 v40, v40, v41
	ds_store_b32 v12, v40 offset:4096
.LBB7_10:                               ;   in Loop: Header=BB7_4 Depth=2
	s_or_b32 exec_lo, exec_lo, s10
	v_mov_b32_e32 v40, 0
	s_waitcnt lgkmcnt(0)
	s_barrier
	buffer_gl0_inv
	s_and_saveexec_b32 s10, s0
	s_cbranch_execz .LBB7_3
; %bb.11:                               ;   in Loop: Header=BB7_4 Depth=2
	ds_load_b32 v40, v13 offset:4092
	s_branch .LBB7_3
.LBB7_12:
	ds_load_u16 v0, v25
	ds_load_u16 v1, v27
	;; [unrolled: 1-line block ×8, first 2 shown]
	v_and_b32_e32 v8, 0xffff, v24
	v_and_b32_e32 v10, 0xffff, v26
	;; [unrolled: 1-line block ×8, first 2 shown]
	s_add_u32 s0, s18, s12
	s_addc_u32 s1, s19, s13
	s_waitcnt lgkmcnt(7)
	v_add_nc_u32_e32 v0, v0, v8
	s_waitcnt lgkmcnt(6)
	v_add_nc_u32_e32 v1, v1, v10
	;; [unrolled: 2-line block ×4, first 2 shown]
	v_lshlrev_b32_e32 v8, 2, v9
	s_waitcnt lgkmcnt(3)
	v_add_nc_u32_e32 v4, v4, v13
	s_waitcnt lgkmcnt(2)
	v_add_nc_u32_e32 v5, v5, v14
	;; [unrolled: 2-line block ×4, first 2 shown]
	s_clause 0x1
	global_store_b128 v8, v[0:3], s[0:1]
	global_store_b128 v8, v[4:7], s[0:1] offset:16
	s_nop 0
	s_sendmsg sendmsg(MSG_DEALLOC_VGPRS)
	s_endpgm
	.section	.rodata,"a",@progbits
	.p2align	6, 0x0
	.amdhsa_kernel _Z11rank_kernelIiLj4ELb0EL18RadixRankAlgorithm1ELj128ELj8ELj10EEvPKT_Pi
		.amdhsa_group_segment_fixed_size 4112
		.amdhsa_private_segment_fixed_size 0
		.amdhsa_kernarg_size 16
		.amdhsa_user_sgpr_count 15
		.amdhsa_user_sgpr_dispatch_ptr 0
		.amdhsa_user_sgpr_queue_ptr 0
		.amdhsa_user_sgpr_kernarg_segment_ptr 1
		.amdhsa_user_sgpr_dispatch_id 0
		.amdhsa_user_sgpr_private_segment_size 0
		.amdhsa_wavefront_size32 1
		.amdhsa_uses_dynamic_stack 0
		.amdhsa_enable_private_segment 0
		.amdhsa_system_sgpr_workgroup_id_x 1
		.amdhsa_system_sgpr_workgroup_id_y 0
		.amdhsa_system_sgpr_workgroup_id_z 0
		.amdhsa_system_sgpr_workgroup_info 0
		.amdhsa_system_vgpr_workitem_id 0
		.amdhsa_next_free_vgpr 42
		.amdhsa_next_free_sgpr 20
		.amdhsa_reserve_vcc 1
		.amdhsa_float_round_mode_32 0
		.amdhsa_float_round_mode_16_64 0
		.amdhsa_float_denorm_mode_32 3
		.amdhsa_float_denorm_mode_16_64 3
		.amdhsa_dx10_clamp 1
		.amdhsa_ieee_mode 1
		.amdhsa_fp16_overflow 0
		.amdhsa_workgroup_processor_mode 1
		.amdhsa_memory_ordered 1
		.amdhsa_forward_progress 0
		.amdhsa_shared_vgpr_count 0
		.amdhsa_exception_fp_ieee_invalid_op 0
		.amdhsa_exception_fp_denorm_src 0
		.amdhsa_exception_fp_ieee_div_zero 0
		.amdhsa_exception_fp_ieee_overflow 0
		.amdhsa_exception_fp_ieee_underflow 0
		.amdhsa_exception_fp_ieee_inexact 0
		.amdhsa_exception_int_div_zero 0
	.end_amdhsa_kernel
	.section	.text._Z11rank_kernelIiLj4ELb0EL18RadixRankAlgorithm1ELj128ELj8ELj10EEvPKT_Pi,"axG",@progbits,_Z11rank_kernelIiLj4ELb0EL18RadixRankAlgorithm1ELj128ELj8ELj10EEvPKT_Pi,comdat
.Lfunc_end7:
	.size	_Z11rank_kernelIiLj4ELb0EL18RadixRankAlgorithm1ELj128ELj8ELj10EEvPKT_Pi, .Lfunc_end7-_Z11rank_kernelIiLj4ELb0EL18RadixRankAlgorithm1ELj128ELj8ELj10EEvPKT_Pi
                                        ; -- End function
	.section	.AMDGPU.csdata,"",@progbits
; Kernel info:
; codeLenInByte = 1716
; NumSgprs: 22
; NumVgprs: 42
; ScratchSize: 0
; MemoryBound: 0
; FloatMode: 240
; IeeeMode: 1
; LDSByteSize: 4112 bytes/workgroup (compile time only)
; SGPRBlocks: 2
; VGPRBlocks: 5
; NumSGPRsForWavesPerEU: 22
; NumVGPRsForWavesPerEU: 42
; Occupancy: 16
; WaveLimiterHint : 0
; COMPUTE_PGM_RSRC2:SCRATCH_EN: 0
; COMPUTE_PGM_RSRC2:USER_SGPR: 15
; COMPUTE_PGM_RSRC2:TRAP_HANDLER: 0
; COMPUTE_PGM_RSRC2:TGID_X_EN: 1
; COMPUTE_PGM_RSRC2:TGID_Y_EN: 0
; COMPUTE_PGM_RSRC2:TGID_Z_EN: 0
; COMPUTE_PGM_RSRC2:TIDIG_COMP_CNT: 0
	.section	.text._Z11rank_kernelIiLj4ELb0EL18RadixRankAlgorithm2ELj128ELj8ELj10EEvPKT_Pi,"axG",@progbits,_Z11rank_kernelIiLj4ELb0EL18RadixRankAlgorithm2ELj128ELj8ELj10EEvPKT_Pi,comdat
	.protected	_Z11rank_kernelIiLj4ELb0EL18RadixRankAlgorithm2ELj128ELj8ELj10EEvPKT_Pi ; -- Begin function _Z11rank_kernelIiLj4ELb0EL18RadixRankAlgorithm2ELj128ELj8ELj10EEvPKT_Pi
	.globl	_Z11rank_kernelIiLj4ELb0EL18RadixRankAlgorithm2ELj128ELj8ELj10EEvPKT_Pi
	.p2align	8
	.type	_Z11rank_kernelIiLj4ELb0EL18RadixRankAlgorithm2ELj128ELj8ELj10EEvPKT_Pi,@function
_Z11rank_kernelIiLj4ELb0EL18RadixRankAlgorithm2ELj128ELj8ELj10EEvPKT_Pi: ; @_Z11rank_kernelIiLj4ELb0EL18RadixRankAlgorithm2ELj128ELj8ELj10EEvPKT_Pi
; %bb.0:
	s_clause 0x1
	s_load_b128 s[16:19], s[0:1], 0x0
	s_load_b32 s7, s[0:1], 0x1c
	v_and_b32_e32 v3, 0x3ff, v0
	s_mov_b32 s21, 0
	s_lshl_b32 s20, s15, 10
	v_mbcnt_lo_u32_b32 v4, -1, 0
	s_lshl_b64 s[12:13], s[20:21], 2
	v_lshlrev_b32_e32 v1, 5, v3
	v_bfe_u32 v5, v0, 10, 10
	v_bfe_u32 v14, v0, 20, 10
	v_and_b32_e32 v15, 15, v4
	v_add_nc_u32_e32 v17, -1, v4
	v_cmp_eq_u32_e32 vcc_lo, 0, v4
	v_and_b32_e32 v18, 3, v4
	v_lshlrev_b32_e32 v0, 3, v3
	v_cmp_lt_u32_e64 s2, 3, v15
	v_cmp_lt_u32_e64 s3, 7, v15
	v_lshlrev_b32_e32 v2, 2, v3
	v_cmp_lt_u32_e64 s6, 31, v3
	v_cmp_lt_u32_e64 s8, 1, v18
	s_waitcnt lgkmcnt(0)
	s_add_u32 s0, s16, s12
	s_addc_u32 s1, s17, s13
	s_lshr_b32 s5, s7, 16
	s_clause 0x1
	global_load_b128 v[6:9], v1, s[0:1]
	global_load_b128 v[10:13], v1, s[0:1] offset:16
	v_mad_u32_u24 v5, v14, s5, v5
	s_and_b32 s7, s7, 0xffff
	v_dual_mov_b32 v1, 0 :: v_dual_and_b32 v16, 16, v4
	v_cmp_eq_u32_e64 s0, 0, v15
	v_cmp_lt_u32_e64 s1, 1, v15
	v_mad_u64_u32 v[14:15], null, v5, s7, v[3:4]
	v_cmp_gt_i32_e64 s7, 0, v17
	v_cmp_eq_u32_e64 s4, 0, v16
	v_or_b32_e32 v16, 31, v3
	v_lshrrev_b32_e32 v5, 3, v3
	v_cmp_gt_u32_e64 s5, 4, v3
	v_cndmask_b32_e64 v4, v17, v4, s7
	v_cmp_eq_u32_e64 s7, 0, v18
	v_cmp_eq_u32_e64 s9, v16, v3
	s_delay_alu instid0(VALU_DEP_3) | instskip(SKIP_2) | instid1(VALU_DEP_2)
	v_lshlrev_b32_e32 v3, 2, v4
	v_and_b32_e32 v4, 12, v5
	v_lshrrev_b32_e32 v5, 5, v14
	v_add_nc_u32_e32 v14, -4, v4
	s_waitcnt vmcnt(1)
	v_xor_b32_e32 v6, 0x80000000, v6
	v_xor_b32_e32 v7, 0x80000000, v7
	;; [unrolled: 1-line block ×4, first 2 shown]
	s_waitcnt vmcnt(0)
	v_xor_b32_e32 v10, 0x80000000, v10
	v_xor_b32_e32 v11, 0x80000000, v11
	;; [unrolled: 1-line block ×4, first 2 shown]
	s_branch .LBB8_2
.LBB8_1:                                ;   in Loop: Header=BB8_2 Depth=1
	s_add_i32 s21, s21, 1
	s_delay_alu instid0(SALU_CYCLE_1)
	s_cmp_eq_u32 s21, 10
	s_cbranch_scc1 .LBB8_26
.LBB8_2:                                ; =>This Loop Header: Depth=1
                                        ;     Child Loop BB8_4 Depth 2
	s_mov_b32 s14, -4
	s_mov_b32 s15, 28
	s_branch .LBB8_4
.LBB8_3:                                ;   in Loop: Header=BB8_4 Depth=2
	s_or_b32 exec_lo, exec_lo, s10
	s_waitcnt lgkmcnt(0)
	v_add_nc_u32_e32 v38, v39, v38
	s_add_i32 s14, s14, 4
	s_add_i32 s15, s15, -4
	s_cmp_lt_u32 s14, 28
	ds_bpermute_b32 v38, v3, v38
	s_waitcnt lgkmcnt(0)
	v_cndmask_b32_e32 v38, v38, v39, vcc_lo
	ds_store_b32 v2, v38 offset:16
	s_waitcnt lgkmcnt(0)
	s_barrier
	buffer_gl0_inv
	s_cbranch_scc0 .LBB8_1
.LBB8_4:                                ;   Parent Loop BB8_2 Depth=1
                                        ; =>  This Inner Loop Header: Depth=2
	v_lshlrev_b32_e32 v15, s15, v6
	ds_store_b32 v2, v1 offset:16
	s_waitcnt lgkmcnt(0)
	s_barrier
	buffer_gl0_inv
	v_bfe_u32 v16, v15, 28, 1
	v_lshrrev_b32_e32 v18, 28, v15
	v_not_b32_e32 v21, v15
	; wave barrier
	s_delay_alu instid0(VALU_DEP_3) | instskip(NEXT) | instid1(VALU_DEP_1)
	v_add_co_u32 v16, s10, v16, -1
	v_cndmask_b32_e64 v17, 0, 1, s10
	s_delay_alu instid0(VALU_DEP_4) | instskip(SKIP_1) | instid1(VALU_DEP_3)
	v_lshlrev_b32_e32 v19, 30, v18
	v_lshlrev_b32_e32 v20, 29, v18
	v_cmp_ne_u32_e64 s10, 0, v17
	s_delay_alu instid0(VALU_DEP_3) | instskip(SKIP_1) | instid1(VALU_DEP_4)
	v_not_b32_e32 v17, v19
	v_cmp_gt_i32_e64 s11, 0, v19
	v_not_b32_e32 v19, v20
	s_delay_alu instid0(VALU_DEP_4) | instskip(NEXT) | instid1(VALU_DEP_4)
	v_xor_b32_e32 v16, s10, v16
	v_ashrrev_i32_e32 v17, 31, v17
	v_cmp_gt_i32_e64 s10, 0, v20
	s_delay_alu instid0(VALU_DEP_4) | instskip(NEXT) | instid1(VALU_DEP_4)
	v_ashrrev_i32_e32 v19, 31, v19
	v_and_b32_e32 v16, exec_lo, v16
	s_delay_alu instid0(VALU_DEP_4) | instskip(SKIP_3) | instid1(VALU_DEP_4)
	v_xor_b32_e32 v17, s11, v17
	v_cmp_gt_i32_e64 s11, 0, v15
	v_ashrrev_i32_e32 v15, 31, v21
	v_xor_b32_e32 v19, s10, v19
	v_and_b32_e32 v16, v16, v17
	s_delay_alu instid0(VALU_DEP_3) | instskip(NEXT) | instid1(VALU_DEP_2)
	v_xor_b32_e32 v15, s11, v15
	v_and_b32_e32 v16, v16, v19
	s_delay_alu instid0(VALU_DEP_1) | instskip(SKIP_1) | instid1(VALU_DEP_2)
	v_and_b32_e32 v17, v16, v15
	v_mad_u32_u24 v16, v18, 5, v5
	v_mbcnt_lo_u32_b32 v15, v17, 0
	v_cmp_ne_u32_e64 s11, 0, v17
	s_delay_alu instid0(VALU_DEP_3) | instskip(NEXT) | instid1(VALU_DEP_3)
	v_lshl_add_u32 v16, v16, 2, 16
	v_cmp_eq_u32_e64 s10, 0, v15
	s_delay_alu instid0(VALU_DEP_1) | instskip(NEXT) | instid1(SALU_CYCLE_1)
	s_and_b32 s11, s11, s10
	s_and_saveexec_b32 s10, s11
	s_cbranch_execz .LBB8_6
; %bb.5:                                ;   in Loop: Header=BB8_4 Depth=2
	v_bcnt_u32_b32 v17, v17, 0
	ds_store_b32 v16, v17
.LBB8_6:                                ;   in Loop: Header=BB8_4 Depth=2
	s_or_b32 exec_lo, exec_lo, s10
	v_lshlrev_b32_e32 v17, s15, v7
	; wave barrier
	s_delay_alu instid0(VALU_DEP_1) | instskip(SKIP_2) | instid1(VALU_DEP_3)
	v_bfe_u32 v18, v17, 28, 1
	v_lshrrev_b32_e32 v19, 28, v17
	v_not_b32_e32 v23, v17
	v_add_co_u32 v18, s10, v18, -1
	s_delay_alu instid0(VALU_DEP_1) | instskip(NEXT) | instid1(VALU_DEP_4)
	v_cndmask_b32_e64 v20, 0, 1, s10
	v_lshlrev_b32_e32 v21, 30, v19
	v_lshlrev_b32_e32 v22, 29, v19
	s_delay_alu instid0(VALU_DEP_3) | instskip(NEXT) | instid1(VALU_DEP_3)
	v_cmp_ne_u32_e64 s10, 0, v20
	v_not_b32_e32 v20, v21
	v_cmp_gt_i32_e64 s11, 0, v21
	s_delay_alu instid0(VALU_DEP_4) | instskip(NEXT) | instid1(VALU_DEP_4)
	v_not_b32_e32 v21, v22
	v_xor_b32_e32 v18, s10, v18
	s_delay_alu instid0(VALU_DEP_4) | instskip(SKIP_1) | instid1(VALU_DEP_4)
	v_ashrrev_i32_e32 v20, 31, v20
	v_cmp_gt_i32_e64 s10, 0, v22
	v_ashrrev_i32_e32 v21, 31, v21
	s_delay_alu instid0(VALU_DEP_4) | instskip(NEXT) | instid1(VALU_DEP_4)
	v_and_b32_e32 v18, exec_lo, v18
	v_xor_b32_e32 v20, s11, v20
	v_cmp_gt_i32_e64 s11, 0, v17
	v_mul_u32_u24_e32 v17, 5, v19
	v_ashrrev_i32_e32 v19, 31, v23
	v_xor_b32_e32 v21, s10, v21
	v_and_b32_e32 v18, v18, v20
	s_delay_alu instid0(VALU_DEP_4) | instskip(NEXT) | instid1(VALU_DEP_4)
	v_add_lshl_u32 v22, v5, v17, 2
	v_xor_b32_e32 v19, s11, v19
	s_delay_alu instid0(VALU_DEP_3) | instskip(SKIP_3) | instid1(VALU_DEP_2)
	v_and_b32_e32 v18, v18, v21
	ds_load_b32 v17, v22 offset:16
	; wave barrier
	v_and_b32_e32 v20, v18, v19
	v_add_nc_u32_e32 v19, 16, v22
	v_mbcnt_lo_u32_b32 v18, v20, 0
	v_cmp_ne_u32_e64 s11, 0, v20
	s_delay_alu instid0(VALU_DEP_2) | instskip(NEXT) | instid1(VALU_DEP_1)
	v_cmp_eq_u32_e64 s10, 0, v18
	s_and_b32 s11, s11, s10
	s_delay_alu instid0(SALU_CYCLE_1)
	s_and_saveexec_b32 s10, s11
	s_cbranch_execz .LBB8_8
; %bb.7:                                ;   in Loop: Header=BB8_4 Depth=2
	s_waitcnt lgkmcnt(0)
	v_bcnt_u32_b32 v20, v20, v17
	ds_store_b32 v19, v20
.LBB8_8:                                ;   in Loop: Header=BB8_4 Depth=2
	s_or_b32 exec_lo, exec_lo, s10
	v_lshlrev_b32_e32 v20, s15, v8
	; wave barrier
	s_delay_alu instid0(VALU_DEP_1) | instskip(SKIP_2) | instid1(VALU_DEP_3)
	v_bfe_u32 v21, v20, 28, 1
	v_lshrrev_b32_e32 v22, 28, v20
	v_not_b32_e32 v26, v20
	v_add_co_u32 v21, s10, v21, -1
	s_delay_alu instid0(VALU_DEP_1) | instskip(NEXT) | instid1(VALU_DEP_4)
	v_cndmask_b32_e64 v23, 0, 1, s10
	v_lshlrev_b32_e32 v24, 30, v22
	v_lshlrev_b32_e32 v25, 29, v22
	s_delay_alu instid0(VALU_DEP_3) | instskip(NEXT) | instid1(VALU_DEP_3)
	v_cmp_ne_u32_e64 s10, 0, v23
	v_not_b32_e32 v23, v24
	v_cmp_gt_i32_e64 s11, 0, v24
	s_delay_alu instid0(VALU_DEP_4) | instskip(NEXT) | instid1(VALU_DEP_4)
	v_not_b32_e32 v24, v25
	v_xor_b32_e32 v21, s10, v21
	s_delay_alu instid0(VALU_DEP_4) | instskip(SKIP_1) | instid1(VALU_DEP_4)
	v_ashrrev_i32_e32 v23, 31, v23
	v_cmp_gt_i32_e64 s10, 0, v25
	v_ashrrev_i32_e32 v24, 31, v24
	s_delay_alu instid0(VALU_DEP_4) | instskip(NEXT) | instid1(VALU_DEP_4)
	v_and_b32_e32 v21, exec_lo, v21
	v_xor_b32_e32 v23, s11, v23
	v_cmp_gt_i32_e64 s11, 0, v20
	v_mul_u32_u24_e32 v20, 5, v22
	v_ashrrev_i32_e32 v22, 31, v26
	v_xor_b32_e32 v24, s10, v24
	v_and_b32_e32 v21, v21, v23
	s_delay_alu instid0(VALU_DEP_4) | instskip(NEXT) | instid1(VALU_DEP_4)
	v_add_lshl_u32 v25, v5, v20, 2
	v_xor_b32_e32 v22, s11, v22
	s_delay_alu instid0(VALU_DEP_3) | instskip(SKIP_3) | instid1(VALU_DEP_2)
	v_and_b32_e32 v21, v21, v24
	ds_load_b32 v20, v25 offset:16
	; wave barrier
	v_and_b32_e32 v23, v21, v22
	v_add_nc_u32_e32 v22, 16, v25
	v_mbcnt_lo_u32_b32 v21, v23, 0
	v_cmp_ne_u32_e64 s11, 0, v23
	s_delay_alu instid0(VALU_DEP_2) | instskip(NEXT) | instid1(VALU_DEP_1)
	v_cmp_eq_u32_e64 s10, 0, v21
	s_and_b32 s11, s11, s10
	s_delay_alu instid0(SALU_CYCLE_1)
	s_and_saveexec_b32 s10, s11
	s_cbranch_execz .LBB8_10
; %bb.9:                                ;   in Loop: Header=BB8_4 Depth=2
	s_waitcnt lgkmcnt(0)
	v_bcnt_u32_b32 v23, v23, v20
	ds_store_b32 v22, v23
.LBB8_10:                               ;   in Loop: Header=BB8_4 Depth=2
	s_or_b32 exec_lo, exec_lo, s10
	v_lshlrev_b32_e32 v23, s15, v9
	; wave barrier
	s_delay_alu instid0(VALU_DEP_1) | instskip(SKIP_2) | instid1(VALU_DEP_3)
	v_bfe_u32 v24, v23, 28, 1
	v_lshrrev_b32_e32 v25, 28, v23
	v_not_b32_e32 v29, v23
	v_add_co_u32 v24, s10, v24, -1
	s_delay_alu instid0(VALU_DEP_1) | instskip(NEXT) | instid1(VALU_DEP_4)
	v_cndmask_b32_e64 v26, 0, 1, s10
	v_lshlrev_b32_e32 v27, 30, v25
	v_lshlrev_b32_e32 v28, 29, v25
	s_delay_alu instid0(VALU_DEP_3) | instskip(NEXT) | instid1(VALU_DEP_3)
	v_cmp_ne_u32_e64 s10, 0, v26
	v_not_b32_e32 v26, v27
	v_cmp_gt_i32_e64 s11, 0, v27
	s_delay_alu instid0(VALU_DEP_4) | instskip(NEXT) | instid1(VALU_DEP_4)
	v_not_b32_e32 v27, v28
	v_xor_b32_e32 v24, s10, v24
	s_delay_alu instid0(VALU_DEP_4) | instskip(SKIP_1) | instid1(VALU_DEP_4)
	v_ashrrev_i32_e32 v26, 31, v26
	v_cmp_gt_i32_e64 s10, 0, v28
	v_ashrrev_i32_e32 v27, 31, v27
	s_delay_alu instid0(VALU_DEP_4) | instskip(NEXT) | instid1(VALU_DEP_4)
	v_and_b32_e32 v24, exec_lo, v24
	v_xor_b32_e32 v26, s11, v26
	v_cmp_gt_i32_e64 s11, 0, v23
	v_mul_u32_u24_e32 v23, 5, v25
	v_ashrrev_i32_e32 v25, 31, v29
	v_xor_b32_e32 v27, s10, v27
	v_and_b32_e32 v24, v24, v26
	s_delay_alu instid0(VALU_DEP_4) | instskip(NEXT) | instid1(VALU_DEP_4)
	v_add_lshl_u32 v28, v5, v23, 2
	v_xor_b32_e32 v25, s11, v25
	s_delay_alu instid0(VALU_DEP_3) | instskip(SKIP_3) | instid1(VALU_DEP_2)
	v_and_b32_e32 v24, v24, v27
	ds_load_b32 v23, v28 offset:16
	; wave barrier
	v_and_b32_e32 v26, v24, v25
	v_add_nc_u32_e32 v25, 16, v28
	v_mbcnt_lo_u32_b32 v24, v26, 0
	v_cmp_ne_u32_e64 s11, 0, v26
	s_delay_alu instid0(VALU_DEP_2) | instskip(NEXT) | instid1(VALU_DEP_1)
	v_cmp_eq_u32_e64 s10, 0, v24
	s_and_b32 s11, s11, s10
	s_delay_alu instid0(SALU_CYCLE_1)
	s_and_saveexec_b32 s10, s11
	s_cbranch_execz .LBB8_12
; %bb.11:                               ;   in Loop: Header=BB8_4 Depth=2
	s_waitcnt lgkmcnt(0)
	v_bcnt_u32_b32 v26, v26, v23
	ds_store_b32 v25, v26
.LBB8_12:                               ;   in Loop: Header=BB8_4 Depth=2
	s_or_b32 exec_lo, exec_lo, s10
	v_lshlrev_b32_e32 v26, s15, v10
	; wave barrier
	s_delay_alu instid0(VALU_DEP_1) | instskip(SKIP_2) | instid1(VALU_DEP_3)
	v_bfe_u32 v27, v26, 28, 1
	v_lshrrev_b32_e32 v28, 28, v26
	v_not_b32_e32 v32, v26
	v_add_co_u32 v27, s10, v27, -1
	s_delay_alu instid0(VALU_DEP_1) | instskip(NEXT) | instid1(VALU_DEP_4)
	v_cndmask_b32_e64 v29, 0, 1, s10
	v_lshlrev_b32_e32 v30, 30, v28
	v_lshlrev_b32_e32 v31, 29, v28
	s_delay_alu instid0(VALU_DEP_3) | instskip(NEXT) | instid1(VALU_DEP_3)
	v_cmp_ne_u32_e64 s10, 0, v29
	v_not_b32_e32 v29, v30
	v_cmp_gt_i32_e64 s11, 0, v30
	s_delay_alu instid0(VALU_DEP_4) | instskip(NEXT) | instid1(VALU_DEP_4)
	v_not_b32_e32 v30, v31
	v_xor_b32_e32 v27, s10, v27
	s_delay_alu instid0(VALU_DEP_4) | instskip(SKIP_1) | instid1(VALU_DEP_4)
	v_ashrrev_i32_e32 v29, 31, v29
	v_cmp_gt_i32_e64 s10, 0, v31
	v_ashrrev_i32_e32 v30, 31, v30
	s_delay_alu instid0(VALU_DEP_4) | instskip(NEXT) | instid1(VALU_DEP_4)
	v_and_b32_e32 v27, exec_lo, v27
	v_xor_b32_e32 v29, s11, v29
	v_cmp_gt_i32_e64 s11, 0, v26
	v_mul_u32_u24_e32 v26, 5, v28
	v_ashrrev_i32_e32 v28, 31, v32
	v_xor_b32_e32 v30, s10, v30
	v_and_b32_e32 v27, v27, v29
	s_delay_alu instid0(VALU_DEP_4) | instskip(NEXT) | instid1(VALU_DEP_4)
	v_add_lshl_u32 v31, v5, v26, 2
	v_xor_b32_e32 v28, s11, v28
	s_delay_alu instid0(VALU_DEP_3) | instskip(SKIP_3) | instid1(VALU_DEP_2)
	v_and_b32_e32 v27, v27, v30
	ds_load_b32 v26, v31 offset:16
	; wave barrier
	v_and_b32_e32 v29, v27, v28
	v_add_nc_u32_e32 v28, 16, v31
	v_mbcnt_lo_u32_b32 v27, v29, 0
	v_cmp_ne_u32_e64 s11, 0, v29
	s_delay_alu instid0(VALU_DEP_2) | instskip(NEXT) | instid1(VALU_DEP_1)
	v_cmp_eq_u32_e64 s10, 0, v27
	s_and_b32 s11, s11, s10
	s_delay_alu instid0(SALU_CYCLE_1)
	s_and_saveexec_b32 s10, s11
	s_cbranch_execz .LBB8_14
; %bb.13:                               ;   in Loop: Header=BB8_4 Depth=2
	s_waitcnt lgkmcnt(0)
	v_bcnt_u32_b32 v29, v29, v26
	ds_store_b32 v28, v29
.LBB8_14:                               ;   in Loop: Header=BB8_4 Depth=2
	;; [unrolled: 53-line block ×5, first 2 shown]
	s_or_b32 exec_lo, exec_lo, s10
	; wave barrier
	s_waitcnt lgkmcnt(0)
	s_barrier
	buffer_gl0_inv
	ds_load_b32 v38, v2 offset:16
	s_waitcnt lgkmcnt(0)
	v_mov_b32_dpp v39, v38 row_shr:1 row_mask:0xf bank_mask:0xf
	s_delay_alu instid0(VALU_DEP_1) | instskip(NEXT) | instid1(VALU_DEP_1)
	v_cndmask_b32_e64 v39, v39, 0, s0
	v_add_nc_u32_e32 v38, v39, v38
	s_delay_alu instid0(VALU_DEP_1) | instskip(NEXT) | instid1(VALU_DEP_1)
	v_mov_b32_dpp v39, v38 row_shr:2 row_mask:0xf bank_mask:0xf
	v_cndmask_b32_e64 v39, 0, v39, s1
	s_delay_alu instid0(VALU_DEP_1) | instskip(NEXT) | instid1(VALU_DEP_1)
	v_add_nc_u32_e32 v38, v38, v39
	v_mov_b32_dpp v39, v38 row_shr:4 row_mask:0xf bank_mask:0xf
	s_delay_alu instid0(VALU_DEP_1) | instskip(NEXT) | instid1(VALU_DEP_1)
	v_cndmask_b32_e64 v39, 0, v39, s2
	v_add_nc_u32_e32 v38, v38, v39
	s_delay_alu instid0(VALU_DEP_1) | instskip(NEXT) | instid1(VALU_DEP_1)
	v_mov_b32_dpp v39, v38 row_shr:8 row_mask:0xf bank_mask:0xf
	v_cndmask_b32_e64 v39, 0, v39, s3
	s_delay_alu instid0(VALU_DEP_1) | instskip(SKIP_3) | instid1(VALU_DEP_1)
	v_add_nc_u32_e32 v38, v38, v39
	ds_swizzle_b32 v39, v38 offset:swizzle(BROADCAST,32,15)
	s_waitcnt lgkmcnt(0)
	v_cndmask_b32_e64 v39, v39, 0, s4
	v_add_nc_u32_e32 v38, v38, v39
	s_and_saveexec_b32 s10, s9
	s_delay_alu instid0(SALU_CYCLE_1)
	s_xor_b32 s10, exec_lo, s10
	s_cbranch_execz .LBB8_22
; %bb.21:                               ;   in Loop: Header=BB8_4 Depth=2
	ds_store_b32 v4, v38
.LBB8_22:                               ;   in Loop: Header=BB8_4 Depth=2
	s_or_b32 exec_lo, exec_lo, s10
	s_waitcnt lgkmcnt(0)
	s_barrier
	buffer_gl0_inv
	s_and_saveexec_b32 s10, s5
	s_cbranch_execz .LBB8_24
; %bb.23:                               ;   in Loop: Header=BB8_4 Depth=2
	ds_load_b32 v39, v2
	s_waitcnt lgkmcnt(0)
	v_mov_b32_dpp v40, v39 row_shr:1 row_mask:0xf bank_mask:0xf
	s_delay_alu instid0(VALU_DEP_1) | instskip(NEXT) | instid1(VALU_DEP_1)
	v_cndmask_b32_e64 v40, v40, 0, s7
	v_add_nc_u32_e32 v39, v40, v39
	s_delay_alu instid0(VALU_DEP_1) | instskip(NEXT) | instid1(VALU_DEP_1)
	v_mov_b32_dpp v40, v39 row_shr:2 row_mask:0xf bank_mask:0xf
	v_cndmask_b32_e64 v40, 0, v40, s8
	s_delay_alu instid0(VALU_DEP_1)
	v_add_nc_u32_e32 v39, v39, v40
	ds_store_b32 v2, v39
.LBB8_24:                               ;   in Loop: Header=BB8_4 Depth=2
	s_or_b32 exec_lo, exec_lo, s10
	v_mov_b32_e32 v39, 0
	s_waitcnt lgkmcnt(0)
	s_barrier
	buffer_gl0_inv
	s_and_saveexec_b32 s10, s6
	s_cbranch_execz .LBB8_3
; %bb.25:                               ;   in Loop: Header=BB8_4 Depth=2
	ds_load_b32 v39, v14
	s_branch .LBB8_3
.LBB8_26:
	ds_load_b32 v1, v16
	ds_load_b32 v2, v19
	;; [unrolled: 1-line block ×8, first 2 shown]
	v_lshlrev_b32_e32 v9, 2, v0
	s_add_u32 s0, s18, s12
	s_addc_u32 s1, s19, s13
	s_waitcnt lgkmcnt(7)
	v_add_nc_u32_e32 v0, v1, v15
	s_waitcnt lgkmcnt(6)
	v_add3_u32 v1, v18, v17, v2
	s_waitcnt lgkmcnt(5)
	v_add3_u32 v2, v21, v20, v3
	;; [unrolled: 2-line block ×7, first 2 shown]
	s_clause 0x1
	global_store_b128 v9, v[0:3], s[0:1]
	global_store_b128 v9, v[4:7], s[0:1] offset:16
	s_nop 0
	s_sendmsg sendmsg(MSG_DEALLOC_VGPRS)
	s_endpgm
	.section	.rodata,"a",@progbits
	.p2align	6, 0x0
	.amdhsa_kernel _Z11rank_kernelIiLj4ELb0EL18RadixRankAlgorithm2ELj128ELj8ELj10EEvPKT_Pi
		.amdhsa_group_segment_fixed_size 528
		.amdhsa_private_segment_fixed_size 0
		.amdhsa_kernarg_size 272
		.amdhsa_user_sgpr_count 15
		.amdhsa_user_sgpr_dispatch_ptr 0
		.amdhsa_user_sgpr_queue_ptr 0
		.amdhsa_user_sgpr_kernarg_segment_ptr 1
		.amdhsa_user_sgpr_dispatch_id 0
		.amdhsa_user_sgpr_private_segment_size 0
		.amdhsa_wavefront_size32 1
		.amdhsa_uses_dynamic_stack 0
		.amdhsa_enable_private_segment 0
		.amdhsa_system_sgpr_workgroup_id_x 1
		.amdhsa_system_sgpr_workgroup_id_y 0
		.amdhsa_system_sgpr_workgroup_id_z 0
		.amdhsa_system_sgpr_workgroup_info 0
		.amdhsa_system_vgpr_workitem_id 2
		.amdhsa_next_free_vgpr 42
		.amdhsa_next_free_sgpr 22
		.amdhsa_reserve_vcc 1
		.amdhsa_float_round_mode_32 0
		.amdhsa_float_round_mode_16_64 0
		.amdhsa_float_denorm_mode_32 3
		.amdhsa_float_denorm_mode_16_64 3
		.amdhsa_dx10_clamp 1
		.amdhsa_ieee_mode 1
		.amdhsa_fp16_overflow 0
		.amdhsa_workgroup_processor_mode 1
		.amdhsa_memory_ordered 1
		.amdhsa_forward_progress 0
		.amdhsa_shared_vgpr_count 0
		.amdhsa_exception_fp_ieee_invalid_op 0
		.amdhsa_exception_fp_denorm_src 0
		.amdhsa_exception_fp_ieee_div_zero 0
		.amdhsa_exception_fp_ieee_overflow 0
		.amdhsa_exception_fp_ieee_underflow 0
		.amdhsa_exception_fp_ieee_inexact 0
		.amdhsa_exception_int_div_zero 0
	.end_amdhsa_kernel
	.section	.text._Z11rank_kernelIiLj4ELb0EL18RadixRankAlgorithm2ELj128ELj8ELj10EEvPKT_Pi,"axG",@progbits,_Z11rank_kernelIiLj4ELb0EL18RadixRankAlgorithm2ELj128ELj8ELj10EEvPKT_Pi,comdat
.Lfunc_end8:
	.size	_Z11rank_kernelIiLj4ELb0EL18RadixRankAlgorithm2ELj128ELj8ELj10EEvPKT_Pi, .Lfunc_end8-_Z11rank_kernelIiLj4ELb0EL18RadixRankAlgorithm2ELj128ELj8ELj10EEvPKT_Pi
                                        ; -- End function
	.section	.AMDGPU.csdata,"",@progbits
; Kernel info:
; codeLenInByte = 3008
; NumSgprs: 24
; NumVgprs: 42
; ScratchSize: 0
; MemoryBound: 0
; FloatMode: 240
; IeeeMode: 1
; LDSByteSize: 528 bytes/workgroup (compile time only)
; SGPRBlocks: 2
; VGPRBlocks: 5
; NumSGPRsForWavesPerEU: 24
; NumVGPRsForWavesPerEU: 42
; Occupancy: 16
; WaveLimiterHint : 0
; COMPUTE_PGM_RSRC2:SCRATCH_EN: 0
; COMPUTE_PGM_RSRC2:USER_SGPR: 15
; COMPUTE_PGM_RSRC2:TRAP_HANDLER: 0
; COMPUTE_PGM_RSRC2:TGID_X_EN: 1
; COMPUTE_PGM_RSRC2:TGID_Y_EN: 0
; COMPUTE_PGM_RSRC2:TGID_Z_EN: 0
; COMPUTE_PGM_RSRC2:TIDIG_COMP_CNT: 2
	.section	.text._Z11rank_kernelIiLj4ELb0EL18RadixRankAlgorithm0ELj128ELj16ELj10EEvPKT_Pi,"axG",@progbits,_Z11rank_kernelIiLj4ELb0EL18RadixRankAlgorithm0ELj128ELj16ELj10EEvPKT_Pi,comdat
	.protected	_Z11rank_kernelIiLj4ELb0EL18RadixRankAlgorithm0ELj128ELj16ELj10EEvPKT_Pi ; -- Begin function _Z11rank_kernelIiLj4ELb0EL18RadixRankAlgorithm0ELj128ELj16ELj10EEvPKT_Pi
	.globl	_Z11rank_kernelIiLj4ELb0EL18RadixRankAlgorithm0ELj128ELj16ELj10EEvPKT_Pi
	.p2align	8
	.type	_Z11rank_kernelIiLj4ELb0EL18RadixRankAlgorithm0ELj128ELj16ELj10EEvPKT_Pi,@function
_Z11rank_kernelIiLj4ELb0EL18RadixRankAlgorithm0ELj128ELj16ELj10EEvPKT_Pi: ; @_Z11rank_kernelIiLj4ELb0EL18RadixRankAlgorithm0ELj128ELj16ELj10EEvPKT_Pi
; %bb.0:
	s_load_b128 s[16:19], s[0:1], 0x0
	s_mov_b32 s11, 0
	s_lshl_b32 s10, s15, 11
	v_dual_mov_b32 v2, 0 :: v_dual_lshlrev_b32 v1, 6, v0
	s_lshl_b64 s[12:13], s[10:11], 2
	v_mbcnt_lo_u32_b32 v5, -1, 0
	v_or_b32_e32 v24, 31, v0
	v_lshrrev_b32_e32 v26, 3, v0
	v_lshlrev_b32_e32 v3, 5, v0
	v_cmp_gt_u32_e32 vcc_lo, 4, v0
	v_add_nc_u32_e32 v25, -1, v5
	v_and_b32_e32 v6, 15, v5
	v_and_b32_e32 v23, 16, v5
	v_and_b32_e32 v27, 3, v5
	v_lshlrev_b32_e32 v4, 2, v0
	v_cmp_gt_i32_e64 s7, 0, v25
	v_cmp_eq_u32_e64 s2, 0, v6
	v_cmp_lt_u32_e64 s3, 1, v6
	v_cmp_lt_u32_e64 s4, 3, v6
	s_waitcnt lgkmcnt(0)
	s_add_u32 s0, s16, s12
	s_addc_u32 s1, s17, s13
	v_cmp_lt_u32_e64 s5, 7, v6
	s_clause 0x3
	global_load_b128 v[7:10], v1, s[0:1]
	global_load_b128 v[11:14], v1, s[0:1] offset:16
	global_load_b128 v[15:18], v1, s[0:1] offset:32
	;; [unrolled: 1-line block ×3, first 2 shown]
	v_cndmask_b32_e64 v6, v25, v5, s7
	v_lshlrev_b32_e32 v1, 4, v0
	v_cmp_lt_u32_e64 s0, 31, v0
	v_cmp_eq_u32_e64 s1, 0, v5
	v_cmp_eq_u32_e64 s6, 0, v23
	;; [unrolled: 1-line block ×3, first 2 shown]
	v_and_b32_e32 v5, 12, v26
	v_cmp_eq_u32_e64 s8, 0, v27
	v_cmp_lt_u32_e64 s9, 1, v27
	v_lshlrev_b32_e32 v6, 2, v6
	v_or_b32_e32 v23, 0xffffff80, v0
	s_waitcnt vmcnt(3)
	v_xor_b32_e32 v7, 0x80000000, v7
	v_xor_b32_e32 v8, 0x80000000, v8
	v_xor_b32_e32 v9, 0x80000000, v9
	v_xor_b32_e32 v10, 0x80000000, v10
	s_waitcnt vmcnt(2)
	v_xor_b32_e32 v11, 0x80000000, v11
	v_xor_b32_e32 v12, 0x80000000, v12
	v_xor_b32_e32 v13, 0x80000000, v13
	v_xor_b32_e32 v14, 0x80000000, v14
	;; [unrolled: 5-line block ×4, first 2 shown]
	s_branch .LBB9_2
.LBB9_1:                                ;   in Loop: Header=BB9_2 Depth=1
	s_add_i32 s11, s11, 1
	s_delay_alu instid0(SALU_CYCLE_1)
	s_cmp_eq_u32 s11, 10
	s_cbranch_scc1 .LBB9_12
.LBB9_2:                                ; =>This Loop Header: Depth=1
                                        ;     Child Loop BB9_4 Depth 2
                                        ;       Child Loop BB9_5 Depth 3
	s_mov_b32 s14, 0
	s_branch .LBB9_4
.LBB9_3:                                ;   in Loop: Header=BB9_4 Depth=2
	s_or_b32 exec_lo, exec_lo, s10
	s_waitcnt lgkmcnt(0)
	v_add_nc_u32_e32 v56, v57, v56
	ds_load_b32 v60, v2 offset:4108
	ds_load_2addr_b32 v[58:59], v3 offset1:1
	s_add_i32 s10, s14, 4
	s_cmp_lt_u32 s14, 28
	s_mov_b32 s14, s10
	ds_bpermute_b32 v56, v6, v56
	s_waitcnt lgkmcnt(0)
	v_cndmask_b32_e64 v61, v56, v57, s1
	ds_load_2addr_b32 v[56:57], v3 offset0:2 offset1:3
	v_lshl_add_u32 v62, v60, 16, v61
	ds_load_2addr_b32 v[60:61], v3 offset0:4 offset1:5
	ds_load_b32 v63, v3 offset:24
	v_add_nc_u32_e32 v58, v62, v58
	s_delay_alu instid0(VALU_DEP_1) | instskip(SKIP_1) | instid1(VALU_DEP_1)
	v_add_nc_u32_e32 v59, v59, v58
	s_waitcnt lgkmcnt(2)
	v_add_nc_u32_e32 v56, v56, v59
	s_delay_alu instid0(VALU_DEP_1) | instskip(SKIP_1) | instid1(VALU_DEP_1)
	v_add_nc_u32_e32 v57, v57, v56
	s_waitcnt lgkmcnt(1)
	;; [unrolled: 4-line block ×3, first 2 shown]
	v_add_nc_u32_e32 v63, v63, v61
	ds_store_2addr_b32 v3, v62, v58 offset1:1
	ds_store_2addr_b32 v3, v59, v56 offset0:2 offset1:3
	ds_store_2addr_b32 v3, v57, v60 offset0:4 offset1:5
	;; [unrolled: 1-line block ×3, first 2 shown]
	s_waitcnt lgkmcnt(0)
	s_barrier
	buffer_gl0_inv
	s_cbranch_scc0 .LBB9_1
.LBB9_4:                                ;   Parent Loop BB9_2 Depth=1
                                        ; =>  This Loop Header: Depth=2
                                        ;       Child Loop BB9_5 Depth 3
	v_dual_mov_b32 v24, v23 :: v_dual_mov_b32 v25, v4
	s_mov_b32 s15, 0
.LBB9_5:                                ;   Parent Loop BB9_2 Depth=1
                                        ;     Parent Loop BB9_4 Depth=2
                                        ; =>    This Inner Loop Header: Depth=3
	s_delay_alu instid0(VALU_DEP_1) | instskip(SKIP_3) | instid1(VALU_DEP_1)
	v_add_nc_u32_e32 v24, 0x80, v24
	ds_store_b32 v25, v2
	v_add_nc_u32_e32 v25, 0x200, v25
	v_cmp_lt_u32_e64 s10, 0x37f, v24
	s_or_b32 s15, s10, s15
	s_delay_alu instid0(SALU_CYCLE_1)
	s_and_not1_b32 exec_lo, exec_lo, s15
	s_cbranch_execnz .LBB9_5
; %bb.6:                                ;   in Loop: Header=BB9_4 Depth=2
	s_or_b32 exec_lo, exec_lo, s15
	s_sub_i32 s10, 28, s14
	s_delay_alu instid0(SALU_CYCLE_1) | instskip(NEXT) | instid1(VALU_DEP_1)
	v_lshlrev_b32_e32 v24, s10, v7
	v_lshrrev_b32_e32 v25, 21, v24
	s_delay_alu instid0(VALU_DEP_1) | instskip(NEXT) | instid1(VALU_DEP_1)
	v_and_or_b32 v25, 0x380, v25, v0
	v_alignbit_b32 v24, v25, v24, 31
	v_lshlrev_b32_e32 v25, s10, v8
	s_delay_alu instid0(VALU_DEP_2) | instskip(NEXT) | instid1(VALU_DEP_2)
	v_lshlrev_b32_e32 v24, 1, v24
	v_lshrrev_b32_e32 v26, 21, v25
	ds_load_u16 v27, v24
	v_and_or_b32 v26, 0x380, v26, v0
	s_delay_alu instid0(VALU_DEP_1) | instskip(NEXT) | instid1(VALU_DEP_1)
	v_alignbit_b32 v25, v26, v25, 31
	v_lshlrev_b32_e32 v25, 1, v25
	s_waitcnt lgkmcnt(0)
	v_add_nc_u16 v26, v27, 1
	ds_store_b16 v24, v26
	ds_load_u16 v29, v25
	v_lshlrev_b32_e32 v26, s10, v9
	s_delay_alu instid0(VALU_DEP_1) | instskip(NEXT) | instid1(VALU_DEP_1)
	v_lshrrev_b32_e32 v28, 21, v26
	v_and_or_b32 v28, 0x380, v28, v0
	s_delay_alu instid0(VALU_DEP_1) | instskip(SKIP_2) | instid1(VALU_DEP_2)
	v_alignbit_b32 v26, v28, v26, 31
	s_waitcnt lgkmcnt(0)
	v_add_nc_u16 v28, v29, 1
	v_lshlrev_b32_e32 v26, 1, v26
	ds_store_b16 v25, v28
	ds_load_u16 v31, v26
	v_lshlrev_b32_e32 v28, s10, v10
	s_delay_alu instid0(VALU_DEP_1) | instskip(NEXT) | instid1(VALU_DEP_1)
	v_lshrrev_b32_e32 v30, 21, v28
	v_and_or_b32 v30, 0x380, v30, v0
	s_delay_alu instid0(VALU_DEP_1) | instskip(SKIP_2) | instid1(VALU_DEP_2)
	v_alignbit_b32 v28, v30, v28, 31
	s_waitcnt lgkmcnt(0)
	v_add_nc_u16 v30, v31, 1
	v_lshlrev_b32_e32 v28, 1, v28
	;; [unrolled: 11-line block ×9, first 2 shown]
	v_lshlrev_b32_e32 v43, s10, v18
	ds_store_b16 v41, v46
	ds_load_u16 v48, v44
	v_lshrrev_b32_e32 v46, 21, v43
	s_delay_alu instid0(VALU_DEP_1) | instskip(NEXT) | instid1(VALU_DEP_1)
	v_and_or_b32 v46, 0x380, v46, v0
	v_alignbit_b32 v43, v46, v43, 31
	s_delay_alu instid0(VALU_DEP_1)
	v_lshlrev_b32_e32 v47, 1, v43
	s_waitcnt lgkmcnt(0)
	v_add_nc_u16 v46, v48, 1
	ds_store_b16 v44, v46
	ds_load_u16 v43, v47
	v_lshlrev_b32_e32 v46, s10, v19
	s_delay_alu instid0(VALU_DEP_1) | instskip(NEXT) | instid1(VALU_DEP_1)
	v_lshrrev_b32_e32 v49, 21, v46
	v_and_or_b32 v49, 0x380, v49, v0
	s_delay_alu instid0(VALU_DEP_1) | instskip(SKIP_2) | instid1(VALU_DEP_2)
	v_alignbit_b32 v46, v49, v46, 31
	s_waitcnt lgkmcnt(0)
	v_add_nc_u16 v49, v43, 1
	v_lshlrev_b32_e32 v50, 1, v46
	ds_store_b16 v47, v49
	ds_load_u16 v46, v50
	v_lshlrev_b32_e32 v49, s10, v20
	s_delay_alu instid0(VALU_DEP_1) | instskip(NEXT) | instid1(VALU_DEP_1)
	v_lshrrev_b32_e32 v51, 21, v49
	v_and_or_b32 v51, 0x380, v51, v0
	s_delay_alu instid0(VALU_DEP_1) | instskip(SKIP_2) | instid1(VALU_DEP_2)
	v_alignbit_b32 v49, v51, v49, 31
	s_waitcnt lgkmcnt(0)
	v_add_nc_u16 v51, v46, 1
	v_lshlrev_b32_e32 v52, 1, v49
	;; [unrolled: 11-line block ×4, first 2 shown]
	ds_store_b16 v54, v56
	ds_load_u16 v53, v55
	s_waitcnt lgkmcnt(0)
	v_add_nc_u16 v56, v53, 1
	ds_store_b16 v55, v56
	s_waitcnt lgkmcnt(0)
	s_barrier
	buffer_gl0_inv
	ds_load_2addr_b32 v[56:57], v3 offset1:1
	ds_load_2addr_b32 v[58:59], v3 offset0:2 offset1:3
	ds_load_2addr_b32 v[60:61], v3 offset0:4 offset1:5
	;; [unrolled: 1-line block ×3, first 2 shown]
	s_waitcnt lgkmcnt(3)
	v_add_nc_u32_e32 v56, v57, v56
	s_waitcnt lgkmcnt(2)
	s_delay_alu instid0(VALU_DEP_1) | instskip(SKIP_1) | instid1(VALU_DEP_1)
	v_add3_u32 v56, v56, v58, v59
	s_waitcnt lgkmcnt(1)
	v_add3_u32 v56, v56, v60, v61
	s_waitcnt lgkmcnt(0)
	s_delay_alu instid0(VALU_DEP_1) | instskip(NEXT) | instid1(VALU_DEP_1)
	v_add3_u32 v56, v56, v62, v63
	v_mov_b32_dpp v57, v56 row_shr:1 row_mask:0xf bank_mask:0xf
	s_delay_alu instid0(VALU_DEP_1) | instskip(NEXT) | instid1(VALU_DEP_1)
	v_cndmask_b32_e64 v57, v57, 0, s2
	v_add_nc_u32_e32 v56, v57, v56
	s_delay_alu instid0(VALU_DEP_1) | instskip(NEXT) | instid1(VALU_DEP_1)
	v_mov_b32_dpp v57, v56 row_shr:2 row_mask:0xf bank_mask:0xf
	v_cndmask_b32_e64 v57, 0, v57, s3
	s_delay_alu instid0(VALU_DEP_1) | instskip(NEXT) | instid1(VALU_DEP_1)
	v_add_nc_u32_e32 v56, v56, v57
	v_mov_b32_dpp v57, v56 row_shr:4 row_mask:0xf bank_mask:0xf
	s_delay_alu instid0(VALU_DEP_1) | instskip(NEXT) | instid1(VALU_DEP_1)
	v_cndmask_b32_e64 v57, 0, v57, s4
	v_add_nc_u32_e32 v56, v56, v57
	s_delay_alu instid0(VALU_DEP_1) | instskip(NEXT) | instid1(VALU_DEP_1)
	v_mov_b32_dpp v57, v56 row_shr:8 row_mask:0xf bank_mask:0xf
	v_cndmask_b32_e64 v57, 0, v57, s5
	s_delay_alu instid0(VALU_DEP_1) | instskip(SKIP_3) | instid1(VALU_DEP_1)
	v_add_nc_u32_e32 v56, v56, v57
	ds_swizzle_b32 v57, v56 offset:swizzle(BROADCAST,32,15)
	s_waitcnt lgkmcnt(0)
	v_cndmask_b32_e64 v57, v57, 0, s6
	v_add_nc_u32_e32 v56, v56, v57
	s_and_saveexec_b32 s10, s7
	s_cbranch_execz .LBB9_8
; %bb.7:                                ;   in Loop: Header=BB9_4 Depth=2
	ds_store_b32 v5, v56 offset:4096
.LBB9_8:                                ;   in Loop: Header=BB9_4 Depth=2
	s_or_b32 exec_lo, exec_lo, s10
	s_waitcnt lgkmcnt(0)
	s_barrier
	buffer_gl0_inv
	s_and_saveexec_b32 s10, vcc_lo
	s_cbranch_execz .LBB9_10
; %bb.9:                                ;   in Loop: Header=BB9_4 Depth=2
	ds_load_b32 v57, v4 offset:4096
	s_waitcnt lgkmcnt(0)
	v_mov_b32_dpp v58, v57 row_shr:1 row_mask:0xf bank_mask:0xf
	s_delay_alu instid0(VALU_DEP_1) | instskip(NEXT) | instid1(VALU_DEP_1)
	v_cndmask_b32_e64 v58, v58, 0, s8
	v_add_nc_u32_e32 v57, v58, v57
	s_delay_alu instid0(VALU_DEP_1) | instskip(NEXT) | instid1(VALU_DEP_1)
	v_mov_b32_dpp v58, v57 row_shr:2 row_mask:0xf bank_mask:0xf
	v_cndmask_b32_e64 v58, 0, v58, s9
	s_delay_alu instid0(VALU_DEP_1)
	v_add_nc_u32_e32 v57, v57, v58
	ds_store_b32 v4, v57 offset:4096
.LBB9_10:                               ;   in Loop: Header=BB9_4 Depth=2
	s_or_b32 exec_lo, exec_lo, s10
	v_mov_b32_e32 v57, 0
	s_waitcnt lgkmcnt(0)
	s_barrier
	buffer_gl0_inv
	s_and_saveexec_b32 s10, s0
	s_cbranch_execz .LBB9_3
; %bb.11:                               ;   in Loop: Header=BB9_4 Depth=2
	ds_load_b32 v57, v5 offset:4092
	s_branch .LBB9_3
.LBB9_12:
	v_and_b32_e32 v0, 0xffff, v27
	v_and_b32_e32 v10, 0xffff, v29
	ds_load_u16 v2, v55
	ds_load_u16 v3, v54
	;; [unrolled: 1-line block ×16, first 2 shown]
	v_and_b32_e32 v14, 0xffff, v31
	v_and_b32_e32 v15, 0xffff, v33
	v_and_b32_e32 v4, 0xffff, v53
	v_and_b32_e32 v30, 0xffff, v51
	v_and_b32_e32 v31, 0xffff, v49
	v_and_b32_e32 v32, 0xffff, v46
	v_and_b32_e32 v33, 0xffff, v43
	v_and_b32_e32 v18, 0xffff, v35
	v_and_b32_e32 v11, 0xffff, v37
	v_and_b32_e32 v12, 0xffff, v38
	v_and_b32_e32 v13, 0xffff, v40
	v_and_b32_e32 v6, 0xffff, v42
	v_and_b32_e32 v7, 0xffff, v45
	v_and_b32_e32 v8, 0xffff, v48
	s_waitcnt lgkmcnt(15)
	v_add_nc_u32_e32 v5, v2, v4
	s_waitcnt lgkmcnt(14)
	v_add_nc_u32_e32 v4, v3, v30
	;; [unrolled: 2-line block ×9, first 2 shown]
	v_lshlrev_b32_e32 v0, 2, v1
	v_add_nc_u32_e32 v13, v22, v13
	v_add_nc_u32_e32 v12, v23, v12
	;; [unrolled: 1-line block ×7, first 2 shown]
	s_add_u32 s0, s18, s12
	s_addc_u32 s1, s19, s13
	s_clause 0x3
	global_store_b128 v0, v[14:17], s[0:1]
	global_store_b128 v0, v[10:13], s[0:1] offset:16
	global_store_b128 v0, v[6:9], s[0:1] offset:32
	;; [unrolled: 1-line block ×3, first 2 shown]
	s_nop 0
	s_sendmsg sendmsg(MSG_DEALLOC_VGPRS)
	s_endpgm
	.section	.rodata,"a",@progbits
	.p2align	6, 0x0
	.amdhsa_kernel _Z11rank_kernelIiLj4ELb0EL18RadixRankAlgorithm0ELj128ELj16ELj10EEvPKT_Pi
		.amdhsa_group_segment_fixed_size 4112
		.amdhsa_private_segment_fixed_size 0
		.amdhsa_kernarg_size 16
		.amdhsa_user_sgpr_count 15
		.amdhsa_user_sgpr_dispatch_ptr 0
		.amdhsa_user_sgpr_queue_ptr 0
		.amdhsa_user_sgpr_kernarg_segment_ptr 1
		.amdhsa_user_sgpr_dispatch_id 0
		.amdhsa_user_sgpr_private_segment_size 0
		.amdhsa_wavefront_size32 1
		.amdhsa_uses_dynamic_stack 0
		.amdhsa_enable_private_segment 0
		.amdhsa_system_sgpr_workgroup_id_x 1
		.amdhsa_system_sgpr_workgroup_id_y 0
		.amdhsa_system_sgpr_workgroup_id_z 0
		.amdhsa_system_sgpr_workgroup_info 0
		.amdhsa_system_vgpr_workitem_id 0
		.amdhsa_next_free_vgpr 64
		.amdhsa_next_free_sgpr 20
		.amdhsa_reserve_vcc 1
		.amdhsa_float_round_mode_32 0
		.amdhsa_float_round_mode_16_64 0
		.amdhsa_float_denorm_mode_32 3
		.amdhsa_float_denorm_mode_16_64 3
		.amdhsa_dx10_clamp 1
		.amdhsa_ieee_mode 1
		.amdhsa_fp16_overflow 0
		.amdhsa_workgroup_processor_mode 1
		.amdhsa_memory_ordered 1
		.amdhsa_forward_progress 0
		.amdhsa_shared_vgpr_count 0
		.amdhsa_exception_fp_ieee_invalid_op 0
		.amdhsa_exception_fp_denorm_src 0
		.amdhsa_exception_fp_ieee_div_zero 0
		.amdhsa_exception_fp_ieee_overflow 0
		.amdhsa_exception_fp_ieee_underflow 0
		.amdhsa_exception_fp_ieee_inexact 0
		.amdhsa_exception_int_div_zero 0
	.end_amdhsa_kernel
	.section	.text._Z11rank_kernelIiLj4ELb0EL18RadixRankAlgorithm0ELj128ELj16ELj10EEvPKT_Pi,"axG",@progbits,_Z11rank_kernelIiLj4ELb0EL18RadixRankAlgorithm0ELj128ELj16ELj10EEvPKT_Pi,comdat
.Lfunc_end9:
	.size	_Z11rank_kernelIiLj4ELb0EL18RadixRankAlgorithm0ELj128ELj16ELj10EEvPKT_Pi, .Lfunc_end9-_Z11rank_kernelIiLj4ELb0EL18RadixRankAlgorithm0ELj128ELj16ELj10EEvPKT_Pi
                                        ; -- End function
	.section	.AMDGPU.csdata,"",@progbits
; Kernel info:
; codeLenInByte = 2572
; NumSgprs: 22
; NumVgprs: 64
; ScratchSize: 0
; MemoryBound: 0
; FloatMode: 240
; IeeeMode: 1
; LDSByteSize: 4112 bytes/workgroup (compile time only)
; SGPRBlocks: 2
; VGPRBlocks: 7
; NumSGPRsForWavesPerEU: 22
; NumVGPRsForWavesPerEU: 64
; Occupancy: 16
; WaveLimiterHint : 0
; COMPUTE_PGM_RSRC2:SCRATCH_EN: 0
; COMPUTE_PGM_RSRC2:USER_SGPR: 15
; COMPUTE_PGM_RSRC2:TRAP_HANDLER: 0
; COMPUTE_PGM_RSRC2:TGID_X_EN: 1
; COMPUTE_PGM_RSRC2:TGID_Y_EN: 0
; COMPUTE_PGM_RSRC2:TGID_Z_EN: 0
; COMPUTE_PGM_RSRC2:TIDIG_COMP_CNT: 0
	.section	.text._Z11rank_kernelIiLj4ELb0EL18RadixRankAlgorithm1ELj128ELj16ELj10EEvPKT_Pi,"axG",@progbits,_Z11rank_kernelIiLj4ELb0EL18RadixRankAlgorithm1ELj128ELj16ELj10EEvPKT_Pi,comdat
	.protected	_Z11rank_kernelIiLj4ELb0EL18RadixRankAlgorithm1ELj128ELj16ELj10EEvPKT_Pi ; -- Begin function _Z11rank_kernelIiLj4ELb0EL18RadixRankAlgorithm1ELj128ELj16ELj10EEvPKT_Pi
	.globl	_Z11rank_kernelIiLj4ELb0EL18RadixRankAlgorithm1ELj128ELj16ELj10EEvPKT_Pi
	.p2align	8
	.type	_Z11rank_kernelIiLj4ELb0EL18RadixRankAlgorithm1ELj128ELj16ELj10EEvPKT_Pi,@function
_Z11rank_kernelIiLj4ELb0EL18RadixRankAlgorithm1ELj128ELj16ELj10EEvPKT_Pi: ; @_Z11rank_kernelIiLj4ELb0EL18RadixRankAlgorithm1ELj128ELj16ELj10EEvPKT_Pi
; %bb.0:
	s_load_b128 s[16:19], s[0:1], 0x0
	s_mov_b32 s11, 0
	s_lshl_b32 s10, s15, 11
	v_dual_mov_b32 v10, 0 :: v_dual_lshlrev_b32 v9, 6, v0
	s_lshl_b64 s[12:13], s[10:11], 2
	v_mbcnt_lo_u32_b32 v13, -1, 0
	v_or_b32_e32 v16, 31, v0
	v_lshrrev_b32_e32 v18, 3, v0
	v_lshlrev_b32_e32 v11, 5, v0
	v_cmp_gt_u32_e32 vcc_lo, 4, v0
	v_add_nc_u32_e32 v17, -1, v13
	v_and_b32_e32 v14, 15, v13
	v_and_b32_e32 v15, 16, v13
	;; [unrolled: 1-line block ×3, first 2 shown]
	v_lshlrev_b32_e32 v12, 2, v0
	v_cmp_gt_i32_e64 s7, 0, v17
	v_cmp_eq_u32_e64 s2, 0, v14
	v_cmp_lt_u32_e64 s3, 1, v14
	v_cmp_lt_u32_e64 s4, 3, v14
	s_waitcnt lgkmcnt(0)
	s_add_u32 s0, s16, s12
	s_addc_u32 s1, s17, s13
	v_cmp_lt_u32_e64 s5, 7, v14
	s_clause 0x3
	global_load_b128 v[1:4], v9, s[0:1]
	global_load_b128 v[5:8], v9, s[0:1] offset:16
	global_load_b128 v[23:26], v9, s[0:1] offset:32
	;; [unrolled: 1-line block ×3, first 2 shown]
	v_cndmask_b32_e64 v14, v17, v13, s7
	v_lshlrev_b32_e32 v9, 4, v0
	v_cmp_lt_u32_e64 s0, 31, v0
	v_cmp_eq_u32_e64 s1, 0, v13
	v_cmp_eq_u32_e64 s6, 0, v15
	;; [unrolled: 1-line block ×3, first 2 shown]
	v_and_b32_e32 v13, 12, v18
	v_cmp_eq_u32_e64 s8, 0, v19
	v_cmp_lt_u32_e64 s9, 1, v19
	v_lshlrev_b32_e32 v14, 2, v14
	v_or_b32_e32 v31, 0xffffff80, v0
	s_waitcnt vmcnt(3)
	v_xor_b32_e32 v15, 0x80000000, v1
	v_xor_b32_e32 v16, 0x80000000, v2
	v_xor_b32_e32 v17, 0x80000000, v3
	v_xor_b32_e32 v18, 0x80000000, v4
	s_waitcnt vmcnt(2)
	v_xor_b32_e32 v19, 0x80000000, v5
	v_xor_b32_e32 v20, 0x80000000, v6
	v_xor_b32_e32 v21, 0x80000000, v7
	v_xor_b32_e32 v22, 0x80000000, v8
	;; [unrolled: 5-line block ×4, first 2 shown]
	s_branch .LBB10_2
.LBB10_1:                               ;   in Loop: Header=BB10_2 Depth=1
	s_add_i32 s11, s11, 1
	s_delay_alu instid0(SALU_CYCLE_1)
	s_cmp_eq_u32 s11, 10
	s_cbranch_scc1 .LBB10_12
.LBB10_2:                               ; =>This Loop Header: Depth=1
                                        ;     Child Loop BB10_4 Depth 2
                                        ;       Child Loop BB10_5 Depth 3
	s_mov_b32 s14, 0
	s_branch .LBB10_4
.LBB10_3:                               ;   in Loop: Header=BB10_4 Depth=2
	s_or_b32 exec_lo, exec_lo, s10
	s_waitcnt lgkmcnt(0)
	v_add_nc_u32_e32 v2, v64, v2
	ds_load_b32 v65, v10 offset:4108
	s_add_i32 s10, s14, 4
	s_cmp_lt_u32 s14, 28
	s_mov_b32 s14, s10
	ds_bpermute_b32 v2, v14, v2
	s_waitcnt lgkmcnt(0)
	v_cndmask_b32_e64 v2, v2, v64, s1
	s_delay_alu instid0(VALU_DEP_1) | instskip(NEXT) | instid1(VALU_DEP_1)
	v_lshl_add_u32 v2, v65, 16, v2
	v_add_nc_u32_e32 v7, v2, v7
	s_delay_alu instid0(VALU_DEP_1) | instskip(NEXT) | instid1(VALU_DEP_1)
	v_add_nc_u32_e32 v8, v7, v8
	v_add_nc_u32_e32 v5, v8, v5
	s_delay_alu instid0(VALU_DEP_1) | instskip(NEXT) | instid1(VALU_DEP_1)
	v_add_nc_u32_e32 v6, v5, v6
	;; [unrolled: 3-line block ×3, first 2 shown]
	v_add_nc_u32_e32 v1, v4, v1
	ds_store_2addr_b32 v11, v2, v7 offset1:1
	ds_store_2addr_b32 v11, v8, v5 offset0:2 offset1:3
	ds_store_2addr_b32 v11, v6, v3 offset0:4 offset1:5
	;; [unrolled: 1-line block ×3, first 2 shown]
	s_waitcnt lgkmcnt(0)
	s_barrier
	buffer_gl0_inv
	s_cbranch_scc0 .LBB10_1
.LBB10_4:                               ;   Parent Loop BB10_2 Depth=1
                                        ; =>  This Loop Header: Depth=2
                                        ;       Child Loop BB10_5 Depth 3
	v_dual_mov_b32 v1, v31 :: v_dual_mov_b32 v2, v12
	s_mov_b32 s15, 0
.LBB10_5:                               ;   Parent Loop BB10_2 Depth=1
                                        ;     Parent Loop BB10_4 Depth=2
                                        ; =>    This Inner Loop Header: Depth=3
	s_delay_alu instid0(VALU_DEP_1) | instskip(SKIP_3) | instid1(VALU_DEP_1)
	v_add_nc_u32_e32 v1, 0x80, v1
	ds_store_b32 v2, v10
	v_add_nc_u32_e32 v2, 0x200, v2
	v_cmp_lt_u32_e64 s10, 0x37f, v1
	s_or_b32 s15, s10, s15
	s_delay_alu instid0(SALU_CYCLE_1)
	s_and_not1_b32 exec_lo, exec_lo, s15
	s_cbranch_execnz .LBB10_5
; %bb.6:                                ;   in Loop: Header=BB10_4 Depth=2
	s_or_b32 exec_lo, exec_lo, s15
	s_sub_i32 s10, 28, s14
	s_delay_alu instid0(SALU_CYCLE_1) | instskip(NEXT) | instid1(VALU_DEP_1)
	v_lshlrev_b32_e32 v1, s10, v15
	v_lshrrev_b32_e32 v2, 21, v1
	s_delay_alu instid0(VALU_DEP_1) | instskip(NEXT) | instid1(VALU_DEP_1)
	v_and_or_b32 v2, 0x380, v2, v0
	v_alignbit_b32 v1, v2, v1, 31
	s_delay_alu instid0(VALU_DEP_1) | instskip(SKIP_3) | instid1(VALU_DEP_1)
	v_lshlrev_b32_e32 v32, 1, v1
	v_lshlrev_b32_e32 v1, s10, v16
	ds_load_u16 v35, v32
	v_lshrrev_b32_e32 v2, 21, v1
	v_and_or_b32 v2, 0x380, v2, v0
	s_delay_alu instid0(VALU_DEP_1) | instskip(NEXT) | instid1(VALU_DEP_1)
	v_alignbit_b32 v1, v2, v1, 31
	v_lshlrev_b32_e32 v33, 1, v1
	v_lshlrev_b32_e32 v1, s10, v17
	s_waitcnt lgkmcnt(0)
	v_add_nc_u16 v2, v35, 1
	ds_store_b16 v32, v2
	ds_load_u16 v37, v33
	v_lshrrev_b32_e32 v2, 21, v1
	s_delay_alu instid0(VALU_DEP_1) | instskip(NEXT) | instid1(VALU_DEP_1)
	v_and_or_b32 v2, 0x380, v2, v0
	v_alignbit_b32 v1, v2, v1, 31
	s_delay_alu instid0(VALU_DEP_1)
	v_lshlrev_b32_e32 v34, 1, v1
	v_lshlrev_b32_e32 v1, s10, v18
	s_waitcnt lgkmcnt(0)
	v_add_nc_u16 v2, v37, 1
	ds_store_b16 v33, v2
	ds_load_u16 v39, v34
	v_lshrrev_b32_e32 v2, 21, v1
	s_delay_alu instid0(VALU_DEP_1) | instskip(NEXT) | instid1(VALU_DEP_1)
	v_and_or_b32 v2, 0x380, v2, v0
	v_alignbit_b32 v1, v2, v1, 31
	s_delay_alu instid0(VALU_DEP_1)
	v_lshlrev_b32_e32 v36, 1, v1
	v_lshlrev_b32_e32 v1, s10, v19
	s_waitcnt lgkmcnt(0)
	v_add_nc_u16 v2, v39, 1
	ds_store_b16 v34, v2
	ds_load_u16 v41, v36
	v_lshrrev_b32_e32 v2, 21, v1
	s_delay_alu instid0(VALU_DEP_1) | instskip(NEXT) | instid1(VALU_DEP_1)
	v_and_or_b32 v2, 0x380, v2, v0
	v_alignbit_b32 v1, v2, v1, 31
	s_delay_alu instid0(VALU_DEP_1)
	v_lshlrev_b32_e32 v38, 1, v1
	v_lshlrev_b32_e32 v1, s10, v20
	s_waitcnt lgkmcnt(0)
	v_add_nc_u16 v2, v41, 1
	ds_store_b16 v36, v2
	ds_load_u16 v43, v38
	v_lshrrev_b32_e32 v2, 21, v1
	s_delay_alu instid0(VALU_DEP_1) | instskip(NEXT) | instid1(VALU_DEP_1)
	v_and_or_b32 v2, 0x380, v2, v0
	v_alignbit_b32 v1, v2, v1, 31
	s_delay_alu instid0(VALU_DEP_1)
	v_lshlrev_b32_e32 v40, 1, v1
	v_lshlrev_b32_e32 v1, s10, v21
	s_waitcnt lgkmcnt(0)
	v_add_nc_u16 v2, v43, 1
	ds_store_b16 v38, v2
	ds_load_u16 v45, v40
	v_lshrrev_b32_e32 v2, 21, v1
	s_delay_alu instid0(VALU_DEP_1) | instskip(NEXT) | instid1(VALU_DEP_1)
	v_and_or_b32 v2, 0x380, v2, v0
	v_alignbit_b32 v1, v2, v1, 31
	s_delay_alu instid0(VALU_DEP_1)
	v_lshlrev_b32_e32 v42, 1, v1
	v_lshlrev_b32_e32 v1, s10, v22
	s_waitcnt lgkmcnt(0)
	v_add_nc_u16 v2, v45, 1
	ds_store_b16 v40, v2
	ds_load_u16 v46, v42
	v_lshrrev_b32_e32 v2, 21, v1
	s_delay_alu instid0(VALU_DEP_1) | instskip(NEXT) | instid1(VALU_DEP_1)
	v_and_or_b32 v2, 0x380, v2, v0
	v_alignbit_b32 v1, v2, v1, 31
	s_delay_alu instid0(VALU_DEP_1)
	v_lshlrev_b32_e32 v44, 1, v1
	v_lshlrev_b32_e32 v1, s10, v23
	s_waitcnt lgkmcnt(0)
	v_add_nc_u16 v2, v46, 1
	ds_store_b16 v42, v2
	ds_load_u16 v48, v44
	v_lshrrev_b32_e32 v2, 21, v1
	s_delay_alu instid0(VALU_DEP_1) | instskip(NEXT) | instid1(VALU_DEP_1)
	v_and_or_b32 v2, 0x380, v2, v0
	v_alignbit_b32 v1, v2, v1, 31
	s_delay_alu instid0(VALU_DEP_1)
	v_lshlrev_b32_e32 v47, 1, v1
	v_lshlrev_b32_e32 v1, s10, v24
	s_waitcnt lgkmcnt(0)
	v_add_nc_u16 v2, v48, 1
	ds_store_b16 v44, v2
	ds_load_u16 v50, v47
	v_lshrrev_b32_e32 v2, 21, v1
	s_delay_alu instid0(VALU_DEP_1) | instskip(NEXT) | instid1(VALU_DEP_1)
	v_and_or_b32 v2, 0x380, v2, v0
	v_alignbit_b32 v1, v2, v1, 31
	s_delay_alu instid0(VALU_DEP_1)
	v_lshlrev_b32_e32 v49, 1, v1
	v_lshlrev_b32_e32 v1, s10, v25
	s_waitcnt lgkmcnt(0)
	v_add_nc_u16 v2, v50, 1
	ds_store_b16 v47, v2
	ds_load_u16 v53, v49
	v_lshrrev_b32_e32 v2, 21, v1
	s_delay_alu instid0(VALU_DEP_1) | instskip(NEXT) | instid1(VALU_DEP_1)
	v_and_or_b32 v2, 0x380, v2, v0
	v_alignbit_b32 v1, v2, v1, 31
	s_delay_alu instid0(VALU_DEP_1)
	v_lshlrev_b32_e32 v52, 1, v1
	v_lshlrev_b32_e32 v1, s10, v26
	s_waitcnt lgkmcnt(0)
	v_add_nc_u16 v2, v53, 1
	ds_store_b16 v49, v2
	ds_load_u16 v56, v52
	v_lshrrev_b32_e32 v2, 21, v1
	s_delay_alu instid0(VALU_DEP_1) | instskip(NEXT) | instid1(VALU_DEP_1)
	v_and_or_b32 v2, 0x380, v2, v0
	v_alignbit_b32 v1, v2, v1, 31
	s_delay_alu instid0(VALU_DEP_1)
	v_lshlrev_b32_e32 v55, 1, v1
	v_lshlrev_b32_e32 v1, s10, v27
	s_waitcnt lgkmcnt(0)
	v_add_nc_u16 v2, v56, 1
	ds_store_b16 v52, v2
	ds_load_u16 v51, v55
	v_lshrrev_b32_e32 v2, 21, v1
	s_delay_alu instid0(VALU_DEP_1) | instskip(NEXT) | instid1(VALU_DEP_1)
	v_and_or_b32 v2, 0x380, v2, v0
	v_alignbit_b32 v1, v2, v1, 31
	s_delay_alu instid0(VALU_DEP_1)
	v_lshlrev_b32_e32 v58, 1, v1
	v_lshlrev_b32_e32 v1, s10, v28
	s_waitcnt lgkmcnt(0)
	v_add_nc_u16 v2, v51, 1
	ds_store_b16 v55, v2
	ds_load_u16 v54, v58
	v_lshrrev_b32_e32 v2, 21, v1
	s_delay_alu instid0(VALU_DEP_1) | instskip(NEXT) | instid1(VALU_DEP_1)
	v_and_or_b32 v2, 0x380, v2, v0
	v_alignbit_b32 v1, v2, v1, 31
	s_delay_alu instid0(VALU_DEP_1)
	v_lshlrev_b32_e32 v60, 1, v1
	v_lshlrev_b32_e32 v1, s10, v29
	s_waitcnt lgkmcnt(0)
	v_add_nc_u16 v2, v54, 1
	ds_store_b16 v58, v2
	ds_load_u16 v57, v60
	v_lshrrev_b32_e32 v2, 21, v1
	s_delay_alu instid0(VALU_DEP_1) | instskip(NEXT) | instid1(VALU_DEP_1)
	v_and_or_b32 v2, 0x380, v2, v0
	v_alignbit_b32 v1, v2, v1, 31
	s_delay_alu instid0(VALU_DEP_1)
	v_lshlrev_b32_e32 v62, 1, v1
	v_lshlrev_b32_e32 v1, s10, v30
	s_waitcnt lgkmcnt(0)
	v_add_nc_u16 v2, v57, 1
	ds_store_b16 v60, v2
	ds_load_u16 v59, v62
	v_lshrrev_b32_e32 v2, 21, v1
	s_delay_alu instid0(VALU_DEP_1) | instskip(NEXT) | instid1(VALU_DEP_1)
	v_and_or_b32 v2, 0x380, v2, v0
	v_alignbit_b32 v1, v2, v1, 31
	s_delay_alu instid0(VALU_DEP_1)
	v_lshlrev_b32_e32 v63, 1, v1
	s_waitcnt lgkmcnt(0)
	v_add_nc_u16 v2, v59, 1
	ds_store_b16 v62, v2
	ds_load_u16 v61, v63
	s_waitcnt lgkmcnt(0)
	v_add_nc_u16 v1, v61, 1
	ds_store_b16 v63, v1
	s_waitcnt lgkmcnt(0)
	s_barrier
	buffer_gl0_inv
	ds_load_2addr_b32 v[7:8], v11 offset1:1
	ds_load_2addr_b32 v[5:6], v11 offset0:2 offset1:3
	ds_load_2addr_b32 v[3:4], v11 offset0:4 offset1:5
	;; [unrolled: 1-line block ×3, first 2 shown]
	s_waitcnt lgkmcnt(3)
	v_add_nc_u32_e32 v64, v8, v7
	s_waitcnt lgkmcnt(2)
	s_delay_alu instid0(VALU_DEP_1) | instskip(SKIP_1) | instid1(VALU_DEP_1)
	v_add3_u32 v64, v64, v5, v6
	s_waitcnt lgkmcnt(1)
	v_add3_u32 v64, v64, v3, v4
	s_waitcnt lgkmcnt(0)
	s_delay_alu instid0(VALU_DEP_1) | instskip(NEXT) | instid1(VALU_DEP_1)
	v_add3_u32 v2, v64, v1, v2
	v_mov_b32_dpp v64, v2 row_shr:1 row_mask:0xf bank_mask:0xf
	s_delay_alu instid0(VALU_DEP_1) | instskip(NEXT) | instid1(VALU_DEP_1)
	v_cndmask_b32_e64 v64, v64, 0, s2
	v_add_nc_u32_e32 v2, v64, v2
	s_delay_alu instid0(VALU_DEP_1) | instskip(NEXT) | instid1(VALU_DEP_1)
	v_mov_b32_dpp v64, v2 row_shr:2 row_mask:0xf bank_mask:0xf
	v_cndmask_b32_e64 v64, 0, v64, s3
	s_delay_alu instid0(VALU_DEP_1) | instskip(NEXT) | instid1(VALU_DEP_1)
	v_add_nc_u32_e32 v2, v2, v64
	v_mov_b32_dpp v64, v2 row_shr:4 row_mask:0xf bank_mask:0xf
	s_delay_alu instid0(VALU_DEP_1) | instskip(NEXT) | instid1(VALU_DEP_1)
	v_cndmask_b32_e64 v64, 0, v64, s4
	v_add_nc_u32_e32 v2, v2, v64
	s_delay_alu instid0(VALU_DEP_1) | instskip(NEXT) | instid1(VALU_DEP_1)
	v_mov_b32_dpp v64, v2 row_shr:8 row_mask:0xf bank_mask:0xf
	v_cndmask_b32_e64 v64, 0, v64, s5
	s_delay_alu instid0(VALU_DEP_1) | instskip(SKIP_3) | instid1(VALU_DEP_1)
	v_add_nc_u32_e32 v2, v2, v64
	ds_swizzle_b32 v64, v2 offset:swizzle(BROADCAST,32,15)
	s_waitcnt lgkmcnt(0)
	v_cndmask_b32_e64 v64, v64, 0, s6
	v_add_nc_u32_e32 v2, v2, v64
	s_and_saveexec_b32 s10, s7
	s_cbranch_execz .LBB10_8
; %bb.7:                                ;   in Loop: Header=BB10_4 Depth=2
	ds_store_b32 v13, v2 offset:4096
.LBB10_8:                               ;   in Loop: Header=BB10_4 Depth=2
	s_or_b32 exec_lo, exec_lo, s10
	s_waitcnt lgkmcnt(0)
	s_barrier
	buffer_gl0_inv
	s_and_saveexec_b32 s10, vcc_lo
	s_cbranch_execz .LBB10_10
; %bb.9:                                ;   in Loop: Header=BB10_4 Depth=2
	ds_load_b32 v64, v12 offset:4096
	s_waitcnt lgkmcnt(0)
	v_mov_b32_dpp v65, v64 row_shr:1 row_mask:0xf bank_mask:0xf
	s_delay_alu instid0(VALU_DEP_1) | instskip(NEXT) | instid1(VALU_DEP_1)
	v_cndmask_b32_e64 v65, v65, 0, s8
	v_add_nc_u32_e32 v64, v65, v64
	s_delay_alu instid0(VALU_DEP_1) | instskip(NEXT) | instid1(VALU_DEP_1)
	v_mov_b32_dpp v65, v64 row_shr:2 row_mask:0xf bank_mask:0xf
	v_cndmask_b32_e64 v65, 0, v65, s9
	s_delay_alu instid0(VALU_DEP_1)
	v_add_nc_u32_e32 v64, v64, v65
	ds_store_b32 v12, v64 offset:4096
.LBB10_10:                              ;   in Loop: Header=BB10_4 Depth=2
	s_or_b32 exec_lo, exec_lo, s10
	v_mov_b32_e32 v64, 0
	s_waitcnt lgkmcnt(0)
	s_barrier
	buffer_gl0_inv
	s_and_saveexec_b32 s10, s0
	s_cbranch_execz .LBB10_3
; %bb.11:                               ;   in Loop: Header=BB10_4 Depth=2
	ds_load_b32 v64, v13 offset:4092
	s_branch .LBB10_3
.LBB10_12:
	ds_load_u16 v0, v63
	ds_load_u16 v1, v62
	;; [unrolled: 1-line block ×16, first 2 shown]
	v_and_b32_e32 v8, 0xffff, v35
	v_and_b32_e32 v13, 0xffff, v37
	;; [unrolled: 1-line block ×16, first 2 shown]
	s_waitcnt lgkmcnt(15)
	v_add_nc_u32_e32 v3, v0, v2
	s_waitcnt lgkmcnt(12)
	v_add_nc_u32_e32 v0, v16, v32
	;; [unrolled: 2-line block ×6, first 2 shown]
	v_lshlrev_b32_e32 v8, 2, v9
	v_add_nc_u32_e32 v12, v22, v12
	v_add_nc_u32_e32 v11, v23, v11
	;; [unrolled: 1-line block ×10, first 2 shown]
	s_add_u32 s0, s18, s12
	s_addc_u32 s1, s19, s13
	s_clause 0x3
	global_store_b128 v8, v[13:16], s[0:1]
	global_store_b128 v8, v[9:12], s[0:1] offset:16
	global_store_b128 v8, v[4:7], s[0:1] offset:32
	;; [unrolled: 1-line block ×3, first 2 shown]
	s_nop 0
	s_sendmsg sendmsg(MSG_DEALLOC_VGPRS)
	s_endpgm
	.section	.rodata,"a",@progbits
	.p2align	6, 0x0
	.amdhsa_kernel _Z11rank_kernelIiLj4ELb0EL18RadixRankAlgorithm1ELj128ELj16ELj10EEvPKT_Pi
		.amdhsa_group_segment_fixed_size 4112
		.amdhsa_private_segment_fixed_size 0
		.amdhsa_kernarg_size 16
		.amdhsa_user_sgpr_count 15
		.amdhsa_user_sgpr_dispatch_ptr 0
		.amdhsa_user_sgpr_queue_ptr 0
		.amdhsa_user_sgpr_kernarg_segment_ptr 1
		.amdhsa_user_sgpr_dispatch_id 0
		.amdhsa_user_sgpr_private_segment_size 0
		.amdhsa_wavefront_size32 1
		.amdhsa_uses_dynamic_stack 0
		.amdhsa_enable_private_segment 0
		.amdhsa_system_sgpr_workgroup_id_x 1
		.amdhsa_system_sgpr_workgroup_id_y 0
		.amdhsa_system_sgpr_workgroup_id_z 0
		.amdhsa_system_sgpr_workgroup_info 0
		.amdhsa_system_vgpr_workitem_id 0
		.amdhsa_next_free_vgpr 66
		.amdhsa_next_free_sgpr 20
		.amdhsa_reserve_vcc 1
		.amdhsa_float_round_mode_32 0
		.amdhsa_float_round_mode_16_64 0
		.amdhsa_float_denorm_mode_32 3
		.amdhsa_float_denorm_mode_16_64 3
		.amdhsa_dx10_clamp 1
		.amdhsa_ieee_mode 1
		.amdhsa_fp16_overflow 0
		.amdhsa_workgroup_processor_mode 1
		.amdhsa_memory_ordered 1
		.amdhsa_forward_progress 0
		.amdhsa_shared_vgpr_count 0
		.amdhsa_exception_fp_ieee_invalid_op 0
		.amdhsa_exception_fp_denorm_src 0
		.amdhsa_exception_fp_ieee_div_zero 0
		.amdhsa_exception_fp_ieee_overflow 0
		.amdhsa_exception_fp_ieee_underflow 0
		.amdhsa_exception_fp_ieee_inexact 0
		.amdhsa_exception_int_div_zero 0
	.end_amdhsa_kernel
	.section	.text._Z11rank_kernelIiLj4ELb0EL18RadixRankAlgorithm1ELj128ELj16ELj10EEvPKT_Pi,"axG",@progbits,_Z11rank_kernelIiLj4ELb0EL18RadixRankAlgorithm1ELj128ELj16ELj10EEvPKT_Pi,comdat
.Lfunc_end10:
	.size	_Z11rank_kernelIiLj4ELb0EL18RadixRankAlgorithm1ELj128ELj16ELj10EEvPKT_Pi, .Lfunc_end10-_Z11rank_kernelIiLj4ELb0EL18RadixRankAlgorithm1ELj128ELj16ELj10EEvPKT_Pi
                                        ; -- End function
	.section	.AMDGPU.csdata,"",@progbits
; Kernel info:
; codeLenInByte = 2520
; NumSgprs: 22
; NumVgprs: 66
; ScratchSize: 0
; MemoryBound: 0
; FloatMode: 240
; IeeeMode: 1
; LDSByteSize: 4112 bytes/workgroup (compile time only)
; SGPRBlocks: 2
; VGPRBlocks: 8
; NumSGPRsForWavesPerEU: 22
; NumVGPRsForWavesPerEU: 66
; Occupancy: 16
; WaveLimiterHint : 0
; COMPUTE_PGM_RSRC2:SCRATCH_EN: 0
; COMPUTE_PGM_RSRC2:USER_SGPR: 15
; COMPUTE_PGM_RSRC2:TRAP_HANDLER: 0
; COMPUTE_PGM_RSRC2:TGID_X_EN: 1
; COMPUTE_PGM_RSRC2:TGID_Y_EN: 0
; COMPUTE_PGM_RSRC2:TGID_Z_EN: 0
; COMPUTE_PGM_RSRC2:TIDIG_COMP_CNT: 0
	.section	.text._Z11rank_kernelIiLj4ELb0EL18RadixRankAlgorithm2ELj128ELj16ELj10EEvPKT_Pi,"axG",@progbits,_Z11rank_kernelIiLj4ELb0EL18RadixRankAlgorithm2ELj128ELj16ELj10EEvPKT_Pi,comdat
	.protected	_Z11rank_kernelIiLj4ELb0EL18RadixRankAlgorithm2ELj128ELj16ELj10EEvPKT_Pi ; -- Begin function _Z11rank_kernelIiLj4ELb0EL18RadixRankAlgorithm2ELj128ELj16ELj10EEvPKT_Pi
	.globl	_Z11rank_kernelIiLj4ELb0EL18RadixRankAlgorithm2ELj128ELj16ELj10EEvPKT_Pi
	.p2align	8
	.type	_Z11rank_kernelIiLj4ELb0EL18RadixRankAlgorithm2ELj128ELj16ELj10EEvPKT_Pi,@function
_Z11rank_kernelIiLj4ELb0EL18RadixRankAlgorithm2ELj128ELj16ELj10EEvPKT_Pi: ; @_Z11rank_kernelIiLj4ELb0EL18RadixRankAlgorithm2ELj128ELj16ELj10EEvPKT_Pi
; %bb.0:
	s_clause 0x1
	s_load_b128 s[16:19], s[0:1], 0x0
	s_load_b32 s7, s[0:1], 0x1c
	v_and_b32_e32 v3, 0x3ff, v0
	s_mov_b32 s21, 0
	s_lshl_b32 s20, s15, 11
	v_mbcnt_lo_u32_b32 v4, -1, 0
	s_lshl_b64 s[12:13], s[20:21], 2
	v_lshlrev_b32_e32 v1, 6, v3
	v_bfe_u32 v5, v0, 10, 10
	v_bfe_u32 v22, v0, 20, 10
	v_and_b32_e32 v23, 15, v4
	v_add_nc_u32_e32 v25, -1, v4
	v_cmp_eq_u32_e32 vcc_lo, 0, v4
	v_and_b32_e32 v26, 3, v4
	v_lshlrev_b32_e32 v0, 4, v3
	v_cmp_lt_u32_e64 s2, 3, v23
	v_cmp_lt_u32_e64 s3, 7, v23
	v_lshlrev_b32_e32 v2, 2, v3
	v_cmp_lt_u32_e64 s6, 31, v3
	v_cmp_lt_u32_e64 s8, 1, v26
	s_waitcnt lgkmcnt(0)
	s_add_u32 s0, s16, s12
	s_addc_u32 s1, s17, s13
	s_lshr_b32 s5, s7, 16
	s_clause 0x3
	global_load_b128 v[6:9], v1, s[0:1]
	global_load_b128 v[10:13], v1, s[0:1] offset:16
	global_load_b128 v[14:17], v1, s[0:1] offset:32
	;; [unrolled: 1-line block ×3, first 2 shown]
	v_mad_u32_u24 v5, v22, s5, v5
	s_and_b32 s7, s7, 0xffff
	v_dual_mov_b32 v1, 0 :: v_dual_and_b32 v24, 16, v4
	v_cmp_eq_u32_e64 s0, 0, v23
	v_cmp_lt_u32_e64 s1, 1, v23
	v_mad_u64_u32 v[22:23], null, v5, s7, v[3:4]
	v_cmp_gt_i32_e64 s7, 0, v25
	v_cmp_eq_u32_e64 s4, 0, v24
	v_or_b32_e32 v24, 31, v3
	v_lshrrev_b32_e32 v5, 3, v3
	v_cmp_gt_u32_e64 s5, 4, v3
	v_cndmask_b32_e64 v4, v25, v4, s7
	v_cmp_eq_u32_e64 s7, 0, v26
	v_cmp_eq_u32_e64 s9, v24, v3
	s_delay_alu instid0(VALU_DEP_3) | instskip(SKIP_2) | instid1(VALU_DEP_2)
	v_lshlrev_b32_e32 v3, 2, v4
	v_and_b32_e32 v4, 12, v5
	v_lshrrev_b32_e32 v5, 5, v22
	v_add_nc_u32_e32 v22, -4, v4
	s_waitcnt vmcnt(3)
	v_xor_b32_e32 v6, 0x80000000, v6
	v_xor_b32_e32 v7, 0x80000000, v7
	v_xor_b32_e32 v8, 0x80000000, v8
	v_xor_b32_e32 v9, 0x80000000, v9
	s_waitcnt vmcnt(2)
	v_xor_b32_e32 v10, 0x80000000, v10
	v_xor_b32_e32 v11, 0x80000000, v11
	v_xor_b32_e32 v12, 0x80000000, v12
	v_xor_b32_e32 v13, 0x80000000, v13
	s_waitcnt vmcnt(1)
	v_xor_b32_e32 v14, 0x80000000, v14
	v_xor_b32_e32 v15, 0x80000000, v15
	v_xor_b32_e32 v16, 0x80000000, v16
	v_xor_b32_e32 v17, 0x80000000, v17
	s_waitcnt vmcnt(0)
	v_xor_b32_e32 v18, 0x80000000, v18
	v_xor_b32_e32 v19, 0x80000000, v19
	v_xor_b32_e32 v20, 0x80000000, v20
	v_xor_b32_e32 v21, 0x80000000, v21
	s_branch .LBB11_2
.LBB11_1:                               ;   in Loop: Header=BB11_2 Depth=1
	s_add_i32 s21, s21, 1
	s_delay_alu instid0(SALU_CYCLE_1)
	s_cmp_eq_u32 s21, 10
	s_cbranch_scc1 .LBB11_42
.LBB11_2:                               ; =>This Loop Header: Depth=1
                                        ;     Child Loop BB11_4 Depth 2
	s_mov_b32 s14, -4
	s_mov_b32 s15, 28
	s_branch .LBB11_4
.LBB11_3:                               ;   in Loop: Header=BB11_4 Depth=2
	s_or_b32 exec_lo, exec_lo, s10
	s_waitcnt lgkmcnt(0)
	v_add_nc_u32_e32 v70, v71, v70
	s_add_i32 s14, s14, 4
	s_add_i32 s15, s15, -4
	s_cmp_lt_u32 s14, 28
	ds_bpermute_b32 v70, v3, v70
	s_waitcnt lgkmcnt(0)
	v_cndmask_b32_e32 v70, v70, v71, vcc_lo
	ds_store_b32 v2, v70 offset:16
	s_waitcnt lgkmcnt(0)
	s_barrier
	buffer_gl0_inv
	s_cbranch_scc0 .LBB11_1
.LBB11_4:                               ;   Parent Loop BB11_2 Depth=1
                                        ; =>  This Inner Loop Header: Depth=2
	v_lshlrev_b32_e32 v23, s15, v6
	ds_store_b32 v2, v1 offset:16
	s_waitcnt lgkmcnt(0)
	s_barrier
	buffer_gl0_inv
	v_bfe_u32 v24, v23, 28, 1
	v_lshrrev_b32_e32 v26, 28, v23
	v_not_b32_e32 v29, v23
	; wave barrier
	s_delay_alu instid0(VALU_DEP_3) | instskip(NEXT) | instid1(VALU_DEP_1)
	v_add_co_u32 v24, s10, v24, -1
	v_cndmask_b32_e64 v25, 0, 1, s10
	s_delay_alu instid0(VALU_DEP_4) | instskip(SKIP_1) | instid1(VALU_DEP_3)
	v_lshlrev_b32_e32 v27, 30, v26
	v_lshlrev_b32_e32 v28, 29, v26
	v_cmp_ne_u32_e64 s10, 0, v25
	s_delay_alu instid0(VALU_DEP_3) | instskip(SKIP_1) | instid1(VALU_DEP_4)
	v_not_b32_e32 v25, v27
	v_cmp_gt_i32_e64 s11, 0, v27
	v_not_b32_e32 v27, v28
	s_delay_alu instid0(VALU_DEP_4) | instskip(NEXT) | instid1(VALU_DEP_4)
	v_xor_b32_e32 v24, s10, v24
	v_ashrrev_i32_e32 v25, 31, v25
	v_cmp_gt_i32_e64 s10, 0, v28
	s_delay_alu instid0(VALU_DEP_4) | instskip(NEXT) | instid1(VALU_DEP_4)
	v_ashrrev_i32_e32 v27, 31, v27
	v_and_b32_e32 v24, exec_lo, v24
	s_delay_alu instid0(VALU_DEP_4) | instskip(SKIP_3) | instid1(VALU_DEP_4)
	v_xor_b32_e32 v25, s11, v25
	v_cmp_gt_i32_e64 s11, 0, v23
	v_ashrrev_i32_e32 v23, 31, v29
	v_xor_b32_e32 v27, s10, v27
	v_and_b32_e32 v24, v24, v25
	s_delay_alu instid0(VALU_DEP_3) | instskip(NEXT) | instid1(VALU_DEP_2)
	v_xor_b32_e32 v23, s11, v23
	v_and_b32_e32 v24, v24, v27
	s_delay_alu instid0(VALU_DEP_1) | instskip(SKIP_1) | instid1(VALU_DEP_2)
	v_and_b32_e32 v25, v24, v23
	v_mad_u32_u24 v24, v26, 5, v5
	v_mbcnt_lo_u32_b32 v23, v25, 0
	v_cmp_ne_u32_e64 s11, 0, v25
	s_delay_alu instid0(VALU_DEP_3) | instskip(NEXT) | instid1(VALU_DEP_3)
	v_lshl_add_u32 v24, v24, 2, 16
	v_cmp_eq_u32_e64 s10, 0, v23
	s_delay_alu instid0(VALU_DEP_1) | instskip(NEXT) | instid1(SALU_CYCLE_1)
	s_and_b32 s11, s11, s10
	s_and_saveexec_b32 s10, s11
	s_cbranch_execz .LBB11_6
; %bb.5:                                ;   in Loop: Header=BB11_4 Depth=2
	v_bcnt_u32_b32 v25, v25, 0
	ds_store_b32 v24, v25
.LBB11_6:                               ;   in Loop: Header=BB11_4 Depth=2
	s_or_b32 exec_lo, exec_lo, s10
	v_lshlrev_b32_e32 v25, s15, v7
	; wave barrier
	s_delay_alu instid0(VALU_DEP_1) | instskip(SKIP_2) | instid1(VALU_DEP_3)
	v_bfe_u32 v26, v25, 28, 1
	v_lshrrev_b32_e32 v27, 28, v25
	v_not_b32_e32 v31, v25
	v_add_co_u32 v26, s10, v26, -1
	s_delay_alu instid0(VALU_DEP_1) | instskip(NEXT) | instid1(VALU_DEP_4)
	v_cndmask_b32_e64 v28, 0, 1, s10
	v_lshlrev_b32_e32 v29, 30, v27
	v_lshlrev_b32_e32 v30, 29, v27
	s_delay_alu instid0(VALU_DEP_3) | instskip(NEXT) | instid1(VALU_DEP_3)
	v_cmp_ne_u32_e64 s10, 0, v28
	v_not_b32_e32 v28, v29
	v_cmp_gt_i32_e64 s11, 0, v29
	s_delay_alu instid0(VALU_DEP_4) | instskip(NEXT) | instid1(VALU_DEP_4)
	v_not_b32_e32 v29, v30
	v_xor_b32_e32 v26, s10, v26
	s_delay_alu instid0(VALU_DEP_4) | instskip(SKIP_1) | instid1(VALU_DEP_4)
	v_ashrrev_i32_e32 v28, 31, v28
	v_cmp_gt_i32_e64 s10, 0, v30
	v_ashrrev_i32_e32 v29, 31, v29
	s_delay_alu instid0(VALU_DEP_4) | instskip(NEXT) | instid1(VALU_DEP_4)
	v_and_b32_e32 v26, exec_lo, v26
	v_xor_b32_e32 v28, s11, v28
	v_cmp_gt_i32_e64 s11, 0, v25
	v_mul_u32_u24_e32 v25, 5, v27
	v_ashrrev_i32_e32 v27, 31, v31
	v_xor_b32_e32 v29, s10, v29
	v_and_b32_e32 v26, v26, v28
	s_delay_alu instid0(VALU_DEP_4) | instskip(NEXT) | instid1(VALU_DEP_4)
	v_add_lshl_u32 v30, v5, v25, 2
	v_xor_b32_e32 v27, s11, v27
	s_delay_alu instid0(VALU_DEP_3) | instskip(SKIP_3) | instid1(VALU_DEP_2)
	v_and_b32_e32 v26, v26, v29
	ds_load_b32 v25, v30 offset:16
	; wave barrier
	v_and_b32_e32 v28, v26, v27
	v_add_nc_u32_e32 v27, 16, v30
	v_mbcnt_lo_u32_b32 v26, v28, 0
	v_cmp_ne_u32_e64 s11, 0, v28
	s_delay_alu instid0(VALU_DEP_2) | instskip(NEXT) | instid1(VALU_DEP_1)
	v_cmp_eq_u32_e64 s10, 0, v26
	s_and_b32 s11, s11, s10
	s_delay_alu instid0(SALU_CYCLE_1)
	s_and_saveexec_b32 s10, s11
	s_cbranch_execz .LBB11_8
; %bb.7:                                ;   in Loop: Header=BB11_4 Depth=2
	s_waitcnt lgkmcnt(0)
	v_bcnt_u32_b32 v28, v28, v25
	ds_store_b32 v27, v28
.LBB11_8:                               ;   in Loop: Header=BB11_4 Depth=2
	s_or_b32 exec_lo, exec_lo, s10
	v_lshlrev_b32_e32 v28, s15, v8
	; wave barrier
	s_delay_alu instid0(VALU_DEP_1) | instskip(SKIP_2) | instid1(VALU_DEP_3)
	v_bfe_u32 v29, v28, 28, 1
	v_lshrrev_b32_e32 v30, 28, v28
	v_not_b32_e32 v34, v28
	v_add_co_u32 v29, s10, v29, -1
	s_delay_alu instid0(VALU_DEP_1) | instskip(NEXT) | instid1(VALU_DEP_4)
	v_cndmask_b32_e64 v31, 0, 1, s10
	v_lshlrev_b32_e32 v32, 30, v30
	v_lshlrev_b32_e32 v33, 29, v30
	s_delay_alu instid0(VALU_DEP_3) | instskip(NEXT) | instid1(VALU_DEP_3)
	v_cmp_ne_u32_e64 s10, 0, v31
	v_not_b32_e32 v31, v32
	v_cmp_gt_i32_e64 s11, 0, v32
	s_delay_alu instid0(VALU_DEP_4) | instskip(NEXT) | instid1(VALU_DEP_4)
	v_not_b32_e32 v32, v33
	v_xor_b32_e32 v29, s10, v29
	s_delay_alu instid0(VALU_DEP_4) | instskip(SKIP_1) | instid1(VALU_DEP_4)
	v_ashrrev_i32_e32 v31, 31, v31
	v_cmp_gt_i32_e64 s10, 0, v33
	v_ashrrev_i32_e32 v32, 31, v32
	s_delay_alu instid0(VALU_DEP_4) | instskip(NEXT) | instid1(VALU_DEP_4)
	v_and_b32_e32 v29, exec_lo, v29
	v_xor_b32_e32 v31, s11, v31
	v_cmp_gt_i32_e64 s11, 0, v28
	v_mul_u32_u24_e32 v28, 5, v30
	v_ashrrev_i32_e32 v30, 31, v34
	v_xor_b32_e32 v32, s10, v32
	v_and_b32_e32 v29, v29, v31
	s_delay_alu instid0(VALU_DEP_4) | instskip(NEXT) | instid1(VALU_DEP_4)
	v_add_lshl_u32 v33, v5, v28, 2
	v_xor_b32_e32 v30, s11, v30
	s_delay_alu instid0(VALU_DEP_3) | instskip(SKIP_3) | instid1(VALU_DEP_2)
	v_and_b32_e32 v29, v29, v32
	ds_load_b32 v28, v33 offset:16
	; wave barrier
	v_and_b32_e32 v31, v29, v30
	v_add_nc_u32_e32 v30, 16, v33
	v_mbcnt_lo_u32_b32 v29, v31, 0
	v_cmp_ne_u32_e64 s11, 0, v31
	s_delay_alu instid0(VALU_DEP_2) | instskip(NEXT) | instid1(VALU_DEP_1)
	v_cmp_eq_u32_e64 s10, 0, v29
	s_and_b32 s11, s11, s10
	s_delay_alu instid0(SALU_CYCLE_1)
	s_and_saveexec_b32 s10, s11
	s_cbranch_execz .LBB11_10
; %bb.9:                                ;   in Loop: Header=BB11_4 Depth=2
	s_waitcnt lgkmcnt(0)
	v_bcnt_u32_b32 v31, v31, v28
	ds_store_b32 v30, v31
.LBB11_10:                              ;   in Loop: Header=BB11_4 Depth=2
	s_or_b32 exec_lo, exec_lo, s10
	v_lshlrev_b32_e32 v31, s15, v9
	; wave barrier
	s_delay_alu instid0(VALU_DEP_1) | instskip(SKIP_2) | instid1(VALU_DEP_3)
	v_bfe_u32 v32, v31, 28, 1
	v_lshrrev_b32_e32 v33, 28, v31
	v_not_b32_e32 v37, v31
	v_add_co_u32 v32, s10, v32, -1
	s_delay_alu instid0(VALU_DEP_1) | instskip(NEXT) | instid1(VALU_DEP_4)
	v_cndmask_b32_e64 v34, 0, 1, s10
	v_lshlrev_b32_e32 v35, 30, v33
	v_lshlrev_b32_e32 v36, 29, v33
	s_delay_alu instid0(VALU_DEP_3) | instskip(NEXT) | instid1(VALU_DEP_3)
	v_cmp_ne_u32_e64 s10, 0, v34
	v_not_b32_e32 v34, v35
	v_cmp_gt_i32_e64 s11, 0, v35
	s_delay_alu instid0(VALU_DEP_4) | instskip(NEXT) | instid1(VALU_DEP_4)
	v_not_b32_e32 v35, v36
	v_xor_b32_e32 v32, s10, v32
	s_delay_alu instid0(VALU_DEP_4) | instskip(SKIP_1) | instid1(VALU_DEP_4)
	v_ashrrev_i32_e32 v34, 31, v34
	v_cmp_gt_i32_e64 s10, 0, v36
	v_ashrrev_i32_e32 v35, 31, v35
	s_delay_alu instid0(VALU_DEP_4) | instskip(NEXT) | instid1(VALU_DEP_4)
	v_and_b32_e32 v32, exec_lo, v32
	v_xor_b32_e32 v34, s11, v34
	v_cmp_gt_i32_e64 s11, 0, v31
	v_mul_u32_u24_e32 v31, 5, v33
	v_ashrrev_i32_e32 v33, 31, v37
	v_xor_b32_e32 v35, s10, v35
	v_and_b32_e32 v32, v32, v34
	s_delay_alu instid0(VALU_DEP_4) | instskip(NEXT) | instid1(VALU_DEP_4)
	v_add_lshl_u32 v36, v5, v31, 2
	v_xor_b32_e32 v33, s11, v33
	s_delay_alu instid0(VALU_DEP_3) | instskip(SKIP_3) | instid1(VALU_DEP_2)
	v_and_b32_e32 v32, v32, v35
	ds_load_b32 v31, v36 offset:16
	; wave barrier
	v_and_b32_e32 v34, v32, v33
	v_add_nc_u32_e32 v33, 16, v36
	v_mbcnt_lo_u32_b32 v32, v34, 0
	v_cmp_ne_u32_e64 s11, 0, v34
	s_delay_alu instid0(VALU_DEP_2) | instskip(NEXT) | instid1(VALU_DEP_1)
	v_cmp_eq_u32_e64 s10, 0, v32
	s_and_b32 s11, s11, s10
	s_delay_alu instid0(SALU_CYCLE_1)
	s_and_saveexec_b32 s10, s11
	s_cbranch_execz .LBB11_12
; %bb.11:                               ;   in Loop: Header=BB11_4 Depth=2
	s_waitcnt lgkmcnt(0)
	v_bcnt_u32_b32 v34, v34, v31
	ds_store_b32 v33, v34
.LBB11_12:                              ;   in Loop: Header=BB11_4 Depth=2
	s_or_b32 exec_lo, exec_lo, s10
	v_lshlrev_b32_e32 v34, s15, v10
	; wave barrier
	s_delay_alu instid0(VALU_DEP_1) | instskip(SKIP_2) | instid1(VALU_DEP_3)
	v_bfe_u32 v35, v34, 28, 1
	v_lshrrev_b32_e32 v36, 28, v34
	v_not_b32_e32 v40, v34
	v_add_co_u32 v35, s10, v35, -1
	s_delay_alu instid0(VALU_DEP_1) | instskip(NEXT) | instid1(VALU_DEP_4)
	v_cndmask_b32_e64 v37, 0, 1, s10
	v_lshlrev_b32_e32 v38, 30, v36
	v_lshlrev_b32_e32 v39, 29, v36
	s_delay_alu instid0(VALU_DEP_3) | instskip(NEXT) | instid1(VALU_DEP_3)
	v_cmp_ne_u32_e64 s10, 0, v37
	v_not_b32_e32 v37, v38
	v_cmp_gt_i32_e64 s11, 0, v38
	s_delay_alu instid0(VALU_DEP_4) | instskip(NEXT) | instid1(VALU_DEP_4)
	v_not_b32_e32 v38, v39
	v_xor_b32_e32 v35, s10, v35
	s_delay_alu instid0(VALU_DEP_4) | instskip(SKIP_1) | instid1(VALU_DEP_4)
	v_ashrrev_i32_e32 v37, 31, v37
	v_cmp_gt_i32_e64 s10, 0, v39
	v_ashrrev_i32_e32 v38, 31, v38
	s_delay_alu instid0(VALU_DEP_4) | instskip(NEXT) | instid1(VALU_DEP_4)
	v_and_b32_e32 v35, exec_lo, v35
	v_xor_b32_e32 v37, s11, v37
	v_cmp_gt_i32_e64 s11, 0, v34
	v_mul_u32_u24_e32 v34, 5, v36
	v_ashrrev_i32_e32 v36, 31, v40
	v_xor_b32_e32 v38, s10, v38
	v_and_b32_e32 v35, v35, v37
	s_delay_alu instid0(VALU_DEP_4) | instskip(NEXT) | instid1(VALU_DEP_4)
	v_add_lshl_u32 v39, v5, v34, 2
	v_xor_b32_e32 v36, s11, v36
	s_delay_alu instid0(VALU_DEP_3) | instskip(SKIP_3) | instid1(VALU_DEP_2)
	v_and_b32_e32 v35, v35, v38
	ds_load_b32 v34, v39 offset:16
	; wave barrier
	v_and_b32_e32 v37, v35, v36
	v_add_nc_u32_e32 v36, 16, v39
	v_mbcnt_lo_u32_b32 v35, v37, 0
	v_cmp_ne_u32_e64 s11, 0, v37
	s_delay_alu instid0(VALU_DEP_2) | instskip(NEXT) | instid1(VALU_DEP_1)
	v_cmp_eq_u32_e64 s10, 0, v35
	s_and_b32 s11, s11, s10
	s_delay_alu instid0(SALU_CYCLE_1)
	s_and_saveexec_b32 s10, s11
	s_cbranch_execz .LBB11_14
; %bb.13:                               ;   in Loop: Header=BB11_4 Depth=2
	s_waitcnt lgkmcnt(0)
	v_bcnt_u32_b32 v37, v37, v34
	ds_store_b32 v36, v37
.LBB11_14:                              ;   in Loop: Header=BB11_4 Depth=2
	;; [unrolled: 53-line block ×13, first 2 shown]
	s_or_b32 exec_lo, exec_lo, s10
	; wave barrier
	s_waitcnt lgkmcnt(0)
	s_barrier
	buffer_gl0_inv
	ds_load_b32 v70, v2 offset:16
	s_waitcnt lgkmcnt(0)
	v_mov_b32_dpp v71, v70 row_shr:1 row_mask:0xf bank_mask:0xf
	s_delay_alu instid0(VALU_DEP_1) | instskip(NEXT) | instid1(VALU_DEP_1)
	v_cndmask_b32_e64 v71, v71, 0, s0
	v_add_nc_u32_e32 v70, v71, v70
	s_delay_alu instid0(VALU_DEP_1) | instskip(NEXT) | instid1(VALU_DEP_1)
	v_mov_b32_dpp v71, v70 row_shr:2 row_mask:0xf bank_mask:0xf
	v_cndmask_b32_e64 v71, 0, v71, s1
	s_delay_alu instid0(VALU_DEP_1) | instskip(NEXT) | instid1(VALU_DEP_1)
	v_add_nc_u32_e32 v70, v70, v71
	v_mov_b32_dpp v71, v70 row_shr:4 row_mask:0xf bank_mask:0xf
	s_delay_alu instid0(VALU_DEP_1) | instskip(NEXT) | instid1(VALU_DEP_1)
	v_cndmask_b32_e64 v71, 0, v71, s2
	v_add_nc_u32_e32 v70, v70, v71
	s_delay_alu instid0(VALU_DEP_1) | instskip(NEXT) | instid1(VALU_DEP_1)
	v_mov_b32_dpp v71, v70 row_shr:8 row_mask:0xf bank_mask:0xf
	v_cndmask_b32_e64 v71, 0, v71, s3
	s_delay_alu instid0(VALU_DEP_1) | instskip(SKIP_3) | instid1(VALU_DEP_1)
	v_add_nc_u32_e32 v70, v70, v71
	ds_swizzle_b32 v71, v70 offset:swizzle(BROADCAST,32,15)
	s_waitcnt lgkmcnt(0)
	v_cndmask_b32_e64 v71, v71, 0, s4
	v_add_nc_u32_e32 v70, v70, v71
	s_and_saveexec_b32 s10, s9
	s_delay_alu instid0(SALU_CYCLE_1)
	s_xor_b32 s10, exec_lo, s10
	s_cbranch_execz .LBB11_38
; %bb.37:                               ;   in Loop: Header=BB11_4 Depth=2
	ds_store_b32 v4, v70
.LBB11_38:                              ;   in Loop: Header=BB11_4 Depth=2
	s_or_b32 exec_lo, exec_lo, s10
	s_waitcnt lgkmcnt(0)
	s_barrier
	buffer_gl0_inv
	s_and_saveexec_b32 s10, s5
	s_cbranch_execz .LBB11_40
; %bb.39:                               ;   in Loop: Header=BB11_4 Depth=2
	ds_load_b32 v71, v2
	s_waitcnt lgkmcnt(0)
	v_mov_b32_dpp v72, v71 row_shr:1 row_mask:0xf bank_mask:0xf
	s_delay_alu instid0(VALU_DEP_1) | instskip(NEXT) | instid1(VALU_DEP_1)
	v_cndmask_b32_e64 v72, v72, 0, s7
	v_add_nc_u32_e32 v71, v72, v71
	s_delay_alu instid0(VALU_DEP_1) | instskip(NEXT) | instid1(VALU_DEP_1)
	v_mov_b32_dpp v72, v71 row_shr:2 row_mask:0xf bank_mask:0xf
	v_cndmask_b32_e64 v72, 0, v72, s8
	s_delay_alu instid0(VALU_DEP_1)
	v_add_nc_u32_e32 v71, v71, v72
	ds_store_b32 v2, v71
.LBB11_40:                              ;   in Loop: Header=BB11_4 Depth=2
	s_or_b32 exec_lo, exec_lo, s10
	v_mov_b32_e32 v71, 0
	s_waitcnt lgkmcnt(0)
	s_barrier
	buffer_gl0_inv
	s_and_saveexec_b32 s10, s6
	s_cbranch_execz .LBB11_3
; %bb.41:                               ;   in Loop: Header=BB11_4 Depth=2
	ds_load_b32 v71, v22
	s_branch .LBB11_3
.LBB11_42:
	ds_load_b32 v1, v69
	ds_load_b32 v2, v66
	;; [unrolled: 1-line block ×16, first 2 shown]
	v_lshlrev_b32_e32 v0, 2, v0
	s_add_u32 s0, s18, s12
	s_addc_u32 s1, s19, s13
	s_waitcnt lgkmcnt(15)
	v_add3_u32 v4, v68, v67, v1
	s_waitcnt lgkmcnt(14)
	v_add3_u32 v3, v65, v64, v2
	;; [unrolled: 2-line block ×14, first 2 shown]
	s_waitcnt lgkmcnt(1)
	v_add_nc_u32_e32 v13, v19, v23
	s_waitcnt lgkmcnt(0)
	v_add3_u32 v9, v35, v34, v20
	s_clause 0x3
	global_store_b128 v0, v[13:16], s[0:1]
	global_store_b128 v0, v[9:12], s[0:1] offset:16
	global_store_b128 v0, v[5:8], s[0:1] offset:32
	;; [unrolled: 1-line block ×3, first 2 shown]
	s_nop 0
	s_sendmsg sendmsg(MSG_DEALLOC_VGPRS)
	s_endpgm
	.section	.rodata,"a",@progbits
	.p2align	6, 0x0
	.amdhsa_kernel _Z11rank_kernelIiLj4ELb0EL18RadixRankAlgorithm2ELj128ELj16ELj10EEvPKT_Pi
		.amdhsa_group_segment_fixed_size 528
		.amdhsa_private_segment_fixed_size 0
		.amdhsa_kernarg_size 272
		.amdhsa_user_sgpr_count 15
		.amdhsa_user_sgpr_dispatch_ptr 0
		.amdhsa_user_sgpr_queue_ptr 0
		.amdhsa_user_sgpr_kernarg_segment_ptr 1
		.amdhsa_user_sgpr_dispatch_id 0
		.amdhsa_user_sgpr_private_segment_size 0
		.amdhsa_wavefront_size32 1
		.amdhsa_uses_dynamic_stack 0
		.amdhsa_enable_private_segment 0
		.amdhsa_system_sgpr_workgroup_id_x 1
		.amdhsa_system_sgpr_workgroup_id_y 0
		.amdhsa_system_sgpr_workgroup_id_z 0
		.amdhsa_system_sgpr_workgroup_info 0
		.amdhsa_system_vgpr_workitem_id 2
		.amdhsa_next_free_vgpr 74
		.amdhsa_next_free_sgpr 22
		.amdhsa_reserve_vcc 1
		.amdhsa_float_round_mode_32 0
		.amdhsa_float_round_mode_16_64 0
		.amdhsa_float_denorm_mode_32 3
		.amdhsa_float_denorm_mode_16_64 3
		.amdhsa_dx10_clamp 1
		.amdhsa_ieee_mode 1
		.amdhsa_fp16_overflow 0
		.amdhsa_workgroup_processor_mode 1
		.amdhsa_memory_ordered 1
		.amdhsa_forward_progress 0
		.amdhsa_shared_vgpr_count 0
		.amdhsa_exception_fp_ieee_invalid_op 0
		.amdhsa_exception_fp_denorm_src 0
		.amdhsa_exception_fp_ieee_div_zero 0
		.amdhsa_exception_fp_ieee_overflow 0
		.amdhsa_exception_fp_ieee_underflow 0
		.amdhsa_exception_fp_ieee_inexact 0
		.amdhsa_exception_int_div_zero 0
	.end_amdhsa_kernel
	.section	.text._Z11rank_kernelIiLj4ELb0EL18RadixRankAlgorithm2ELj128ELj16ELj10EEvPKT_Pi,"axG",@progbits,_Z11rank_kernelIiLj4ELb0EL18RadixRankAlgorithm2ELj128ELj16ELj10EEvPKT_Pi,comdat
.Lfunc_end11:
	.size	_Z11rank_kernelIiLj4ELb0EL18RadixRankAlgorithm2ELj128ELj16ELj10EEvPKT_Pi, .Lfunc_end11-_Z11rank_kernelIiLj4ELb0EL18RadixRankAlgorithm2ELj128ELj16ELj10EEvPKT_Pi
                                        ; -- End function
	.section	.AMDGPU.csdata,"",@progbits
; Kernel info:
; codeLenInByte = 5288
; NumSgprs: 24
; NumVgprs: 74
; ScratchSize: 0
; MemoryBound: 0
; FloatMode: 240
; IeeeMode: 1
; LDSByteSize: 528 bytes/workgroup (compile time only)
; SGPRBlocks: 2
; VGPRBlocks: 9
; NumSGPRsForWavesPerEU: 24
; NumVGPRsForWavesPerEU: 74
; Occupancy: 16
; WaveLimiterHint : 0
; COMPUTE_PGM_RSRC2:SCRATCH_EN: 0
; COMPUTE_PGM_RSRC2:USER_SGPR: 15
; COMPUTE_PGM_RSRC2:TRAP_HANDLER: 0
; COMPUTE_PGM_RSRC2:TGID_X_EN: 1
; COMPUTE_PGM_RSRC2:TGID_Y_EN: 0
; COMPUTE_PGM_RSRC2:TGID_Z_EN: 0
; COMPUTE_PGM_RSRC2:TIDIG_COMP_CNT: 2
	.section	.text._Z11rank_kernelIiLj4ELb0EL18RadixRankAlgorithm0ELj128ELj32ELj10EEvPKT_Pi,"axG",@progbits,_Z11rank_kernelIiLj4ELb0EL18RadixRankAlgorithm0ELj128ELj32ELj10EEvPKT_Pi,comdat
	.protected	_Z11rank_kernelIiLj4ELb0EL18RadixRankAlgorithm0ELj128ELj32ELj10EEvPKT_Pi ; -- Begin function _Z11rank_kernelIiLj4ELb0EL18RadixRankAlgorithm0ELj128ELj32ELj10EEvPKT_Pi
	.globl	_Z11rank_kernelIiLj4ELb0EL18RadixRankAlgorithm0ELj128ELj32ELj10EEvPKT_Pi
	.p2align	8
	.type	_Z11rank_kernelIiLj4ELb0EL18RadixRankAlgorithm0ELj128ELj32ELj10EEvPKT_Pi,@function
_Z11rank_kernelIiLj4ELb0EL18RadixRankAlgorithm0ELj128ELj32ELj10EEvPKT_Pi: ; @_Z11rank_kernelIiLj4ELb0EL18RadixRankAlgorithm0ELj128ELj32ELj10EEvPKT_Pi
; %bb.0:
	s_load_b128 s[16:19], s[0:1], 0x0
	s_mov_b32 s11, 0
	s_lshl_b32 s10, s15, 12
	v_dual_mov_b32 v2, 0 :: v_dual_lshlrev_b32 v1, 7, v0
	s_lshl_b64 s[12:13], s[10:11], 2
	v_mbcnt_lo_u32_b32 v4, -1, 0
	v_or_b32_e32 v23, 31, v0
	v_lshrrev_b32_e32 v41, 3, v0
	v_cmp_gt_u32_e32 vcc_lo, 4, v0
	v_lshlrev_b32_e32 v3, 2, v0
	v_add_nc_u32_e32 v36, -1, v4
	v_and_b32_e32 v5, 15, v4
	v_and_b32_e32 v10, 16, v4
	;; [unrolled: 1-line block ×3, first 2 shown]
	s_delay_alu instid0(VALU_DEP_4) | instskip(NEXT) | instid1(VALU_DEP_4)
	v_cmp_gt_i32_e64 s7, 0, v36
	v_cmp_eq_u32_e64 s2, 0, v5
	v_cmp_lt_u32_e64 s3, 1, v5
	v_cmp_lt_u32_e64 s4, 3, v5
	s_waitcnt lgkmcnt(0)
	s_add_u32 s0, s16, s12
	s_addc_u32 s1, s17, s13
	v_cmp_lt_u32_e64 s5, 7, v5
	s_clause 0x7
	global_load_b128 v[6:9], v1, s[0:1]
	global_load_b128 v[11:14], v1, s[0:1] offset:16
	global_load_b128 v[15:18], v1, s[0:1] offset:32
	;; [unrolled: 1-line block ×7, first 2 shown]
	v_cndmask_b32_e64 v5, v36, v4, s7
	v_lshlrev_b32_e32 v1, 5, v0
	v_cmp_lt_u32_e64 s0, 31, v0
	v_cmp_eq_u32_e64 s1, 0, v4
	v_cmp_eq_u32_e64 s6, 0, v10
	;; [unrolled: 1-line block ×3, first 2 shown]
	v_and_b32_e32 v4, 12, v41
	v_cmp_eq_u32_e64 s8, 0, v42
	v_cmp_lt_u32_e64 s9, 1, v42
	v_lshlrev_b32_e32 v5, 2, v5
	v_or_b32_e32 v41, 0xffffff80, v0
	s_waitcnt vmcnt(7)
	v_xor_b32_e32 v6, 0x80000000, v6
	v_xor_b32_e32 v7, 0x80000000, v7
	v_xor_b32_e32 v8, 0x80000000, v8
	v_xor_b32_e32 v9, 0x80000000, v9
	s_waitcnt vmcnt(6)
	v_xor_b32_e32 v10, 0x80000000, v11
	v_xor_b32_e32 v11, 0x80000000, v12
	v_xor_b32_e32 v13, 0x80000000, v13
	v_xor_b32_e32 v14, 0x80000000, v14
	;; [unrolled: 5-line block ×8, first 2 shown]
	s_branch .LBB12_2
.LBB12_1:                               ;   in Loop: Header=BB12_2 Depth=1
	s_add_i32 s11, s11, 1
	s_delay_alu instid0(SALU_CYCLE_1)
	s_cmp_eq_u32 s11, 10
	s_cbranch_scc1 .LBB12_12
.LBB12_2:                               ; =>This Loop Header: Depth=1
                                        ;     Child Loop BB12_4 Depth 2
                                        ;       Child Loop BB12_5 Depth 3
	s_mov_b32 s14, 0
	s_branch .LBB12_4
.LBB12_3:                               ;   in Loop: Header=BB12_4 Depth=2
	s_or_b32 exec_lo, exec_lo, s10
	s_waitcnt lgkmcnt(0)
	v_add_nc_u32_e32 v103, v104, v103
	ds_load_b32 v109, v2 offset:4108
	ds_load_2addr_b32 v[105:106], v1 offset1:1
	s_add_i32 s10, s14, 4
	s_cmp_lt_u32 s14, 28
	s_mov_b32 s14, s10
	ds_bpermute_b32 v103, v5, v103
	s_waitcnt lgkmcnt(0)
	v_cndmask_b32_e64 v110, v103, v104, s1
	ds_load_2addr_b32 v[103:104], v1 offset0:2 offset1:3
	ds_load_2addr_b32 v[107:108], v1 offset0:4 offset1:5
	v_lshl_add_u32 v109, v109, 16, v110
	ds_load_b32 v110, v1 offset:24
	v_add_nc_u32_e32 v105, v109, v105
	s_delay_alu instid0(VALU_DEP_1) | instskip(SKIP_1) | instid1(VALU_DEP_1)
	v_add_nc_u32_e32 v106, v106, v105
	s_waitcnt lgkmcnt(2)
	v_add_nc_u32_e32 v103, v103, v106
	s_delay_alu instid0(VALU_DEP_1) | instskip(SKIP_1) | instid1(VALU_DEP_1)
	v_add_nc_u32_e32 v104, v104, v103
	s_waitcnt lgkmcnt(1)
	;; [unrolled: 4-line block ×3, first 2 shown]
	v_add_nc_u32_e32 v110, v110, v108
	ds_store_2addr_b32 v1, v109, v105 offset1:1
	ds_store_2addr_b32 v1, v106, v103 offset0:2 offset1:3
	ds_store_2addr_b32 v1, v104, v107 offset0:4 offset1:5
	ds_store_2addr_b32 v1, v108, v110 offset0:6 offset1:7
	s_waitcnt lgkmcnt(0)
	s_barrier
	buffer_gl0_inv
	s_cbranch_scc0 .LBB12_1
.LBB12_4:                               ;   Parent Loop BB12_2 Depth=1
                                        ; =>  This Loop Header: Depth=2
                                        ;       Child Loop BB12_5 Depth 3
	v_dual_mov_b32 v12, v41 :: v_dual_mov_b32 v23, v3
	s_mov_b32 s15, 0
.LBB12_5:                               ;   Parent Loop BB12_2 Depth=1
                                        ;     Parent Loop BB12_4 Depth=2
                                        ; =>    This Inner Loop Header: Depth=3
	s_delay_alu instid0(VALU_DEP_1) | instskip(SKIP_3) | instid1(VALU_DEP_1)
	v_add_nc_u32_e32 v12, 0x80, v12
	ds_store_b32 v23, v2
	v_add_nc_u32_e32 v23, 0x200, v23
	v_cmp_lt_u32_e64 s10, 0x37f, v12
	s_or_b32 s15, s10, s15
	s_delay_alu instid0(SALU_CYCLE_1)
	s_and_not1_b32 exec_lo, exec_lo, s15
	s_cbranch_execnz .LBB12_5
; %bb.6:                                ;   in Loop: Header=BB12_4 Depth=2
	s_or_b32 exec_lo, exec_lo, s15
	s_sub_i32 s10, 28, s14
	s_delay_alu instid0(SALU_CYCLE_1) | instskip(SKIP_1) | instid1(VALU_DEP_2)
	v_lshlrev_b32_e32 v12, s10, v6
	v_lshlrev_b32_e32 v69, s10, v22
	v_lshrrev_b32_e32 v23, 21, v12
	s_delay_alu instid0(VALU_DEP_2) | instskip(NEXT) | instid1(VALU_DEP_2)
	v_lshrrev_b32_e32 v70, 21, v69
	v_and_or_b32 v23, 0x380, v23, v0
	s_delay_alu instid0(VALU_DEP_2) | instskip(NEXT) | instid1(VALU_DEP_2)
	v_and_or_b32 v70, 0x380, v70, v0
	v_alignbit_b32 v12, v23, v12, 31
	v_lshlrev_b32_e32 v23, s10, v7
	s_delay_alu instid0(VALU_DEP_3) | instskip(NEXT) | instid1(VALU_DEP_3)
	v_alignbit_b32 v69, v70, v69, 31
	v_lshlrev_b32_e32 v12, 1, v12
	s_delay_alu instid0(VALU_DEP_3) | instskip(NEXT) | instid1(VALU_DEP_3)
	v_lshrrev_b32_e32 v35, 21, v23
	v_lshlrev_b32_e32 v69, 1, v69
	ds_load_u16 v45, v12
	v_and_or_b32 v35, 0x380, v35, v0
	s_delay_alu instid0(VALU_DEP_1) | instskip(NEXT) | instid1(VALU_DEP_1)
	v_alignbit_b32 v23, v35, v23, 31
	v_lshlrev_b32_e32 v23, 1, v23
	s_waitcnt lgkmcnt(0)
	v_add_nc_u16 v35, v45, 1
	ds_store_b16 v12, v35
	ds_load_u16 v48, v23
	v_lshlrev_b32_e32 v35, s10, v8
	s_delay_alu instid0(VALU_DEP_1) | instskip(NEXT) | instid1(VALU_DEP_1)
	v_lshrrev_b32_e32 v42, 21, v35
	v_and_or_b32 v42, 0x380, v42, v0
	s_delay_alu instid0(VALU_DEP_1) | instskip(SKIP_2) | instid1(VALU_DEP_2)
	v_alignbit_b32 v35, v42, v35, 31
	s_waitcnt lgkmcnt(0)
	v_add_nc_u16 v42, v48, 1
	v_lshlrev_b32_e32 v35, 1, v35
	ds_store_b16 v23, v42
	ds_load_u16 v50, v35
	v_lshlrev_b32_e32 v42, s10, v9
	s_delay_alu instid0(VALU_DEP_1) | instskip(NEXT) | instid1(VALU_DEP_1)
	v_lshrrev_b32_e32 v43, 21, v42
	v_and_or_b32 v43, 0x380, v43, v0
	s_delay_alu instid0(VALU_DEP_1) | instskip(SKIP_2) | instid1(VALU_DEP_2)
	v_alignbit_b32 v42, v43, v42, 31
	s_waitcnt lgkmcnt(0)
	v_add_nc_u16 v43, v50, 1
	v_lshlrev_b32_e32 v42, 1, v42
	;; [unrolled: 11-line block ×6, first 2 shown]
	v_lshlrev_b32_e32 v47, s10, v15
	ds_store_b16 v46, v51
	ds_load_u16 v60, v49
	v_lshrrev_b32_e32 v51, 21, v47
	s_delay_alu instid0(VALU_DEP_1) | instskip(NEXT) | instid1(VALU_DEP_1)
	v_and_or_b32 v51, 0x380, v51, v0
	v_alignbit_b32 v47, v51, v47, 31
	s_delay_alu instid0(VALU_DEP_1)
	v_lshlrev_b32_e32 v47, 1, v47
	s_waitcnt lgkmcnt(0)
	v_add_nc_u16 v51, v60, 1
	ds_store_b16 v49, v51
	ds_load_u16 v61, v47
	v_lshlrev_b32_e32 v51, s10, v16
	s_delay_alu instid0(VALU_DEP_1) | instskip(NEXT) | instid1(VALU_DEP_1)
	v_lshrrev_b32_e32 v53, 21, v51
	v_and_or_b32 v53, 0x380, v53, v0
	s_delay_alu instid0(VALU_DEP_1) | instskip(SKIP_2) | instid1(VALU_DEP_2)
	v_alignbit_b32 v51, v53, v51, 31
	s_waitcnt lgkmcnt(0)
	v_add_nc_u16 v53, v61, 1
	v_lshlrev_b32_e32 v51, 1, v51
	ds_store_b16 v47, v53
	ds_load_u16 v63, v51
	v_lshlrev_b32_e32 v53, s10, v17
	s_delay_alu instid0(VALU_DEP_1) | instskip(NEXT) | instid1(VALU_DEP_1)
	v_lshrrev_b32_e32 v55, 21, v53
	v_and_or_b32 v55, 0x380, v55, v0
	s_delay_alu instid0(VALU_DEP_1) | instskip(SKIP_2) | instid1(VALU_DEP_2)
	v_alignbit_b32 v53, v55, v53, 31
	s_waitcnt lgkmcnt(0)
	v_add_nc_u16 v55, v63, 1
	v_lshlrev_b32_e32 v53, 1, v53
	;; [unrolled: 11-line block ×6, first 2 shown]
	ds_store_b16 v59, v68
	ds_load_u16 v68, v62
	s_waitcnt lgkmcnt(0)
	v_add_nc_u16 v70, v68, 1
	ds_store_b16 v62, v70
	ds_load_u16 v71, v69
	v_lshlrev_b32_e32 v70, s10, v24
	s_delay_alu instid0(VALU_DEP_1) | instskip(NEXT) | instid1(VALU_DEP_1)
	v_lshrrev_b32_e32 v72, 21, v70
	v_and_or_b32 v72, 0x380, v72, v0
	s_delay_alu instid0(VALU_DEP_1) | instskip(SKIP_2) | instid1(VALU_DEP_2)
	v_alignbit_b32 v70, v72, v70, 31
	s_waitcnt lgkmcnt(0)
	v_add_nc_u16 v72, v71, 1
	v_lshlrev_b32_e32 v70, 1, v70
	ds_store_b16 v69, v72
	ds_load_u16 v74, v70
	v_lshlrev_b32_e32 v72, s10, v25
	s_delay_alu instid0(VALU_DEP_1) | instskip(NEXT) | instid1(VALU_DEP_1)
	v_lshrrev_b32_e32 v73, 21, v72
	v_and_or_b32 v73, 0x380, v73, v0
	s_delay_alu instid0(VALU_DEP_1) | instskip(SKIP_2) | instid1(VALU_DEP_2)
	v_alignbit_b32 v72, v73, v72, 31
	s_waitcnt lgkmcnt(0)
	v_add_nc_u16 v73, v74, 1
	v_lshlrev_b32_e32 v72, 1, v72
	;; [unrolled: 11-line block ×8, first 2 shown]
	v_lshlrev_b32_e32 v80, s10, v32
	ds_store_b16 v79, v82
	ds_load_u16 v92, v81
	v_lshrrev_b32_e32 v82, 21, v80
	s_delay_alu instid0(VALU_DEP_1) | instskip(NEXT) | instid1(VALU_DEP_1)
	v_and_or_b32 v82, 0x380, v82, v0
	v_alignbit_b32 v80, v82, v80, 31
	s_delay_alu instid0(VALU_DEP_1)
	v_lshlrev_b32_e32 v80, 1, v80
	s_waitcnt lgkmcnt(0)
	v_add_nc_u16 v82, v92, 1
	ds_store_b16 v81, v82
	ds_load_u16 v94, v80
	v_lshlrev_b32_e32 v82, s10, v33
	s_delay_alu instid0(VALU_DEP_1) | instskip(NEXT) | instid1(VALU_DEP_1)
	v_lshrrev_b32_e32 v84, 21, v82
	v_and_or_b32 v84, 0x380, v84, v0
	s_delay_alu instid0(VALU_DEP_1) | instskip(SKIP_2) | instid1(VALU_DEP_2)
	v_alignbit_b32 v82, v84, v82, 31
	s_waitcnt lgkmcnt(0)
	v_add_nc_u16 v84, v94, 1
	v_lshlrev_b32_e32 v82, 1, v82
	ds_store_b16 v80, v84
	ds_load_u16 v96, v82
	v_lshlrev_b32_e32 v84, s10, v34
	s_delay_alu instid0(VALU_DEP_1) | instskip(NEXT) | instid1(VALU_DEP_1)
	v_lshrrev_b32_e32 v86, 21, v84
	v_and_or_b32 v86, 0x380, v86, v0
	s_delay_alu instid0(VALU_DEP_1) | instskip(SKIP_2) | instid1(VALU_DEP_2)
	v_alignbit_b32 v84, v86, v84, 31
	s_waitcnt lgkmcnt(0)
	v_add_nc_u16 v86, v96, 1
	v_lshlrev_b32_e32 v84, 1, v84
	;; [unrolled: 11-line block ×7, first 2 shown]
	ds_store_b16 v93, v102
	ds_load_u16 v102, v95
	s_waitcnt lgkmcnt(0)
	v_add_nc_u16 v103, v102, 1
	ds_store_b16 v95, v103
	s_waitcnt lgkmcnt(0)
	s_barrier
	buffer_gl0_inv
	ds_load_2addr_b32 v[103:104], v1 offset1:1
	ds_load_2addr_b32 v[105:106], v1 offset0:2 offset1:3
	ds_load_2addr_b32 v[107:108], v1 offset0:4 offset1:5
	;; [unrolled: 1-line block ×3, first 2 shown]
	s_waitcnt lgkmcnt(3)
	v_add_nc_u32_e32 v103, v104, v103
	s_waitcnt lgkmcnt(2)
	s_delay_alu instid0(VALU_DEP_1) | instskip(SKIP_1) | instid1(VALU_DEP_1)
	v_add3_u32 v103, v103, v105, v106
	s_waitcnt lgkmcnt(1)
	v_add3_u32 v103, v103, v107, v108
	s_waitcnt lgkmcnt(0)
	s_delay_alu instid0(VALU_DEP_1) | instskip(NEXT) | instid1(VALU_DEP_1)
	v_add3_u32 v103, v103, v109, v110
	v_mov_b32_dpp v104, v103 row_shr:1 row_mask:0xf bank_mask:0xf
	s_delay_alu instid0(VALU_DEP_1) | instskip(NEXT) | instid1(VALU_DEP_1)
	v_cndmask_b32_e64 v104, v104, 0, s2
	v_add_nc_u32_e32 v103, v104, v103
	s_delay_alu instid0(VALU_DEP_1) | instskip(NEXT) | instid1(VALU_DEP_1)
	v_mov_b32_dpp v104, v103 row_shr:2 row_mask:0xf bank_mask:0xf
	v_cndmask_b32_e64 v104, 0, v104, s3
	s_delay_alu instid0(VALU_DEP_1) | instskip(NEXT) | instid1(VALU_DEP_1)
	v_add_nc_u32_e32 v103, v103, v104
	v_mov_b32_dpp v104, v103 row_shr:4 row_mask:0xf bank_mask:0xf
	s_delay_alu instid0(VALU_DEP_1) | instskip(NEXT) | instid1(VALU_DEP_1)
	v_cndmask_b32_e64 v104, 0, v104, s4
	v_add_nc_u32_e32 v103, v103, v104
	s_delay_alu instid0(VALU_DEP_1) | instskip(NEXT) | instid1(VALU_DEP_1)
	v_mov_b32_dpp v104, v103 row_shr:8 row_mask:0xf bank_mask:0xf
	v_cndmask_b32_e64 v104, 0, v104, s5
	s_delay_alu instid0(VALU_DEP_1) | instskip(SKIP_3) | instid1(VALU_DEP_1)
	v_add_nc_u32_e32 v103, v103, v104
	ds_swizzle_b32 v104, v103 offset:swizzle(BROADCAST,32,15)
	s_waitcnt lgkmcnt(0)
	v_cndmask_b32_e64 v104, v104, 0, s6
	v_add_nc_u32_e32 v103, v103, v104
	s_and_saveexec_b32 s10, s7
	s_cbranch_execz .LBB12_8
; %bb.7:                                ;   in Loop: Header=BB12_4 Depth=2
	ds_store_b32 v4, v103 offset:4096
.LBB12_8:                               ;   in Loop: Header=BB12_4 Depth=2
	s_or_b32 exec_lo, exec_lo, s10
	s_waitcnt lgkmcnt(0)
	s_barrier
	buffer_gl0_inv
	s_and_saveexec_b32 s10, vcc_lo
	s_cbranch_execz .LBB12_10
; %bb.9:                                ;   in Loop: Header=BB12_4 Depth=2
	ds_load_b32 v104, v3 offset:4096
	s_waitcnt lgkmcnt(0)
	v_mov_b32_dpp v105, v104 row_shr:1 row_mask:0xf bank_mask:0xf
	s_delay_alu instid0(VALU_DEP_1) | instskip(NEXT) | instid1(VALU_DEP_1)
	v_cndmask_b32_e64 v105, v105, 0, s8
	v_add_nc_u32_e32 v104, v105, v104
	s_delay_alu instid0(VALU_DEP_1) | instskip(NEXT) | instid1(VALU_DEP_1)
	v_mov_b32_dpp v105, v104 row_shr:2 row_mask:0xf bank_mask:0xf
	v_cndmask_b32_e64 v105, 0, v105, s9
	s_delay_alu instid0(VALU_DEP_1)
	v_add_nc_u32_e32 v104, v104, v105
	ds_store_b32 v3, v104 offset:4096
.LBB12_10:                              ;   in Loop: Header=BB12_4 Depth=2
	s_or_b32 exec_lo, exec_lo, s10
	v_mov_b32_e32 v104, 0
	s_waitcnt lgkmcnt(0)
	s_barrier
	buffer_gl0_inv
	s_and_saveexec_b32 s10, s0
	s_cbranch_execz .LBB12_3
; %bb.11:                               ;   in Loop: Header=BB12_4 Depth=2
	ds_load_b32 v104, v4 offset:4092
	s_branch .LBB12_3
.LBB12_12:
	v_and_b32_e32 v0, 0xffff, v45
	v_and_b32_e32 v3, 0xffff, v48
	;; [unrolled: 1-line block ×11, first 2 shown]
	ds_load_u16 v37, v49
	ds_load_u16 v38, v46
	;; [unrolled: 1-line block ×32, first 2 shown]
	v_and_b32_e32 v14, 0xffff, v65
	v_and_b32_e32 v15, 0xffff, v66
	;; [unrolled: 1-line block ×21, first 2 shown]
	s_waitcnt lgkmcnt(24)
	v_add_nc_u32_e32 v2, v2, v0
	v_add_nc_u32_e32 v3, v23, v3
	;; [unrolled: 1-line block ×4, first 2 shown]
	v_lshlrev_b32_e32 v0, 2, v1
	v_add_nc_u32_e32 v6, v40, v6
	v_add_nc_u32_e32 v7, v39, v7
	;; [unrolled: 1-line block ×4, first 2 shown]
	s_waitcnt lgkmcnt(16)
	v_add_nc_u32_e32 v10, v47, v10
	v_add_nc_u32_e32 v11, v48, v11
	v_add_nc_u32_e32 v12, v12, v13
	v_add_nc_u32_e32 v13, v46, v14
	s_add_u32 s0, s18, s12
	v_add_nc_u32_e32 v14, v45, v15
	v_add_nc_u32_e32 v15, v44, v16
	;; [unrolled: 1-line block ×4, first 2 shown]
	s_addc_u32 s1, s19, s13
	s_waitcnt lgkmcnt(8)
	v_add_nc_u32_e32 v18, v56, v19
	v_add_nc_u32_e32 v19, v55, v20
	;; [unrolled: 1-line block ×8, first 2 shown]
	s_waitcnt lgkmcnt(0)
	v_add_nc_u32_e32 v26, v64, v28
	v_add_nc_u32_e32 v27, v63, v29
	;; [unrolled: 1-line block ×8, first 2 shown]
	s_clause 0x7
	global_store_b128 v0, v[2:5], s[0:1]
	global_store_b128 v0, v[6:9], s[0:1] offset:16
	global_store_b128 v0, v[10:13], s[0:1] offset:32
	;; [unrolled: 1-line block ×7, first 2 shown]
	s_nop 0
	s_sendmsg sendmsg(MSG_DEALLOC_VGPRS)
	s_endpgm
	.section	.rodata,"a",@progbits
	.p2align	6, 0x0
	.amdhsa_kernel _Z11rank_kernelIiLj4ELb0EL18RadixRankAlgorithm0ELj128ELj32ELj10EEvPKT_Pi
		.amdhsa_group_segment_fixed_size 4112
		.amdhsa_private_segment_fixed_size 0
		.amdhsa_kernarg_size 16
		.amdhsa_user_sgpr_count 15
		.amdhsa_user_sgpr_dispatch_ptr 0
		.amdhsa_user_sgpr_queue_ptr 0
		.amdhsa_user_sgpr_kernarg_segment_ptr 1
		.amdhsa_user_sgpr_dispatch_id 0
		.amdhsa_user_sgpr_private_segment_size 0
		.amdhsa_wavefront_size32 1
		.amdhsa_uses_dynamic_stack 0
		.amdhsa_enable_private_segment 0
		.amdhsa_system_sgpr_workgroup_id_x 1
		.amdhsa_system_sgpr_workgroup_id_y 0
		.amdhsa_system_sgpr_workgroup_id_z 0
		.amdhsa_system_sgpr_workgroup_info 0
		.amdhsa_system_vgpr_workitem_id 0
		.amdhsa_next_free_vgpr 111
		.amdhsa_next_free_sgpr 20
		.amdhsa_reserve_vcc 1
		.amdhsa_float_round_mode_32 0
		.amdhsa_float_round_mode_16_64 0
		.amdhsa_float_denorm_mode_32 3
		.amdhsa_float_denorm_mode_16_64 3
		.amdhsa_dx10_clamp 1
		.amdhsa_ieee_mode 1
		.amdhsa_fp16_overflow 0
		.amdhsa_workgroup_processor_mode 1
		.amdhsa_memory_ordered 1
		.amdhsa_forward_progress 0
		.amdhsa_shared_vgpr_count 0
		.amdhsa_exception_fp_ieee_invalid_op 0
		.amdhsa_exception_fp_denorm_src 0
		.amdhsa_exception_fp_ieee_div_zero 0
		.amdhsa_exception_fp_ieee_overflow 0
		.amdhsa_exception_fp_ieee_underflow 0
		.amdhsa_exception_fp_ieee_inexact 0
		.amdhsa_exception_int_div_zero 0
	.end_amdhsa_kernel
	.section	.text._Z11rank_kernelIiLj4ELb0EL18RadixRankAlgorithm0ELj128ELj32ELj10EEvPKT_Pi,"axG",@progbits,_Z11rank_kernelIiLj4ELb0EL18RadixRankAlgorithm0ELj128ELj32ELj10EEvPKT_Pi,comdat
.Lfunc_end12:
	.size	_Z11rank_kernelIiLj4ELb0EL18RadixRankAlgorithm0ELj128ELj32ELj10EEvPKT_Pi, .Lfunc_end12-_Z11rank_kernelIiLj4ELb0EL18RadixRankAlgorithm0ELj128ELj32ELj10EEvPKT_Pi
                                        ; -- End function
	.section	.AMDGPU.csdata,"",@progbits
; Kernel info:
; codeLenInByte = 4168
; NumSgprs: 22
; NumVgprs: 111
; ScratchSize: 0
; MemoryBound: 0
; FloatMode: 240
; IeeeMode: 1
; LDSByteSize: 4112 bytes/workgroup (compile time only)
; SGPRBlocks: 2
; VGPRBlocks: 13
; NumSGPRsForWavesPerEU: 22
; NumVGPRsForWavesPerEU: 111
; Occupancy: 12
; WaveLimiterHint : 0
; COMPUTE_PGM_RSRC2:SCRATCH_EN: 0
; COMPUTE_PGM_RSRC2:USER_SGPR: 15
; COMPUTE_PGM_RSRC2:TRAP_HANDLER: 0
; COMPUTE_PGM_RSRC2:TGID_X_EN: 1
; COMPUTE_PGM_RSRC2:TGID_Y_EN: 0
; COMPUTE_PGM_RSRC2:TGID_Z_EN: 0
; COMPUTE_PGM_RSRC2:TIDIG_COMP_CNT: 0
	.section	.text._Z11rank_kernelIiLj4ELb0EL18RadixRankAlgorithm1ELj128ELj32ELj10EEvPKT_Pi,"axG",@progbits,_Z11rank_kernelIiLj4ELb0EL18RadixRankAlgorithm1ELj128ELj32ELj10EEvPKT_Pi,comdat
	.protected	_Z11rank_kernelIiLj4ELb0EL18RadixRankAlgorithm1ELj128ELj32ELj10EEvPKT_Pi ; -- Begin function _Z11rank_kernelIiLj4ELb0EL18RadixRankAlgorithm1ELj128ELj32ELj10EEvPKT_Pi
	.globl	_Z11rank_kernelIiLj4ELb0EL18RadixRankAlgorithm1ELj128ELj32ELj10EEvPKT_Pi
	.p2align	8
	.type	_Z11rank_kernelIiLj4ELb0EL18RadixRankAlgorithm1ELj128ELj32ELj10EEvPKT_Pi,@function
_Z11rank_kernelIiLj4ELb0EL18RadixRankAlgorithm1ELj128ELj32ELj10EEvPKT_Pi: ; @_Z11rank_kernelIiLj4ELb0EL18RadixRankAlgorithm1ELj128ELj32ELj10EEvPKT_Pi
; %bb.0:
	s_load_b128 s[16:19], s[0:1], 0x0
	s_mov_b32 s11, 0
	s_lshl_b32 s10, s15, 12
	v_dual_mov_b32 v10, 0 :: v_dual_lshlrev_b32 v9, 7, v0
	s_lshl_b64 s[12:13], s[10:11], 2
	v_mbcnt_lo_u32_b32 v12, -1, 0
	v_or_b32_e32 v15, 31, v0
	v_lshrrev_b32_e32 v17, 3, v0
	v_cmp_gt_u32_e32 vcc_lo, 4, v0
	v_lshlrev_b32_e32 v11, 2, v0
	v_add_nc_u32_e32 v16, -1, v12
	v_and_b32_e32 v13, 15, v12
	v_and_b32_e32 v14, 16, v12
	;; [unrolled: 1-line block ×3, first 2 shown]
	v_or_b32_e32 v49, 0xffffff80, v0
	v_cmp_gt_i32_e64 s7, 0, v16
	v_cmp_eq_u32_e64 s2, 0, v13
	v_cmp_lt_u32_e64 s3, 1, v13
	v_cmp_lt_u32_e64 s4, 3, v13
	s_waitcnt lgkmcnt(0)
	s_add_u32 s0, s16, s12
	s_addc_u32 s1, s17, s13
	v_cmp_lt_u32_e64 s5, 7, v13
	s_clause 0x7
	global_load_b128 v[1:4], v9, s[0:1]
	global_load_b128 v[5:8], v9, s[0:1] offset:16
	global_load_b128 v[23:26], v9, s[0:1] offset:32
	;; [unrolled: 1-line block ×7, first 2 shown]
	v_cndmask_b32_e64 v13, v16, v12, s7
	v_lshlrev_b32_e32 v9, 5, v0
	v_cmp_lt_u32_e64 s0, 31, v0
	v_cmp_eq_u32_e64 s1, 0, v12
	v_cmp_eq_u32_e64 s6, 0, v14
	;; [unrolled: 1-line block ×3, first 2 shown]
	v_and_b32_e32 v12, 12, v17
	v_cmp_eq_u32_e64 s8, 0, v18
	v_cmp_lt_u32_e64 s9, 1, v18
	v_lshlrev_b32_e32 v13, 2, v13
	s_waitcnt vmcnt(7)
	v_xor_b32_e32 v14, 0x80000000, v1
	v_xor_b32_e32 v15, 0x80000000, v2
	v_xor_b32_e32 v16, 0x80000000, v3
	v_xor_b32_e32 v17, 0x80000000, v4
	s_waitcnt vmcnt(6)
	v_xor_b32_e32 v18, 0x80000000, v5
	v_xor_b32_e32 v19, 0x80000000, v6
	v_xor_b32_e32 v21, 0x80000000, v7
	v_xor_b32_e32 v22, 0x80000000, v8
	;; [unrolled: 5-line block ×8, first 2 shown]
	s_branch .LBB13_2
.LBB13_1:                               ;   in Loop: Header=BB13_2 Depth=1
	s_add_i32 s11, s11, 1
	s_delay_alu instid0(SALU_CYCLE_1)
	s_cmp_eq_u32 s11, 10
	s_cbranch_scc1 .LBB13_12
.LBB13_2:                               ; =>This Loop Header: Depth=1
                                        ;     Child Loop BB13_4 Depth 2
                                        ;       Child Loop BB13_5 Depth 3
	s_mov_b32 s14, 0
	s_branch .LBB13_4
.LBB13_3:                               ;   in Loop: Header=BB13_4 Depth=2
	s_or_b32 exec_lo, exec_lo, s10
	s_waitcnt lgkmcnt(0)
	v_add_nc_u32_e32 v2, v111, v2
	ds_load_b32 v112, v10 offset:4108
	s_add_i32 s10, s14, 4
	s_cmp_lt_u32 s14, 28
	s_mov_b32 s14, s10
	ds_bpermute_b32 v2, v13, v2
	s_waitcnt lgkmcnt(0)
	v_cndmask_b32_e64 v2, v2, v111, s1
	s_delay_alu instid0(VALU_DEP_1) | instskip(NEXT) | instid1(VALU_DEP_1)
	v_lshl_add_u32 v2, v112, 16, v2
	v_add_nc_u32_e32 v3, v2, v3
	s_delay_alu instid0(VALU_DEP_1) | instskip(NEXT) | instid1(VALU_DEP_1)
	v_add_nc_u32_e32 v4, v3, v4
	v_add_nc_u32_e32 v5, v4, v5
	s_delay_alu instid0(VALU_DEP_1) | instskip(NEXT) | instid1(VALU_DEP_1)
	v_add_nc_u32_e32 v6, v5, v6
	;; [unrolled: 3-line block ×3, first 2 shown]
	v_add_nc_u32_e32 v1, v8, v1
	ds_store_2addr_b32 v9, v2, v3 offset1:1
	ds_store_2addr_b32 v9, v4, v5 offset0:2 offset1:3
	ds_store_2addr_b32 v9, v6, v7 offset0:4 offset1:5
	;; [unrolled: 1-line block ×3, first 2 shown]
	s_waitcnt lgkmcnt(0)
	s_barrier
	buffer_gl0_inv
	s_cbranch_scc0 .LBB13_1
.LBB13_4:                               ;   Parent Loop BB13_2 Depth=1
                                        ; =>  This Loop Header: Depth=2
                                        ;       Child Loop BB13_5 Depth 3
	v_dual_mov_b32 v1, v49 :: v_dual_mov_b32 v2, v11
	s_mov_b32 s15, 0
.LBB13_5:                               ;   Parent Loop BB13_2 Depth=1
                                        ;     Parent Loop BB13_4 Depth=2
                                        ; =>    This Inner Loop Header: Depth=3
	s_delay_alu instid0(VALU_DEP_1) | instskip(SKIP_3) | instid1(VALU_DEP_1)
	v_add_nc_u32_e32 v1, 0x80, v1
	ds_store_b32 v2, v10
	v_add_nc_u32_e32 v2, 0x200, v2
	v_cmp_lt_u32_e64 s10, 0x37f, v1
	s_or_b32 s15, s10, s15
	s_delay_alu instid0(SALU_CYCLE_1)
	s_and_not1_b32 exec_lo, exec_lo, s15
	s_cbranch_execnz .LBB13_5
; %bb.6:                                ;   in Loop: Header=BB13_4 Depth=2
	s_or_b32 exec_lo, exec_lo, s15
	s_sub_i32 s10, 28, s14
	s_delay_alu instid0(SALU_CYCLE_1) | instskip(NEXT) | instid1(VALU_DEP_1)
	v_lshlrev_b32_e32 v1, s10, v14
	v_lshrrev_b32_e32 v2, 21, v1
	s_delay_alu instid0(VALU_DEP_1) | instskip(NEXT) | instid1(VALU_DEP_1)
	v_and_or_b32 v2, 0x380, v2, v0
	v_alignbit_b32 v1, v2, v1, 31
	s_delay_alu instid0(VALU_DEP_1) | instskip(SKIP_3) | instid1(VALU_DEP_1)
	v_lshlrev_b32_e32 v20, 1, v1
	v_lshlrev_b32_e32 v1, s10, v15
	ds_load_u16 v53, v20
	v_lshrrev_b32_e32 v2, 21, v1
	v_and_or_b32 v2, 0x380, v2, v0
	s_delay_alu instid0(VALU_DEP_1) | instskip(NEXT) | instid1(VALU_DEP_1)
	v_alignbit_b32 v1, v2, v1, 31
	v_lshlrev_b32_e32 v31, 1, v1
	v_lshlrev_b32_e32 v1, s10, v16
	s_waitcnt lgkmcnt(0)
	v_add_nc_u16 v2, v53, 1
	ds_store_b16 v20, v2
	ds_load_u16 v56, v31
	v_lshrrev_b32_e32 v2, 21, v1
	s_delay_alu instid0(VALU_DEP_1) | instskip(NEXT) | instid1(VALU_DEP_1)
	v_and_or_b32 v2, 0x380, v2, v0
	v_alignbit_b32 v1, v2, v1, 31
	s_delay_alu instid0(VALU_DEP_1)
	v_lshlrev_b32_e32 v43, 1, v1
	v_lshlrev_b32_e32 v1, s10, v17
	s_waitcnt lgkmcnt(0)
	v_add_nc_u16 v2, v56, 1
	ds_store_b16 v31, v2
	ds_load_u16 v58, v43
	v_lshrrev_b32_e32 v2, 21, v1
	s_delay_alu instid0(VALU_DEP_1) | instskip(NEXT) | instid1(VALU_DEP_1)
	v_and_or_b32 v2, 0x380, v2, v0
	v_alignbit_b32 v1, v2, v1, 31
	s_delay_alu instid0(VALU_DEP_1)
	;; [unrolled: 11-line block ×30, first 2 shown]
	v_lshlrev_b32_e32 v103, 1, v1
	s_waitcnt lgkmcnt(0)
	v_add_nc_u16 v2, v109, 1
	ds_store_b16 v101, v2
	ds_load_u16 v110, v103
	s_waitcnt lgkmcnt(0)
	v_add_nc_u16 v1, v110, 1
	ds_store_b16 v103, v1
	s_waitcnt lgkmcnt(0)
	s_barrier
	buffer_gl0_inv
	ds_load_2addr_b32 v[3:4], v9 offset1:1
	ds_load_2addr_b32 v[5:6], v9 offset0:2 offset1:3
	ds_load_2addr_b32 v[7:8], v9 offset0:4 offset1:5
	;; [unrolled: 1-line block ×3, first 2 shown]
	s_waitcnt lgkmcnt(3)
	v_add_nc_u32_e32 v111, v4, v3
	s_waitcnt lgkmcnt(2)
	s_delay_alu instid0(VALU_DEP_1) | instskip(SKIP_1) | instid1(VALU_DEP_1)
	v_add3_u32 v111, v111, v5, v6
	s_waitcnt lgkmcnt(1)
	v_add3_u32 v111, v111, v7, v8
	s_waitcnt lgkmcnt(0)
	s_delay_alu instid0(VALU_DEP_1) | instskip(NEXT) | instid1(VALU_DEP_1)
	v_add3_u32 v2, v111, v1, v2
	v_mov_b32_dpp v111, v2 row_shr:1 row_mask:0xf bank_mask:0xf
	s_delay_alu instid0(VALU_DEP_1) | instskip(NEXT) | instid1(VALU_DEP_1)
	v_cndmask_b32_e64 v111, v111, 0, s2
	v_add_nc_u32_e32 v2, v111, v2
	s_delay_alu instid0(VALU_DEP_1) | instskip(NEXT) | instid1(VALU_DEP_1)
	v_mov_b32_dpp v111, v2 row_shr:2 row_mask:0xf bank_mask:0xf
	v_cndmask_b32_e64 v111, 0, v111, s3
	s_delay_alu instid0(VALU_DEP_1) | instskip(NEXT) | instid1(VALU_DEP_1)
	v_add_nc_u32_e32 v2, v2, v111
	v_mov_b32_dpp v111, v2 row_shr:4 row_mask:0xf bank_mask:0xf
	s_delay_alu instid0(VALU_DEP_1) | instskip(NEXT) | instid1(VALU_DEP_1)
	v_cndmask_b32_e64 v111, 0, v111, s4
	v_add_nc_u32_e32 v2, v2, v111
	s_delay_alu instid0(VALU_DEP_1) | instskip(NEXT) | instid1(VALU_DEP_1)
	v_mov_b32_dpp v111, v2 row_shr:8 row_mask:0xf bank_mask:0xf
	v_cndmask_b32_e64 v111, 0, v111, s5
	s_delay_alu instid0(VALU_DEP_1) | instskip(SKIP_3) | instid1(VALU_DEP_1)
	v_add_nc_u32_e32 v2, v2, v111
	ds_swizzle_b32 v111, v2 offset:swizzle(BROADCAST,32,15)
	s_waitcnt lgkmcnt(0)
	v_cndmask_b32_e64 v111, v111, 0, s6
	v_add_nc_u32_e32 v2, v2, v111
	s_and_saveexec_b32 s10, s7
	s_cbranch_execz .LBB13_8
; %bb.7:                                ;   in Loop: Header=BB13_4 Depth=2
	ds_store_b32 v12, v2 offset:4096
.LBB13_8:                               ;   in Loop: Header=BB13_4 Depth=2
	s_or_b32 exec_lo, exec_lo, s10
	s_waitcnt lgkmcnt(0)
	s_barrier
	buffer_gl0_inv
	s_and_saveexec_b32 s10, vcc_lo
	s_cbranch_execz .LBB13_10
; %bb.9:                                ;   in Loop: Header=BB13_4 Depth=2
	ds_load_b32 v111, v11 offset:4096
	s_waitcnt lgkmcnt(0)
	v_mov_b32_dpp v112, v111 row_shr:1 row_mask:0xf bank_mask:0xf
	s_delay_alu instid0(VALU_DEP_1) | instskip(NEXT) | instid1(VALU_DEP_1)
	v_cndmask_b32_e64 v112, v112, 0, s8
	v_add_nc_u32_e32 v111, v112, v111
	s_delay_alu instid0(VALU_DEP_1) | instskip(NEXT) | instid1(VALU_DEP_1)
	v_mov_b32_dpp v112, v111 row_shr:2 row_mask:0xf bank_mask:0xf
	v_cndmask_b32_e64 v112, 0, v112, s9
	s_delay_alu instid0(VALU_DEP_1)
	v_add_nc_u32_e32 v111, v111, v112
	ds_store_b32 v11, v111 offset:4096
.LBB13_10:                              ;   in Loop: Header=BB13_4 Depth=2
	s_or_b32 exec_lo, exec_lo, s10
	v_mov_b32_e32 v111, 0
	s_waitcnt lgkmcnt(0)
	s_barrier
	buffer_gl0_inv
	s_and_saveexec_b32 s10, s0
	s_cbranch_execz .LBB13_3
; %bb.11:                               ;   in Loop: Header=BB13_4 Depth=2
	ds_load_b32 v111, v12 offset:4092
	s_branch .LBB13_3
.LBB13_12:
	v_and_b32_e32 v0, 0xffff, v53
	v_and_b32_e32 v1, 0xffff, v56
	;; [unrolled: 1-line block ×6, first 2 shown]
	ds_load_u16 v10, v57
	ds_load_u16 v36, v54
	;; [unrolled: 1-line block ×32, first 2 shown]
	v_and_b32_e32 v7, 0xffff, v68
	v_and_b32_e32 v8, 0xffff, v69
	;; [unrolled: 1-line block ×26, first 2 shown]
	s_waitcnt lgkmcnt(24)
	v_add_nc_u32_e32 v0, v20, v0
	v_add_nc_u32_e32 v1, v31, v1
	;; [unrolled: 1-line block ×5, first 2 shown]
	s_waitcnt lgkmcnt(16)
	v_add_nc_u32_e32 v10, v48, v8
	v_lshlrev_b32_e32 v8, 2, v9
	v_add_nc_u32_e32 v4, v38, v4
	v_add_nc_u32_e32 v5, v37, v5
	;; [unrolled: 1-line block ×6, first 2 shown]
	s_add_u32 s0, s18, s12
	v_add_nc_u32_e32 v14, v44, v14
	v_add_nc_u32_e32 v15, v43, v15
	;; [unrolled: 1-line block ×4, first 2 shown]
	s_addc_u32 s1, s19, s13
	s_waitcnt lgkmcnt(8)
	v_add_nc_u32_e32 v18, v56, v18
	v_add_nc_u32_e32 v19, v55, v19
	;; [unrolled: 1-line block ×8, first 2 shown]
	s_waitcnt lgkmcnt(0)
	v_add_nc_u32_e32 v26, v64, v27
	v_add_nc_u32_e32 v27, v63, v28
	;; [unrolled: 1-line block ×8, first 2 shown]
	s_clause 0x7
	global_store_b128 v8, v[0:3], s[0:1]
	global_store_b128 v8, v[4:7], s[0:1] offset:16
	global_store_b128 v8, v[10:13], s[0:1] offset:32
	;; [unrolled: 1-line block ×7, first 2 shown]
	s_nop 0
	s_sendmsg sendmsg(MSG_DEALLOC_VGPRS)
	s_endpgm
	.section	.rodata,"a",@progbits
	.p2align	6, 0x0
	.amdhsa_kernel _Z11rank_kernelIiLj4ELb0EL18RadixRankAlgorithm1ELj128ELj32ELj10EEvPKT_Pi
		.amdhsa_group_segment_fixed_size 4112
		.amdhsa_private_segment_fixed_size 0
		.amdhsa_kernarg_size 16
		.amdhsa_user_sgpr_count 15
		.amdhsa_user_sgpr_dispatch_ptr 0
		.amdhsa_user_sgpr_queue_ptr 0
		.amdhsa_user_sgpr_kernarg_segment_ptr 1
		.amdhsa_user_sgpr_dispatch_id 0
		.amdhsa_user_sgpr_private_segment_size 0
		.amdhsa_wavefront_size32 1
		.amdhsa_uses_dynamic_stack 0
		.amdhsa_enable_private_segment 0
		.amdhsa_system_sgpr_workgroup_id_x 1
		.amdhsa_system_sgpr_workgroup_id_y 0
		.amdhsa_system_sgpr_workgroup_id_z 0
		.amdhsa_system_sgpr_workgroup_info 0
		.amdhsa_system_vgpr_workitem_id 0
		.amdhsa_next_free_vgpr 113
		.amdhsa_next_free_sgpr 20
		.amdhsa_reserve_vcc 1
		.amdhsa_float_round_mode_32 0
		.amdhsa_float_round_mode_16_64 0
		.amdhsa_float_denorm_mode_32 3
		.amdhsa_float_denorm_mode_16_64 3
		.amdhsa_dx10_clamp 1
		.amdhsa_ieee_mode 1
		.amdhsa_fp16_overflow 0
		.amdhsa_workgroup_processor_mode 1
		.amdhsa_memory_ordered 1
		.amdhsa_forward_progress 0
		.amdhsa_shared_vgpr_count 0
		.amdhsa_exception_fp_ieee_invalid_op 0
		.amdhsa_exception_fp_denorm_src 0
		.amdhsa_exception_fp_ieee_div_zero 0
		.amdhsa_exception_fp_ieee_overflow 0
		.amdhsa_exception_fp_ieee_underflow 0
		.amdhsa_exception_fp_ieee_inexact 0
		.amdhsa_exception_int_div_zero 0
	.end_amdhsa_kernel
	.section	.text._Z11rank_kernelIiLj4ELb0EL18RadixRankAlgorithm1ELj128ELj32ELj10EEvPKT_Pi,"axG",@progbits,_Z11rank_kernelIiLj4ELb0EL18RadixRankAlgorithm1ELj128ELj32ELj10EEvPKT_Pi,comdat
.Lfunc_end13:
	.size	_Z11rank_kernelIiLj4ELb0EL18RadixRankAlgorithm1ELj128ELj32ELj10EEvPKT_Pi, .Lfunc_end13-_Z11rank_kernelIiLj4ELb0EL18RadixRankAlgorithm1ELj128ELj32ELj10EEvPKT_Pi
                                        ; -- End function
	.section	.AMDGPU.csdata,"",@progbits
; Kernel info:
; codeLenInByte = 4124
; NumSgprs: 22
; NumVgprs: 113
; ScratchSize: 0
; MemoryBound: 0
; FloatMode: 240
; IeeeMode: 1
; LDSByteSize: 4112 bytes/workgroup (compile time only)
; SGPRBlocks: 2
; VGPRBlocks: 14
; NumSGPRsForWavesPerEU: 22
; NumVGPRsForWavesPerEU: 113
; Occupancy: 12
; WaveLimiterHint : 0
; COMPUTE_PGM_RSRC2:SCRATCH_EN: 0
; COMPUTE_PGM_RSRC2:USER_SGPR: 15
; COMPUTE_PGM_RSRC2:TRAP_HANDLER: 0
; COMPUTE_PGM_RSRC2:TGID_X_EN: 1
; COMPUTE_PGM_RSRC2:TGID_Y_EN: 0
; COMPUTE_PGM_RSRC2:TGID_Z_EN: 0
; COMPUTE_PGM_RSRC2:TIDIG_COMP_CNT: 0
	.section	.text._Z11rank_kernelIiLj4ELb0EL18RadixRankAlgorithm2ELj128ELj32ELj10EEvPKT_Pi,"axG",@progbits,_Z11rank_kernelIiLj4ELb0EL18RadixRankAlgorithm2ELj128ELj32ELj10EEvPKT_Pi,comdat
	.protected	_Z11rank_kernelIiLj4ELb0EL18RadixRankAlgorithm2ELj128ELj32ELj10EEvPKT_Pi ; -- Begin function _Z11rank_kernelIiLj4ELb0EL18RadixRankAlgorithm2ELj128ELj32ELj10EEvPKT_Pi
	.globl	_Z11rank_kernelIiLj4ELb0EL18RadixRankAlgorithm2ELj128ELj32ELj10EEvPKT_Pi
	.p2align	8
	.type	_Z11rank_kernelIiLj4ELb0EL18RadixRankAlgorithm2ELj128ELj32ELj10EEvPKT_Pi,@function
_Z11rank_kernelIiLj4ELb0EL18RadixRankAlgorithm2ELj128ELj32ELj10EEvPKT_Pi: ; @_Z11rank_kernelIiLj4ELb0EL18RadixRankAlgorithm2ELj128ELj32ELj10EEvPKT_Pi
; %bb.0:
	s_clause 0x1
	s_load_b128 s[16:19], s[0:1], 0x0
	s_load_b32 s7, s[0:1], 0x1c
	v_and_b32_e32 v3, 0x3ff, v0
	s_mov_b32 s21, 0
	s_lshl_b32 s20, s15, 12
	v_mbcnt_lo_u32_b32 v4, -1, 0
	s_lshl_b64 s[12:13], s[20:21], 2
	v_lshlrev_b32_e32 v1, 7, v3
	v_bfe_u32 v5, v0, 10, 10
	v_bfe_u32 v38, v0, 20, 10
	v_and_b32_e32 v39, 15, v4
	v_add_nc_u32_e32 v41, -1, v4
	v_cmp_eq_u32_e32 vcc_lo, 0, v4
	v_and_b32_e32 v42, 3, v4
	v_lshlrev_b32_e32 v0, 5, v3
	v_cmp_lt_u32_e64 s2, 3, v39
	v_cmp_lt_u32_e64 s3, 7, v39
	v_lshlrev_b32_e32 v2, 2, v3
	v_cmp_lt_u32_e64 s6, 31, v3
	v_cmp_lt_u32_e64 s8, 1, v42
	s_waitcnt lgkmcnt(0)
	s_add_u32 s0, s16, s12
	s_addc_u32 s1, s17, s13
	s_lshr_b32 s5, s7, 16
	s_clause 0x7
	global_load_b128 v[6:9], v1, s[0:1]
	global_load_b128 v[10:13], v1, s[0:1] offset:16
	global_load_b128 v[14:17], v1, s[0:1] offset:32
	;; [unrolled: 1-line block ×7, first 2 shown]
	v_mad_u32_u24 v5, v38, s5, v5
	s_and_b32 s7, s7, 0xffff
	v_dual_mov_b32 v1, 0 :: v_dual_and_b32 v40, 16, v4
	v_cmp_eq_u32_e64 s0, 0, v39
	v_cmp_lt_u32_e64 s1, 1, v39
	v_mad_u64_u32 v[38:39], null, v5, s7, v[3:4]
	v_cmp_gt_i32_e64 s7, 0, v41
	v_cmp_eq_u32_e64 s4, 0, v40
	v_or_b32_e32 v40, 31, v3
	v_lshrrev_b32_e32 v5, 3, v3
	v_cmp_gt_u32_e64 s5, 4, v3
	v_cndmask_b32_e64 v4, v41, v4, s7
	v_cmp_eq_u32_e64 s7, 0, v42
	v_cmp_eq_u32_e64 s9, v40, v3
	s_delay_alu instid0(VALU_DEP_3) | instskip(SKIP_2) | instid1(VALU_DEP_2)
	v_lshlrev_b32_e32 v3, 2, v4
	v_and_b32_e32 v4, 12, v5
	v_lshrrev_b32_e32 v5, 5, v38
	v_add_nc_u32_e32 v38, -4, v4
	s_waitcnt vmcnt(7)
	v_xor_b32_e32 v6, 0x80000000, v6
	v_xor_b32_e32 v7, 0x80000000, v7
	v_xor_b32_e32 v8, 0x80000000, v8
	v_xor_b32_e32 v9, 0x80000000, v9
	s_waitcnt vmcnt(6)
	v_xor_b32_e32 v10, 0x80000000, v10
	v_xor_b32_e32 v11, 0x80000000, v11
	v_xor_b32_e32 v12, 0x80000000, v12
	v_xor_b32_e32 v13, 0x80000000, v13
	;; [unrolled: 5-line block ×8, first 2 shown]
	s_branch .LBB14_2
.LBB14_1:                               ;   in Loop: Header=BB14_2 Depth=1
	s_add_i32 s21, s21, 1
	s_delay_alu instid0(SALU_CYCLE_1)
	s_cmp_eq_u32 s21, 10
	s_cbranch_scc1 .LBB14_74
.LBB14_2:                               ; =>This Loop Header: Depth=1
                                        ;     Child Loop BB14_4 Depth 2
	s_mov_b32 s14, -4
	s_mov_b32 s15, 28
	s_branch .LBB14_4
.LBB14_3:                               ;   in Loop: Header=BB14_4 Depth=2
	s_or_b32 exec_lo, exec_lo, s10
	s_waitcnt lgkmcnt(0)
	v_add_nc_u32_e32 v134, v135, v134
	s_add_i32 s14, s14, 4
	s_add_i32 s15, s15, -4
	s_cmp_lt_u32 s14, 28
	ds_bpermute_b32 v134, v3, v134
	s_waitcnt lgkmcnt(0)
	v_cndmask_b32_e32 v134, v134, v135, vcc_lo
	ds_store_b32 v2, v134 offset:16
	s_waitcnt lgkmcnt(0)
	s_barrier
	buffer_gl0_inv
	s_cbranch_scc0 .LBB14_1
.LBB14_4:                               ;   Parent Loop BB14_2 Depth=1
                                        ; =>  This Inner Loop Header: Depth=2
	v_lshlrev_b32_e32 v39, s15, v6
	ds_store_b32 v2, v1 offset:16
	s_waitcnt lgkmcnt(0)
	s_barrier
	buffer_gl0_inv
	v_bfe_u32 v40, v39, 28, 1
	v_lshrrev_b32_e32 v42, 28, v39
	v_not_b32_e32 v45, v39
	; wave barrier
	s_delay_alu instid0(VALU_DEP_3) | instskip(NEXT) | instid1(VALU_DEP_1)
	v_add_co_u32 v40, s10, v40, -1
	v_cndmask_b32_e64 v41, 0, 1, s10
	s_delay_alu instid0(VALU_DEP_4) | instskip(SKIP_1) | instid1(VALU_DEP_3)
	v_lshlrev_b32_e32 v43, 30, v42
	v_lshlrev_b32_e32 v44, 29, v42
	v_cmp_ne_u32_e64 s10, 0, v41
	s_delay_alu instid0(VALU_DEP_3) | instskip(SKIP_1) | instid1(VALU_DEP_4)
	v_not_b32_e32 v41, v43
	v_cmp_gt_i32_e64 s11, 0, v43
	v_not_b32_e32 v43, v44
	s_delay_alu instid0(VALU_DEP_4) | instskip(NEXT) | instid1(VALU_DEP_4)
	v_xor_b32_e32 v40, s10, v40
	v_ashrrev_i32_e32 v41, 31, v41
	v_cmp_gt_i32_e64 s10, 0, v44
	s_delay_alu instid0(VALU_DEP_4) | instskip(NEXT) | instid1(VALU_DEP_4)
	v_ashrrev_i32_e32 v43, 31, v43
	v_and_b32_e32 v40, exec_lo, v40
	s_delay_alu instid0(VALU_DEP_4) | instskip(SKIP_3) | instid1(VALU_DEP_4)
	v_xor_b32_e32 v41, s11, v41
	v_cmp_gt_i32_e64 s11, 0, v39
	v_ashrrev_i32_e32 v39, 31, v45
	v_xor_b32_e32 v43, s10, v43
	v_and_b32_e32 v40, v40, v41
	s_delay_alu instid0(VALU_DEP_3) | instskip(NEXT) | instid1(VALU_DEP_2)
	v_xor_b32_e32 v39, s11, v39
	v_and_b32_e32 v40, v40, v43
	s_delay_alu instid0(VALU_DEP_1) | instskip(SKIP_1) | instid1(VALU_DEP_2)
	v_and_b32_e32 v41, v40, v39
	v_mad_u32_u24 v40, v42, 5, v5
	v_mbcnt_lo_u32_b32 v39, v41, 0
	v_cmp_ne_u32_e64 s11, 0, v41
	s_delay_alu instid0(VALU_DEP_3) | instskip(NEXT) | instid1(VALU_DEP_3)
	v_lshl_add_u32 v40, v40, 2, 16
	v_cmp_eq_u32_e64 s10, 0, v39
	s_delay_alu instid0(VALU_DEP_1) | instskip(NEXT) | instid1(SALU_CYCLE_1)
	s_and_b32 s11, s10, s11
	s_and_saveexec_b32 s10, s11
	s_cbranch_execz .LBB14_6
; %bb.5:                                ;   in Loop: Header=BB14_4 Depth=2
	v_bcnt_u32_b32 v41, v41, 0
	ds_store_b32 v40, v41
.LBB14_6:                               ;   in Loop: Header=BB14_4 Depth=2
	s_or_b32 exec_lo, exec_lo, s10
	v_lshlrev_b32_e32 v41, s15, v7
	; wave barrier
	s_delay_alu instid0(VALU_DEP_1) | instskip(SKIP_2) | instid1(VALU_DEP_3)
	v_bfe_u32 v42, v41, 28, 1
	v_lshrrev_b32_e32 v43, 28, v41
	v_not_b32_e32 v47, v41
	v_add_co_u32 v42, s10, v42, -1
	s_delay_alu instid0(VALU_DEP_1) | instskip(NEXT) | instid1(VALU_DEP_4)
	v_cndmask_b32_e64 v44, 0, 1, s10
	v_lshlrev_b32_e32 v45, 30, v43
	v_lshlrev_b32_e32 v46, 29, v43
	s_delay_alu instid0(VALU_DEP_3) | instskip(NEXT) | instid1(VALU_DEP_3)
	v_cmp_ne_u32_e64 s10, 0, v44
	v_not_b32_e32 v44, v45
	v_cmp_gt_i32_e64 s11, 0, v45
	s_delay_alu instid0(VALU_DEP_4) | instskip(NEXT) | instid1(VALU_DEP_4)
	v_not_b32_e32 v45, v46
	v_xor_b32_e32 v42, s10, v42
	s_delay_alu instid0(VALU_DEP_4) | instskip(SKIP_1) | instid1(VALU_DEP_4)
	v_ashrrev_i32_e32 v44, 31, v44
	v_cmp_gt_i32_e64 s10, 0, v46
	v_ashrrev_i32_e32 v45, 31, v45
	s_delay_alu instid0(VALU_DEP_4) | instskip(NEXT) | instid1(VALU_DEP_4)
	v_and_b32_e32 v42, exec_lo, v42
	v_xor_b32_e32 v44, s11, v44
	v_cmp_gt_i32_e64 s11, 0, v41
	v_mul_u32_u24_e32 v41, 5, v43
	v_ashrrev_i32_e32 v43, 31, v47
	v_xor_b32_e32 v45, s10, v45
	v_and_b32_e32 v42, v42, v44
	s_delay_alu instid0(VALU_DEP_4) | instskip(NEXT) | instid1(VALU_DEP_4)
	v_add_lshl_u32 v46, v41, v5, 2
	v_xor_b32_e32 v43, s11, v43
	s_delay_alu instid0(VALU_DEP_3) | instskip(SKIP_3) | instid1(VALU_DEP_2)
	v_and_b32_e32 v42, v42, v45
	ds_load_b32 v41, v46 offset:16
	; wave barrier
	v_and_b32_e32 v44, v42, v43
	v_add_nc_u32_e32 v43, 16, v46
	v_mbcnt_lo_u32_b32 v42, v44, 0
	v_cmp_ne_u32_e64 s11, 0, v44
	s_delay_alu instid0(VALU_DEP_2) | instskip(NEXT) | instid1(VALU_DEP_1)
	v_cmp_eq_u32_e64 s10, 0, v42
	s_and_b32 s11, s11, s10
	s_delay_alu instid0(SALU_CYCLE_1)
	s_and_saveexec_b32 s10, s11
	s_cbranch_execz .LBB14_8
; %bb.7:                                ;   in Loop: Header=BB14_4 Depth=2
	s_waitcnt lgkmcnt(0)
	v_bcnt_u32_b32 v44, v44, v41
	ds_store_b32 v43, v44
.LBB14_8:                               ;   in Loop: Header=BB14_4 Depth=2
	s_or_b32 exec_lo, exec_lo, s10
	v_lshlrev_b32_e32 v44, s15, v8
	; wave barrier
	s_delay_alu instid0(VALU_DEP_1) | instskip(SKIP_2) | instid1(VALU_DEP_3)
	v_bfe_u32 v45, v44, 28, 1
	v_lshrrev_b32_e32 v46, 28, v44
	v_not_b32_e32 v50, v44
	v_add_co_u32 v45, s10, v45, -1
	s_delay_alu instid0(VALU_DEP_1) | instskip(NEXT) | instid1(VALU_DEP_4)
	v_cndmask_b32_e64 v47, 0, 1, s10
	v_lshlrev_b32_e32 v48, 30, v46
	v_lshlrev_b32_e32 v49, 29, v46
	s_delay_alu instid0(VALU_DEP_3) | instskip(NEXT) | instid1(VALU_DEP_3)
	v_cmp_ne_u32_e64 s10, 0, v47
	v_not_b32_e32 v47, v48
	v_cmp_gt_i32_e64 s11, 0, v48
	s_delay_alu instid0(VALU_DEP_4) | instskip(NEXT) | instid1(VALU_DEP_4)
	v_not_b32_e32 v48, v49
	v_xor_b32_e32 v45, s10, v45
	s_delay_alu instid0(VALU_DEP_4) | instskip(SKIP_1) | instid1(VALU_DEP_4)
	v_ashrrev_i32_e32 v47, 31, v47
	v_cmp_gt_i32_e64 s10, 0, v49
	v_ashrrev_i32_e32 v48, 31, v48
	s_delay_alu instid0(VALU_DEP_4) | instskip(NEXT) | instid1(VALU_DEP_4)
	v_and_b32_e32 v45, exec_lo, v45
	v_xor_b32_e32 v47, s11, v47
	v_cmp_gt_i32_e64 s11, 0, v44
	v_mul_u32_u24_e32 v44, 5, v46
	v_ashrrev_i32_e32 v46, 31, v50
	v_xor_b32_e32 v48, s10, v48
	v_and_b32_e32 v45, v45, v47
	s_delay_alu instid0(VALU_DEP_4) | instskip(NEXT) | instid1(VALU_DEP_4)
	v_add_lshl_u32 v49, v44, v5, 2
	v_xor_b32_e32 v46, s11, v46
	s_delay_alu instid0(VALU_DEP_3) | instskip(SKIP_3) | instid1(VALU_DEP_2)
	v_and_b32_e32 v45, v45, v48
	ds_load_b32 v44, v49 offset:16
	; wave barrier
	v_and_b32_e32 v47, v45, v46
	v_add_nc_u32_e32 v46, 16, v49
	v_mbcnt_lo_u32_b32 v45, v47, 0
	v_cmp_ne_u32_e64 s11, 0, v47
	s_delay_alu instid0(VALU_DEP_2) | instskip(NEXT) | instid1(VALU_DEP_1)
	v_cmp_eq_u32_e64 s10, 0, v45
	s_and_b32 s11, s11, s10
	s_delay_alu instid0(SALU_CYCLE_1)
	s_and_saveexec_b32 s10, s11
	s_cbranch_execz .LBB14_10
; %bb.9:                                ;   in Loop: Header=BB14_4 Depth=2
	s_waitcnt lgkmcnt(0)
	v_bcnt_u32_b32 v47, v47, v44
	ds_store_b32 v46, v47
.LBB14_10:                              ;   in Loop: Header=BB14_4 Depth=2
	s_or_b32 exec_lo, exec_lo, s10
	v_lshlrev_b32_e32 v47, s15, v9
	; wave barrier
	s_delay_alu instid0(VALU_DEP_1) | instskip(SKIP_2) | instid1(VALU_DEP_3)
	v_bfe_u32 v48, v47, 28, 1
	v_lshrrev_b32_e32 v49, 28, v47
	v_not_b32_e32 v53, v47
	v_add_co_u32 v48, s10, v48, -1
	s_delay_alu instid0(VALU_DEP_1) | instskip(NEXT) | instid1(VALU_DEP_4)
	v_cndmask_b32_e64 v50, 0, 1, s10
	v_lshlrev_b32_e32 v51, 30, v49
	v_lshlrev_b32_e32 v52, 29, v49
	s_delay_alu instid0(VALU_DEP_3) | instskip(NEXT) | instid1(VALU_DEP_3)
	v_cmp_ne_u32_e64 s10, 0, v50
	v_not_b32_e32 v50, v51
	v_cmp_gt_i32_e64 s11, 0, v51
	s_delay_alu instid0(VALU_DEP_4) | instskip(NEXT) | instid1(VALU_DEP_4)
	v_not_b32_e32 v51, v52
	v_xor_b32_e32 v48, s10, v48
	s_delay_alu instid0(VALU_DEP_4) | instskip(SKIP_1) | instid1(VALU_DEP_4)
	v_ashrrev_i32_e32 v50, 31, v50
	v_cmp_gt_i32_e64 s10, 0, v52
	v_ashrrev_i32_e32 v51, 31, v51
	s_delay_alu instid0(VALU_DEP_4) | instskip(NEXT) | instid1(VALU_DEP_4)
	v_and_b32_e32 v48, exec_lo, v48
	v_xor_b32_e32 v50, s11, v50
	v_cmp_gt_i32_e64 s11, 0, v47
	v_mul_u32_u24_e32 v47, 5, v49
	v_ashrrev_i32_e32 v49, 31, v53
	v_xor_b32_e32 v51, s10, v51
	v_and_b32_e32 v48, v48, v50
	s_delay_alu instid0(VALU_DEP_4) | instskip(NEXT) | instid1(VALU_DEP_4)
	v_add_lshl_u32 v52, v47, v5, 2
	v_xor_b32_e32 v49, s11, v49
	s_delay_alu instid0(VALU_DEP_3) | instskip(SKIP_3) | instid1(VALU_DEP_2)
	v_and_b32_e32 v48, v48, v51
	ds_load_b32 v47, v52 offset:16
	; wave barrier
	v_and_b32_e32 v50, v48, v49
	v_add_nc_u32_e32 v49, 16, v52
	v_mbcnt_lo_u32_b32 v48, v50, 0
	v_cmp_ne_u32_e64 s11, 0, v50
	s_delay_alu instid0(VALU_DEP_2) | instskip(NEXT) | instid1(VALU_DEP_1)
	v_cmp_eq_u32_e64 s10, 0, v48
	s_and_b32 s11, s11, s10
	s_delay_alu instid0(SALU_CYCLE_1)
	s_and_saveexec_b32 s10, s11
	s_cbranch_execz .LBB14_12
; %bb.11:                               ;   in Loop: Header=BB14_4 Depth=2
	s_waitcnt lgkmcnt(0)
	v_bcnt_u32_b32 v50, v50, v47
	ds_store_b32 v49, v50
.LBB14_12:                              ;   in Loop: Header=BB14_4 Depth=2
	s_or_b32 exec_lo, exec_lo, s10
	v_lshlrev_b32_e32 v50, s15, v10
	; wave barrier
	s_delay_alu instid0(VALU_DEP_1) | instskip(SKIP_2) | instid1(VALU_DEP_3)
	v_bfe_u32 v51, v50, 28, 1
	v_lshrrev_b32_e32 v52, 28, v50
	v_not_b32_e32 v56, v50
	v_add_co_u32 v51, s10, v51, -1
	s_delay_alu instid0(VALU_DEP_1) | instskip(NEXT) | instid1(VALU_DEP_4)
	v_cndmask_b32_e64 v53, 0, 1, s10
	v_lshlrev_b32_e32 v54, 30, v52
	v_lshlrev_b32_e32 v55, 29, v52
	s_delay_alu instid0(VALU_DEP_3) | instskip(NEXT) | instid1(VALU_DEP_3)
	v_cmp_ne_u32_e64 s10, 0, v53
	v_not_b32_e32 v53, v54
	v_cmp_gt_i32_e64 s11, 0, v54
	s_delay_alu instid0(VALU_DEP_4) | instskip(NEXT) | instid1(VALU_DEP_4)
	v_not_b32_e32 v54, v55
	v_xor_b32_e32 v51, s10, v51
	s_delay_alu instid0(VALU_DEP_4) | instskip(SKIP_1) | instid1(VALU_DEP_4)
	v_ashrrev_i32_e32 v53, 31, v53
	v_cmp_gt_i32_e64 s10, 0, v55
	v_ashrrev_i32_e32 v54, 31, v54
	s_delay_alu instid0(VALU_DEP_4) | instskip(NEXT) | instid1(VALU_DEP_4)
	v_and_b32_e32 v51, exec_lo, v51
	v_xor_b32_e32 v53, s11, v53
	v_cmp_gt_i32_e64 s11, 0, v50
	v_mul_u32_u24_e32 v50, 5, v52
	v_ashrrev_i32_e32 v52, 31, v56
	v_xor_b32_e32 v54, s10, v54
	v_and_b32_e32 v51, v51, v53
	s_delay_alu instid0(VALU_DEP_4) | instskip(NEXT) | instid1(VALU_DEP_4)
	v_add_lshl_u32 v55, v50, v5, 2
	v_xor_b32_e32 v52, s11, v52
	s_delay_alu instid0(VALU_DEP_3) | instskip(SKIP_3) | instid1(VALU_DEP_2)
	v_and_b32_e32 v51, v51, v54
	ds_load_b32 v50, v55 offset:16
	; wave barrier
	v_and_b32_e32 v53, v51, v52
	v_add_nc_u32_e32 v52, 16, v55
	v_mbcnt_lo_u32_b32 v51, v53, 0
	v_cmp_ne_u32_e64 s11, 0, v53
	s_delay_alu instid0(VALU_DEP_2) | instskip(NEXT) | instid1(VALU_DEP_1)
	v_cmp_eq_u32_e64 s10, 0, v51
	s_and_b32 s11, s11, s10
	s_delay_alu instid0(SALU_CYCLE_1)
	s_and_saveexec_b32 s10, s11
	s_cbranch_execz .LBB14_14
; %bb.13:                               ;   in Loop: Header=BB14_4 Depth=2
	s_waitcnt lgkmcnt(0)
	v_bcnt_u32_b32 v53, v53, v50
	ds_store_b32 v52, v53
.LBB14_14:                              ;   in Loop: Header=BB14_4 Depth=2
	;; [unrolled: 53-line block ×29, first 2 shown]
	s_or_b32 exec_lo, exec_lo, s10
	; wave barrier
	s_waitcnt lgkmcnt(0)
	s_barrier
	buffer_gl0_inv
	ds_load_b32 v134, v2 offset:16
	s_waitcnt lgkmcnt(0)
	v_mov_b32_dpp v135, v134 row_shr:1 row_mask:0xf bank_mask:0xf
	s_delay_alu instid0(VALU_DEP_1) | instskip(NEXT) | instid1(VALU_DEP_1)
	v_cndmask_b32_e64 v135, v135, 0, s0
	v_add_nc_u32_e32 v134, v135, v134
	s_delay_alu instid0(VALU_DEP_1) | instskip(NEXT) | instid1(VALU_DEP_1)
	v_mov_b32_dpp v135, v134 row_shr:2 row_mask:0xf bank_mask:0xf
	v_cndmask_b32_e64 v135, 0, v135, s1
	s_delay_alu instid0(VALU_DEP_1) | instskip(NEXT) | instid1(VALU_DEP_1)
	v_add_nc_u32_e32 v134, v134, v135
	v_mov_b32_dpp v135, v134 row_shr:4 row_mask:0xf bank_mask:0xf
	s_delay_alu instid0(VALU_DEP_1) | instskip(NEXT) | instid1(VALU_DEP_1)
	v_cndmask_b32_e64 v135, 0, v135, s2
	v_add_nc_u32_e32 v134, v134, v135
	s_delay_alu instid0(VALU_DEP_1) | instskip(NEXT) | instid1(VALU_DEP_1)
	v_mov_b32_dpp v135, v134 row_shr:8 row_mask:0xf bank_mask:0xf
	v_cndmask_b32_e64 v135, 0, v135, s3
	s_delay_alu instid0(VALU_DEP_1) | instskip(SKIP_3) | instid1(VALU_DEP_1)
	v_add_nc_u32_e32 v134, v134, v135
	ds_swizzle_b32 v135, v134 offset:swizzle(BROADCAST,32,15)
	s_waitcnt lgkmcnt(0)
	v_cndmask_b32_e64 v135, v135, 0, s4
	v_add_nc_u32_e32 v134, v134, v135
	s_and_saveexec_b32 s10, s9
	s_delay_alu instid0(SALU_CYCLE_1)
	s_xor_b32 s10, exec_lo, s10
	s_cbranch_execz .LBB14_70
; %bb.69:                               ;   in Loop: Header=BB14_4 Depth=2
	ds_store_b32 v4, v134
.LBB14_70:                              ;   in Loop: Header=BB14_4 Depth=2
	s_or_b32 exec_lo, exec_lo, s10
	s_waitcnt lgkmcnt(0)
	s_barrier
	buffer_gl0_inv
	s_and_saveexec_b32 s10, s5
	s_cbranch_execz .LBB14_72
; %bb.71:                               ;   in Loop: Header=BB14_4 Depth=2
	ds_load_b32 v135, v2
	s_waitcnt lgkmcnt(0)
	v_mov_b32_dpp v136, v135 row_shr:1 row_mask:0xf bank_mask:0xf
	s_delay_alu instid0(VALU_DEP_1) | instskip(NEXT) | instid1(VALU_DEP_1)
	v_cndmask_b32_e64 v136, v136, 0, s7
	v_add_nc_u32_e32 v135, v136, v135
	s_delay_alu instid0(VALU_DEP_1) | instskip(NEXT) | instid1(VALU_DEP_1)
	v_mov_b32_dpp v136, v135 row_shr:2 row_mask:0xf bank_mask:0xf
	v_cndmask_b32_e64 v136, 0, v136, s8
	s_delay_alu instid0(VALU_DEP_1)
	v_add_nc_u32_e32 v135, v135, v136
	ds_store_b32 v2, v135
.LBB14_72:                              ;   in Loop: Header=BB14_4 Depth=2
	s_or_b32 exec_lo, exec_lo, s10
	v_mov_b32_e32 v135, 0
	s_waitcnt lgkmcnt(0)
	s_barrier
	buffer_gl0_inv
	s_and_saveexec_b32 s10, s6
	s_cbranch_execz .LBB14_3
; %bb.73:                               ;   in Loop: Header=BB14_4 Depth=2
	ds_load_b32 v135, v38
	s_branch .LBB14_3
.LBB14_74:
	ds_load_b32 v1, v43
	ds_load_b32 v3, v46
	;; [unrolled: 1-line block ×32, first 2 shown]
	v_lshlrev_b32_e32 v0, 2, v0
	s_add_u32 s0, s18, s12
	s_addc_u32 s1, s19, s13
	s_waitcnt lgkmcnt(31)
	v_add3_u32 v2, v42, v41, v1
	s_waitcnt lgkmcnt(30)
	v_add3_u32 v3, v45, v44, v3
	;; [unrolled: 2-line block ×3, first 2 shown]
	s_waitcnt lgkmcnt(28)
	v_add_nc_u32_e32 v1, v5, v39
	s_waitcnt lgkmcnt(27)
	v_add3_u32 v8, v60, v59, v8
	s_waitcnt lgkmcnt(26)
	v_add3_u32 v7, v57, v56, v7
	;; [unrolled: 2-line block ×13, first 2 shown]
	v_add3_u32 v18, v90, v89, v18
	v_add3_u32 v19, v93, v92, v19
	v_add3_u32 v20, v96, v95, v20
	v_add3_u32 v21, v99, v98, v21
	v_add3_u32 v22, v102, v101, v22
	v_add3_u32 v23, v105, v104, v23
	v_add3_u32 v24, v108, v107, v24
	s_waitcnt lgkmcnt(0)
	v_add3_u32 v25, v111, v110, v33
	v_add3_u32 v26, v114, v113, v26
	;; [unrolled: 1-line block ×8, first 2 shown]
	s_clause 0x7
	global_store_b128 v0, v[1:4], s[0:1]
	global_store_b128 v0, v[5:8], s[0:1] offset:16
	global_store_b128 v0, v[9:12], s[0:1] offset:32
	;; [unrolled: 1-line block ×7, first 2 shown]
	s_nop 0
	s_sendmsg sendmsg(MSG_DEALLOC_VGPRS)
	s_endpgm
	.section	.rodata,"a",@progbits
	.p2align	6, 0x0
	.amdhsa_kernel _Z11rank_kernelIiLj4ELb0EL18RadixRankAlgorithm2ELj128ELj32ELj10EEvPKT_Pi
		.amdhsa_group_segment_fixed_size 528
		.amdhsa_private_segment_fixed_size 0
		.amdhsa_kernarg_size 272
		.amdhsa_user_sgpr_count 15
		.amdhsa_user_sgpr_dispatch_ptr 0
		.amdhsa_user_sgpr_queue_ptr 0
		.amdhsa_user_sgpr_kernarg_segment_ptr 1
		.amdhsa_user_sgpr_dispatch_id 0
		.amdhsa_user_sgpr_private_segment_size 0
		.amdhsa_wavefront_size32 1
		.amdhsa_uses_dynamic_stack 0
		.amdhsa_enable_private_segment 0
		.amdhsa_system_sgpr_workgroup_id_x 1
		.amdhsa_system_sgpr_workgroup_id_y 0
		.amdhsa_system_sgpr_workgroup_id_z 0
		.amdhsa_system_sgpr_workgroup_info 0
		.amdhsa_system_vgpr_workitem_id 2
		.amdhsa_next_free_vgpr 138
		.amdhsa_next_free_sgpr 22
		.amdhsa_reserve_vcc 1
		.amdhsa_float_round_mode_32 0
		.amdhsa_float_round_mode_16_64 0
		.amdhsa_float_denorm_mode_32 3
		.amdhsa_float_denorm_mode_16_64 3
		.amdhsa_dx10_clamp 1
		.amdhsa_ieee_mode 1
		.amdhsa_fp16_overflow 0
		.amdhsa_workgroup_processor_mode 1
		.amdhsa_memory_ordered 1
		.amdhsa_forward_progress 0
		.amdhsa_shared_vgpr_count 0
		.amdhsa_exception_fp_ieee_invalid_op 0
		.amdhsa_exception_fp_denorm_src 0
		.amdhsa_exception_fp_ieee_div_zero 0
		.amdhsa_exception_fp_ieee_overflow 0
		.amdhsa_exception_fp_ieee_underflow 0
		.amdhsa_exception_fp_ieee_inexact 0
		.amdhsa_exception_int_div_zero 0
	.end_amdhsa_kernel
	.section	.text._Z11rank_kernelIiLj4ELb0EL18RadixRankAlgorithm2ELj128ELj32ELj10EEvPKT_Pi,"axG",@progbits,_Z11rank_kernelIiLj4ELb0EL18RadixRankAlgorithm2ELj128ELj32ELj10EEvPKT_Pi,comdat
.Lfunc_end14:
	.size	_Z11rank_kernelIiLj4ELb0EL18RadixRankAlgorithm2ELj128ELj32ELj10EEvPKT_Pi, .Lfunc_end14-_Z11rank_kernelIiLj4ELb0EL18RadixRankAlgorithm2ELj128ELj32ELj10EEvPKT_Pi
                                        ; -- End function
	.section	.AMDGPU.csdata,"",@progbits
; Kernel info:
; codeLenInByte = 9792
; NumSgprs: 24
; NumVgprs: 138
; ScratchSize: 0
; MemoryBound: 0
; FloatMode: 240
; IeeeMode: 1
; LDSByteSize: 528 bytes/workgroup (compile time only)
; SGPRBlocks: 2
; VGPRBlocks: 17
; NumSGPRsForWavesPerEU: 24
; NumVGPRsForWavesPerEU: 138
; Occupancy: 10
; WaveLimiterHint : 0
; COMPUTE_PGM_RSRC2:SCRATCH_EN: 0
; COMPUTE_PGM_RSRC2:USER_SGPR: 15
; COMPUTE_PGM_RSRC2:TRAP_HANDLER: 0
; COMPUTE_PGM_RSRC2:TGID_X_EN: 1
; COMPUTE_PGM_RSRC2:TGID_Y_EN: 0
; COMPUTE_PGM_RSRC2:TGID_Z_EN: 0
; COMPUTE_PGM_RSRC2:TIDIG_COMP_CNT: 2
	.section	.text._Z11rank_kernelIiLj4ELb0EL18RadixRankAlgorithm0ELj256ELj1ELj10EEvPKT_Pi,"axG",@progbits,_Z11rank_kernelIiLj4ELb0EL18RadixRankAlgorithm0ELj256ELj1ELj10EEvPKT_Pi,comdat
	.protected	_Z11rank_kernelIiLj4ELb0EL18RadixRankAlgorithm0ELj256ELj1ELj10EEvPKT_Pi ; -- Begin function _Z11rank_kernelIiLj4ELb0EL18RadixRankAlgorithm0ELj256ELj1ELj10EEvPKT_Pi
	.globl	_Z11rank_kernelIiLj4ELb0EL18RadixRankAlgorithm0ELj256ELj1ELj10EEvPKT_Pi
	.p2align	8
	.type	_Z11rank_kernelIiLj4ELb0EL18RadixRankAlgorithm0ELj256ELj1ELj10EEvPKT_Pi,@function
_Z11rank_kernelIiLj4ELb0EL18RadixRankAlgorithm0ELj256ELj1ELj10EEvPKT_Pi: ; @_Z11rank_kernelIiLj4ELb0EL18RadixRankAlgorithm0ELj256ELj1ELj10EEvPKT_Pi
; %bb.0:
	s_load_b128 s[16:19], s[0:1], 0x0
	s_mov_b32 s21, 0
	s_lshl_b32 s20, s15, 8
	v_dual_mov_b32 v2, 0 :: v_dual_lshlrev_b32 v1, 2, v0
	s_lshl_b64 s[12:13], s[20:21], 2
	v_mbcnt_lo_u32_b32 v4, -1, 0
	v_or_b32_e32 v8, 31, v0
	v_lshrrev_b32_e32 v10, 3, v0
	v_lshlrev_b32_e32 v3, 5, v0
	v_cmp_gt_u32_e32 vcc_lo, 8, v0
	v_add_nc_u32_e32 v9, -1, v4
	v_and_b32_e32 v5, 15, v4
	v_and_b32_e32 v7, 16, v4
	;; [unrolled: 1-line block ×3, first 2 shown]
	v_cmp_eq_u32_e64 s7, v8, v0
	v_cmp_gt_i32_e64 s8, 0, v9
	v_cmp_eq_u32_e64 s2, 0, v5
	v_cmp_lt_u32_e64 s3, 1, v5
	v_cmp_lt_u32_e64 s4, 3, v5
	s_waitcnt lgkmcnt(0)
	s_add_u32 s0, s16, s12
	s_addc_u32 s1, s17, s13
	v_cmp_lt_u32_e64 s5, 7, v5
	global_load_b32 v6, v1, s[0:1]
	v_cndmask_b32_e64 v5, v9, v4, s8
	v_cmp_lt_u32_e64 s0, 31, v0
	v_cmp_eq_u32_e64 s1, 0, v4
	v_cmp_eq_u32_e64 s6, 0, v7
	v_and_b32_e32 v4, 28, v10
	v_cmp_eq_u32_e64 s8, 0, v11
	v_cmp_lt_u32_e64 s9, 1, v11
	v_cmp_lt_u32_e64 s10, 3, v11
	v_lshlrev_b32_e32 v5, 2, v5
	v_or_b32_e32 v7, 0xffffff00, v0
	s_waitcnt vmcnt(0)
	v_xor_b32_e32 v6, 0x80000000, v6
	s_branch .LBB15_2
.LBB15_1:                               ;   in Loop: Header=BB15_2 Depth=1
	s_add_i32 s21, s21, 1
	s_delay_alu instid0(SALU_CYCLE_1)
	s_cmp_eq_u32 s21, 10
	s_cbranch_scc1 .LBB15_12
.LBB15_2:                               ; =>This Loop Header: Depth=1
                                        ;     Child Loop BB15_4 Depth 2
                                        ;       Child Loop BB15_5 Depth 3
	s_mov_b32 s14, 0
	s_branch .LBB15_4
.LBB15_3:                               ;   in Loop: Header=BB15_4 Depth=2
	s_or_b32 exec_lo, exec_lo, s11
	s_waitcnt lgkmcnt(0)
	v_add_nc_u32_e32 v10, v11, v10
	ds_load_b32 v14, v2 offset:8220
	ds_load_2addr_b32 v[12:13], v3 offset1:1
	s_add_i32 s11, s14, 4
	s_cmp_lt_u32 s14, 28
	s_mov_b32 s14, s11
	ds_bpermute_b32 v10, v5, v10
	s_waitcnt lgkmcnt(0)
	v_cndmask_b32_e64 v15, v10, v11, s1
	ds_load_2addr_b32 v[10:11], v3 offset0:2 offset1:3
	v_lshl_add_u32 v16, v14, 16, v15
	ds_load_2addr_b32 v[14:15], v3 offset0:4 offset1:5
	ds_load_b32 v17, v3 offset:24
	v_add_nc_u32_e32 v12, v16, v12
	s_delay_alu instid0(VALU_DEP_1) | instskip(SKIP_1) | instid1(VALU_DEP_1)
	v_add_nc_u32_e32 v13, v13, v12
	s_waitcnt lgkmcnt(2)
	v_add_nc_u32_e32 v10, v10, v13
	s_delay_alu instid0(VALU_DEP_1) | instskip(SKIP_1) | instid1(VALU_DEP_1)
	v_add_nc_u32_e32 v11, v11, v10
	s_waitcnt lgkmcnt(1)
	;; [unrolled: 4-line block ×3, first 2 shown]
	v_add_nc_u32_e32 v17, v17, v15
	ds_store_2addr_b32 v3, v16, v12 offset1:1
	ds_store_2addr_b32 v3, v13, v10 offset0:2 offset1:3
	ds_store_2addr_b32 v3, v11, v14 offset0:4 offset1:5
	;; [unrolled: 1-line block ×3, first 2 shown]
	s_waitcnt lgkmcnt(0)
	s_barrier
	buffer_gl0_inv
	s_cbranch_scc0 .LBB15_1
.LBB15_4:                               ;   Parent Loop BB15_2 Depth=1
                                        ; =>  This Loop Header: Depth=2
                                        ;       Child Loop BB15_5 Depth 3
	v_dual_mov_b32 v8, v7 :: v_dual_mov_b32 v9, v1
	s_mov_b32 s15, 0
.LBB15_5:                               ;   Parent Loop BB15_2 Depth=1
                                        ;     Parent Loop BB15_4 Depth=2
                                        ; =>    This Inner Loop Header: Depth=3
	s_delay_alu instid0(VALU_DEP_1) | instskip(SKIP_3) | instid1(VALU_DEP_1)
	v_add_nc_u32_e32 v8, 0x100, v8
	ds_store_b32 v9, v2
	v_add_nc_u32_e32 v9, 0x400, v9
	v_cmp_lt_u32_e64 s11, 0x6ff, v8
	s_or_b32 s15, s11, s15
	s_delay_alu instid0(SALU_CYCLE_1)
	s_and_not1_b32 exec_lo, exec_lo, s15
	s_cbranch_execnz .LBB15_5
; %bb.6:                                ;   in Loop: Header=BB15_4 Depth=2
	s_or_b32 exec_lo, exec_lo, s15
	s_sub_i32 s11, 28, s14
	s_delay_alu instid0(SALU_CYCLE_1) | instskip(NEXT) | instid1(VALU_DEP_1)
	v_lshlrev_b32_e32 v8, s11, v6
	v_lshrrev_b32_e32 v9, 20, v8
	s_delay_alu instid0(VALU_DEP_1) | instskip(NEXT) | instid1(VALU_DEP_1)
	v_and_or_b32 v9, 0x700, v9, v0
	v_alignbit_b32 v8, v9, v8, 31
	s_delay_alu instid0(VALU_DEP_1)
	v_lshlrev_b32_e32 v8, 1, v8
	ds_load_u16 v9, v8
	s_waitcnt lgkmcnt(0)
	v_add_nc_u16 v10, v9, 1
	ds_store_b16 v8, v10
	s_waitcnt lgkmcnt(0)
	s_barrier
	buffer_gl0_inv
	ds_load_2addr_b32 v[10:11], v3 offset1:1
	ds_load_2addr_b32 v[12:13], v3 offset0:2 offset1:3
	ds_load_2addr_b32 v[14:15], v3 offset0:4 offset1:5
	;; [unrolled: 1-line block ×3, first 2 shown]
	s_waitcnt lgkmcnt(3)
	v_add_nc_u32_e32 v10, v11, v10
	s_waitcnt lgkmcnt(2)
	s_delay_alu instid0(VALU_DEP_1) | instskip(SKIP_1) | instid1(VALU_DEP_1)
	v_add3_u32 v10, v10, v12, v13
	s_waitcnt lgkmcnt(1)
	v_add3_u32 v10, v10, v14, v15
	s_waitcnt lgkmcnt(0)
	s_delay_alu instid0(VALU_DEP_1) | instskip(NEXT) | instid1(VALU_DEP_1)
	v_add3_u32 v10, v10, v16, v17
	v_mov_b32_dpp v11, v10 row_shr:1 row_mask:0xf bank_mask:0xf
	s_delay_alu instid0(VALU_DEP_1) | instskip(NEXT) | instid1(VALU_DEP_1)
	v_cndmask_b32_e64 v11, v11, 0, s2
	v_add_nc_u32_e32 v10, v11, v10
	s_delay_alu instid0(VALU_DEP_1) | instskip(NEXT) | instid1(VALU_DEP_1)
	v_mov_b32_dpp v11, v10 row_shr:2 row_mask:0xf bank_mask:0xf
	v_cndmask_b32_e64 v11, 0, v11, s3
	s_delay_alu instid0(VALU_DEP_1) | instskip(NEXT) | instid1(VALU_DEP_1)
	v_add_nc_u32_e32 v10, v10, v11
	v_mov_b32_dpp v11, v10 row_shr:4 row_mask:0xf bank_mask:0xf
	s_delay_alu instid0(VALU_DEP_1) | instskip(NEXT) | instid1(VALU_DEP_1)
	v_cndmask_b32_e64 v11, 0, v11, s4
	v_add_nc_u32_e32 v10, v10, v11
	s_delay_alu instid0(VALU_DEP_1) | instskip(NEXT) | instid1(VALU_DEP_1)
	v_mov_b32_dpp v11, v10 row_shr:8 row_mask:0xf bank_mask:0xf
	v_cndmask_b32_e64 v11, 0, v11, s5
	s_delay_alu instid0(VALU_DEP_1) | instskip(SKIP_3) | instid1(VALU_DEP_1)
	v_add_nc_u32_e32 v10, v10, v11
	ds_swizzle_b32 v11, v10 offset:swizzle(BROADCAST,32,15)
	s_waitcnt lgkmcnt(0)
	v_cndmask_b32_e64 v11, v11, 0, s6
	v_add_nc_u32_e32 v10, v10, v11
	s_and_saveexec_b32 s11, s7
	s_cbranch_execz .LBB15_8
; %bb.7:                                ;   in Loop: Header=BB15_4 Depth=2
	ds_store_b32 v4, v10 offset:8192
.LBB15_8:                               ;   in Loop: Header=BB15_4 Depth=2
	s_or_b32 exec_lo, exec_lo, s11
	s_waitcnt lgkmcnt(0)
	s_barrier
	buffer_gl0_inv
	s_and_saveexec_b32 s11, vcc_lo
	s_cbranch_execz .LBB15_10
; %bb.9:                                ;   in Loop: Header=BB15_4 Depth=2
	ds_load_b32 v11, v1 offset:8192
	s_waitcnt lgkmcnt(0)
	v_mov_b32_dpp v12, v11 row_shr:1 row_mask:0xf bank_mask:0xf
	s_delay_alu instid0(VALU_DEP_1) | instskip(NEXT) | instid1(VALU_DEP_1)
	v_cndmask_b32_e64 v12, v12, 0, s8
	v_add_nc_u32_e32 v11, v12, v11
	s_delay_alu instid0(VALU_DEP_1) | instskip(NEXT) | instid1(VALU_DEP_1)
	v_mov_b32_dpp v12, v11 row_shr:2 row_mask:0xf bank_mask:0xf
	v_cndmask_b32_e64 v12, 0, v12, s9
	s_delay_alu instid0(VALU_DEP_1) | instskip(NEXT) | instid1(VALU_DEP_1)
	v_add_nc_u32_e32 v11, v11, v12
	v_mov_b32_dpp v12, v11 row_shr:4 row_mask:0xf bank_mask:0xf
	s_delay_alu instid0(VALU_DEP_1) | instskip(NEXT) | instid1(VALU_DEP_1)
	v_cndmask_b32_e64 v12, 0, v12, s10
	v_add_nc_u32_e32 v11, v11, v12
	ds_store_b32 v1, v11 offset:8192
.LBB15_10:                              ;   in Loop: Header=BB15_4 Depth=2
	s_or_b32 exec_lo, exec_lo, s11
	v_mov_b32_e32 v11, 0
	s_waitcnt lgkmcnt(0)
	s_barrier
	buffer_gl0_inv
	s_and_saveexec_b32 s11, s0
	s_cbranch_execz .LBB15_3
; %bb.11:                               ;   in Loop: Header=BB15_4 Depth=2
	ds_load_b32 v11, v4 offset:8188
	s_branch .LBB15_3
.LBB15_12:
	ds_load_u16 v1, v8
	v_and_b32_e32 v2, 0xffff, v9
	v_lshlrev_b32_e32 v0, 2, v0
	s_add_u32 s0, s18, s12
	s_addc_u32 s1, s19, s13
	s_waitcnt lgkmcnt(0)
	v_add_nc_u32_e32 v1, v1, v2
	global_store_b32 v0, v1, s[0:1]
	s_nop 0
	s_sendmsg sendmsg(MSG_DEALLOC_VGPRS)
	s_endpgm
	.section	.rodata,"a",@progbits
	.p2align	6, 0x0
	.amdhsa_kernel _Z11rank_kernelIiLj4ELb0EL18RadixRankAlgorithm0ELj256ELj1ELj10EEvPKT_Pi
		.amdhsa_group_segment_fixed_size 8224
		.amdhsa_private_segment_fixed_size 0
		.amdhsa_kernarg_size 16
		.amdhsa_user_sgpr_count 15
		.amdhsa_user_sgpr_dispatch_ptr 0
		.amdhsa_user_sgpr_queue_ptr 0
		.amdhsa_user_sgpr_kernarg_segment_ptr 1
		.amdhsa_user_sgpr_dispatch_id 0
		.amdhsa_user_sgpr_private_segment_size 0
		.amdhsa_wavefront_size32 1
		.amdhsa_uses_dynamic_stack 0
		.amdhsa_enable_private_segment 0
		.amdhsa_system_sgpr_workgroup_id_x 1
		.amdhsa_system_sgpr_workgroup_id_y 0
		.amdhsa_system_sgpr_workgroup_id_z 0
		.amdhsa_system_sgpr_workgroup_info 0
		.amdhsa_system_vgpr_workitem_id 0
		.amdhsa_next_free_vgpr 18
		.amdhsa_next_free_sgpr 22
		.amdhsa_reserve_vcc 1
		.amdhsa_float_round_mode_32 0
		.amdhsa_float_round_mode_16_64 0
		.amdhsa_float_denorm_mode_32 3
		.amdhsa_float_denorm_mode_16_64 3
		.amdhsa_dx10_clamp 1
		.amdhsa_ieee_mode 1
		.amdhsa_fp16_overflow 0
		.amdhsa_workgroup_processor_mode 1
		.amdhsa_memory_ordered 1
		.amdhsa_forward_progress 0
		.amdhsa_shared_vgpr_count 0
		.amdhsa_exception_fp_ieee_invalid_op 0
		.amdhsa_exception_fp_denorm_src 0
		.amdhsa_exception_fp_ieee_div_zero 0
		.amdhsa_exception_fp_ieee_overflow 0
		.amdhsa_exception_fp_ieee_underflow 0
		.amdhsa_exception_fp_ieee_inexact 0
		.amdhsa_exception_int_div_zero 0
	.end_amdhsa_kernel
	.section	.text._Z11rank_kernelIiLj4ELb0EL18RadixRankAlgorithm0ELj256ELj1ELj10EEvPKT_Pi,"axG",@progbits,_Z11rank_kernelIiLj4ELb0EL18RadixRankAlgorithm0ELj256ELj1ELj10EEvPKT_Pi,comdat
.Lfunc_end15:
	.size	_Z11rank_kernelIiLj4ELb0EL18RadixRankAlgorithm0ELj256ELj1ELj10EEvPKT_Pi, .Lfunc_end15-_Z11rank_kernelIiLj4ELb0EL18RadixRankAlgorithm0ELj256ELj1ELj10EEvPKT_Pi
                                        ; -- End function
	.section	.AMDGPU.csdata,"",@progbits
; Kernel info:
; codeLenInByte = 1060
; NumSgprs: 24
; NumVgprs: 18
; ScratchSize: 0
; MemoryBound: 0
; FloatMode: 240
; IeeeMode: 1
; LDSByteSize: 8224 bytes/workgroup (compile time only)
; SGPRBlocks: 2
; VGPRBlocks: 2
; NumSGPRsForWavesPerEU: 24
; NumVGPRsForWavesPerEU: 18
; Occupancy: 16
; WaveLimiterHint : 0
; COMPUTE_PGM_RSRC2:SCRATCH_EN: 0
; COMPUTE_PGM_RSRC2:USER_SGPR: 15
; COMPUTE_PGM_RSRC2:TRAP_HANDLER: 0
; COMPUTE_PGM_RSRC2:TGID_X_EN: 1
; COMPUTE_PGM_RSRC2:TGID_Y_EN: 0
; COMPUTE_PGM_RSRC2:TGID_Z_EN: 0
; COMPUTE_PGM_RSRC2:TIDIG_COMP_CNT: 0
	.section	.text._Z11rank_kernelIiLj4ELb0EL18RadixRankAlgorithm1ELj256ELj1ELj10EEvPKT_Pi,"axG",@progbits,_Z11rank_kernelIiLj4ELb0EL18RadixRankAlgorithm1ELj256ELj1ELj10EEvPKT_Pi,comdat
	.protected	_Z11rank_kernelIiLj4ELb0EL18RadixRankAlgorithm1ELj256ELj1ELj10EEvPKT_Pi ; -- Begin function _Z11rank_kernelIiLj4ELb0EL18RadixRankAlgorithm1ELj256ELj1ELj10EEvPKT_Pi
	.globl	_Z11rank_kernelIiLj4ELb0EL18RadixRankAlgorithm1ELj256ELj1ELj10EEvPKT_Pi
	.p2align	8
	.type	_Z11rank_kernelIiLj4ELb0EL18RadixRankAlgorithm1ELj256ELj1ELj10EEvPKT_Pi,@function
_Z11rank_kernelIiLj4ELb0EL18RadixRankAlgorithm1ELj256ELj1ELj10EEvPKT_Pi: ; @_Z11rank_kernelIiLj4ELb0EL18RadixRankAlgorithm1ELj256ELj1ELj10EEvPKT_Pi
; %bb.0:
	s_load_b128 s[16:19], s[0:1], 0x0
	s_mov_b32 s21, 0
	s_lshl_b32 s20, s15, 8
	v_dual_mov_b32 v10, 0 :: v_dual_lshlrev_b32 v9, 2, v0
	s_lshl_b64 s[12:13], s[20:21], 2
	v_mbcnt_lo_u32_b32 v2, -1, 0
	v_or_b32_e32 v5, 31, v0
	v_lshrrev_b32_e32 v7, 3, v0
	v_lshlrev_b32_e32 v11, 5, v0
	v_cmp_gt_u32_e32 vcc_lo, 8, v0
	v_add_nc_u32_e32 v6, -1, v2
	v_and_b32_e32 v3, 15, v2
	v_and_b32_e32 v4, 16, v2
	;; [unrolled: 1-line block ×3, first 2 shown]
	v_cmp_eq_u32_e64 s7, v5, v0
	v_cmp_gt_i32_e64 s8, 0, v6
	v_cmp_eq_u32_e64 s2, 0, v3
	v_cmp_lt_u32_e64 s3, 1, v3
	v_cmp_lt_u32_e64 s4, 3, v3
	s_waitcnt lgkmcnt(0)
	s_add_u32 s0, s16, s12
	s_addc_u32 s1, s17, s13
	v_cmp_lt_u32_e64 s5, 7, v3
	global_load_b32 v1, v9, s[0:1]
	v_cmp_eq_u32_e64 s1, 0, v2
	v_cndmask_b32_e64 v2, v6, v2, s8
	v_cmp_lt_u32_e64 s0, 31, v0
	v_cmp_eq_u32_e64 s6, 0, v4
	v_and_b32_e32 v12, 28, v7
	v_cmp_eq_u32_e64 s8, 0, v8
	v_cmp_lt_u32_e64 s9, 1, v8
	v_cmp_lt_u32_e64 s10, 3, v8
	v_lshlrev_b32_e32 v13, 2, v2
	v_or_b32_e32 v15, 0xffffff00, v0
	s_waitcnt vmcnt(0)
	v_xor_b32_e32 v14, 0x80000000, v1
	s_branch .LBB16_2
.LBB16_1:                               ;   in Loop: Header=BB16_2 Depth=1
	s_add_i32 s21, s21, 1
	s_delay_alu instid0(SALU_CYCLE_1)
	s_cmp_eq_u32 s21, 10
	s_cbranch_scc1 .LBB16_12
.LBB16_2:                               ; =>This Loop Header: Depth=1
                                        ;     Child Loop BB16_4 Depth 2
                                        ;       Child Loop BB16_5 Depth 3
	s_mov_b32 s14, 0
	s_branch .LBB16_4
.LBB16_3:                               ;   in Loop: Header=BB16_4 Depth=2
	s_or_b32 exec_lo, exec_lo, s11
	s_waitcnt lgkmcnt(0)
	v_add_nc_u32_e32 v2, v18, v2
	ds_load_b32 v19, v10 offset:8220
	s_add_i32 s11, s14, 4
	s_cmp_lt_u32 s14, 28
	s_mov_b32 s14, s11
	ds_bpermute_b32 v2, v13, v2
	s_waitcnt lgkmcnt(0)
	v_cndmask_b32_e64 v2, v2, v18, s1
	s_delay_alu instid0(VALU_DEP_1) | instskip(NEXT) | instid1(VALU_DEP_1)
	v_lshl_add_u32 v2, v19, 16, v2
	v_add_nc_u32_e32 v7, v2, v7
	s_delay_alu instid0(VALU_DEP_1) | instskip(NEXT) | instid1(VALU_DEP_1)
	v_add_nc_u32_e32 v8, v7, v8
	v_add_nc_u32_e32 v5, v8, v5
	s_delay_alu instid0(VALU_DEP_1) | instskip(NEXT) | instid1(VALU_DEP_1)
	v_add_nc_u32_e32 v6, v5, v6
	;; [unrolled: 3-line block ×3, first 2 shown]
	v_add_nc_u32_e32 v1, v4, v1
	ds_store_2addr_b32 v11, v2, v7 offset1:1
	ds_store_2addr_b32 v11, v8, v5 offset0:2 offset1:3
	ds_store_2addr_b32 v11, v6, v3 offset0:4 offset1:5
	;; [unrolled: 1-line block ×3, first 2 shown]
	s_waitcnt lgkmcnt(0)
	s_barrier
	buffer_gl0_inv
	s_cbranch_scc0 .LBB16_1
.LBB16_4:                               ;   Parent Loop BB16_2 Depth=1
                                        ; =>  This Loop Header: Depth=2
                                        ;       Child Loop BB16_5 Depth 3
	v_dual_mov_b32 v1, v15 :: v_dual_mov_b32 v2, v9
	s_mov_b32 s15, 0
.LBB16_5:                               ;   Parent Loop BB16_2 Depth=1
                                        ;     Parent Loop BB16_4 Depth=2
                                        ; =>    This Inner Loop Header: Depth=3
	s_delay_alu instid0(VALU_DEP_1) | instskip(SKIP_3) | instid1(VALU_DEP_1)
	v_add_nc_u32_e32 v1, 0x100, v1
	ds_store_b32 v2, v10
	v_add_nc_u32_e32 v2, 0x400, v2
	v_cmp_lt_u32_e64 s11, 0x6ff, v1
	s_or_b32 s15, s11, s15
	s_delay_alu instid0(SALU_CYCLE_1)
	s_and_not1_b32 exec_lo, exec_lo, s15
	s_cbranch_execnz .LBB16_5
; %bb.6:                                ;   in Loop: Header=BB16_4 Depth=2
	s_or_b32 exec_lo, exec_lo, s15
	s_sub_i32 s11, 28, s14
	s_delay_alu instid0(SALU_CYCLE_1) | instskip(NEXT) | instid1(VALU_DEP_1)
	v_lshlrev_b32_e32 v1, s11, v14
	v_lshrrev_b32_e32 v2, 20, v1
	s_delay_alu instid0(VALU_DEP_1) | instskip(NEXT) | instid1(VALU_DEP_1)
	v_and_or_b32 v2, 0x700, v2, v0
	v_alignbit_b32 v1, v2, v1, 31
	s_delay_alu instid0(VALU_DEP_1)
	v_lshlrev_b32_e32 v16, 1, v1
	ds_load_u16 v17, v16
	s_waitcnt lgkmcnt(0)
	v_add_nc_u16 v1, v17, 1
	ds_store_b16 v16, v1
	s_waitcnt lgkmcnt(0)
	s_barrier
	buffer_gl0_inv
	ds_load_2addr_b32 v[7:8], v11 offset1:1
	ds_load_2addr_b32 v[5:6], v11 offset0:2 offset1:3
	ds_load_2addr_b32 v[3:4], v11 offset0:4 offset1:5
	;; [unrolled: 1-line block ×3, first 2 shown]
	s_waitcnt lgkmcnt(3)
	v_add_nc_u32_e32 v18, v8, v7
	s_waitcnt lgkmcnt(2)
	s_delay_alu instid0(VALU_DEP_1) | instskip(SKIP_1) | instid1(VALU_DEP_1)
	v_add3_u32 v18, v18, v5, v6
	s_waitcnt lgkmcnt(1)
	v_add3_u32 v18, v18, v3, v4
	s_waitcnt lgkmcnt(0)
	s_delay_alu instid0(VALU_DEP_1) | instskip(NEXT) | instid1(VALU_DEP_1)
	v_add3_u32 v2, v18, v1, v2
	v_mov_b32_dpp v18, v2 row_shr:1 row_mask:0xf bank_mask:0xf
	s_delay_alu instid0(VALU_DEP_1) | instskip(NEXT) | instid1(VALU_DEP_1)
	v_cndmask_b32_e64 v18, v18, 0, s2
	v_add_nc_u32_e32 v2, v18, v2
	s_delay_alu instid0(VALU_DEP_1) | instskip(NEXT) | instid1(VALU_DEP_1)
	v_mov_b32_dpp v18, v2 row_shr:2 row_mask:0xf bank_mask:0xf
	v_cndmask_b32_e64 v18, 0, v18, s3
	s_delay_alu instid0(VALU_DEP_1) | instskip(NEXT) | instid1(VALU_DEP_1)
	v_add_nc_u32_e32 v2, v2, v18
	v_mov_b32_dpp v18, v2 row_shr:4 row_mask:0xf bank_mask:0xf
	s_delay_alu instid0(VALU_DEP_1) | instskip(NEXT) | instid1(VALU_DEP_1)
	v_cndmask_b32_e64 v18, 0, v18, s4
	v_add_nc_u32_e32 v2, v2, v18
	s_delay_alu instid0(VALU_DEP_1) | instskip(NEXT) | instid1(VALU_DEP_1)
	v_mov_b32_dpp v18, v2 row_shr:8 row_mask:0xf bank_mask:0xf
	v_cndmask_b32_e64 v18, 0, v18, s5
	s_delay_alu instid0(VALU_DEP_1) | instskip(SKIP_3) | instid1(VALU_DEP_1)
	v_add_nc_u32_e32 v2, v2, v18
	ds_swizzle_b32 v18, v2 offset:swizzle(BROADCAST,32,15)
	s_waitcnt lgkmcnt(0)
	v_cndmask_b32_e64 v18, v18, 0, s6
	v_add_nc_u32_e32 v2, v2, v18
	s_and_saveexec_b32 s11, s7
	s_cbranch_execz .LBB16_8
; %bb.7:                                ;   in Loop: Header=BB16_4 Depth=2
	ds_store_b32 v12, v2 offset:8192
.LBB16_8:                               ;   in Loop: Header=BB16_4 Depth=2
	s_or_b32 exec_lo, exec_lo, s11
	s_waitcnt lgkmcnt(0)
	s_barrier
	buffer_gl0_inv
	s_and_saveexec_b32 s11, vcc_lo
	s_cbranch_execz .LBB16_10
; %bb.9:                                ;   in Loop: Header=BB16_4 Depth=2
	ds_load_b32 v18, v9 offset:8192
	s_waitcnt lgkmcnt(0)
	v_mov_b32_dpp v19, v18 row_shr:1 row_mask:0xf bank_mask:0xf
	s_delay_alu instid0(VALU_DEP_1) | instskip(NEXT) | instid1(VALU_DEP_1)
	v_cndmask_b32_e64 v19, v19, 0, s8
	v_add_nc_u32_e32 v18, v19, v18
	s_delay_alu instid0(VALU_DEP_1) | instskip(NEXT) | instid1(VALU_DEP_1)
	v_mov_b32_dpp v19, v18 row_shr:2 row_mask:0xf bank_mask:0xf
	v_cndmask_b32_e64 v19, 0, v19, s9
	s_delay_alu instid0(VALU_DEP_1) | instskip(NEXT) | instid1(VALU_DEP_1)
	v_add_nc_u32_e32 v18, v18, v19
	v_mov_b32_dpp v19, v18 row_shr:4 row_mask:0xf bank_mask:0xf
	s_delay_alu instid0(VALU_DEP_1) | instskip(NEXT) | instid1(VALU_DEP_1)
	v_cndmask_b32_e64 v19, 0, v19, s10
	v_add_nc_u32_e32 v18, v18, v19
	ds_store_b32 v9, v18 offset:8192
.LBB16_10:                              ;   in Loop: Header=BB16_4 Depth=2
	s_or_b32 exec_lo, exec_lo, s11
	v_mov_b32_e32 v18, 0
	s_waitcnt lgkmcnt(0)
	s_barrier
	buffer_gl0_inv
	s_and_saveexec_b32 s11, s0
	s_cbranch_execz .LBB16_3
; %bb.11:                               ;   in Loop: Header=BB16_4 Depth=2
	ds_load_b32 v18, v12 offset:8188
	s_branch .LBB16_3
.LBB16_12:
	ds_load_u16 v1, v16
	v_and_b32_e32 v2, 0xffff, v17
	v_lshlrev_b32_e32 v0, 2, v0
	s_add_u32 s0, s18, s12
	s_addc_u32 s1, s19, s13
	s_waitcnt lgkmcnt(0)
	v_add_nc_u32_e32 v1, v1, v2
	global_store_b32 v0, v1, s[0:1]
	s_nop 0
	s_sendmsg sendmsg(MSG_DEALLOC_VGPRS)
	s_endpgm
	.section	.rodata,"a",@progbits
	.p2align	6, 0x0
	.amdhsa_kernel _Z11rank_kernelIiLj4ELb0EL18RadixRankAlgorithm1ELj256ELj1ELj10EEvPKT_Pi
		.amdhsa_group_segment_fixed_size 8224
		.amdhsa_private_segment_fixed_size 0
		.amdhsa_kernarg_size 16
		.amdhsa_user_sgpr_count 15
		.amdhsa_user_sgpr_dispatch_ptr 0
		.amdhsa_user_sgpr_queue_ptr 0
		.amdhsa_user_sgpr_kernarg_segment_ptr 1
		.amdhsa_user_sgpr_dispatch_id 0
		.amdhsa_user_sgpr_private_segment_size 0
		.amdhsa_wavefront_size32 1
		.amdhsa_uses_dynamic_stack 0
		.amdhsa_enable_private_segment 0
		.amdhsa_system_sgpr_workgroup_id_x 1
		.amdhsa_system_sgpr_workgroup_id_y 0
		.amdhsa_system_sgpr_workgroup_id_z 0
		.amdhsa_system_sgpr_workgroup_info 0
		.amdhsa_system_vgpr_workitem_id 0
		.amdhsa_next_free_vgpr 20
		.amdhsa_next_free_sgpr 22
		.amdhsa_reserve_vcc 1
		.amdhsa_float_round_mode_32 0
		.amdhsa_float_round_mode_16_64 0
		.amdhsa_float_denorm_mode_32 3
		.amdhsa_float_denorm_mode_16_64 3
		.amdhsa_dx10_clamp 1
		.amdhsa_ieee_mode 1
		.amdhsa_fp16_overflow 0
		.amdhsa_workgroup_processor_mode 1
		.amdhsa_memory_ordered 1
		.amdhsa_forward_progress 0
		.amdhsa_shared_vgpr_count 0
		.amdhsa_exception_fp_ieee_invalid_op 0
		.amdhsa_exception_fp_denorm_src 0
		.amdhsa_exception_fp_ieee_div_zero 0
		.amdhsa_exception_fp_ieee_overflow 0
		.amdhsa_exception_fp_ieee_underflow 0
		.amdhsa_exception_fp_ieee_inexact 0
		.amdhsa_exception_int_div_zero 0
	.end_amdhsa_kernel
	.section	.text._Z11rank_kernelIiLj4ELb0EL18RadixRankAlgorithm1ELj256ELj1ELj10EEvPKT_Pi,"axG",@progbits,_Z11rank_kernelIiLj4ELb0EL18RadixRankAlgorithm1ELj256ELj1ELj10EEvPKT_Pi,comdat
.Lfunc_end16:
	.size	_Z11rank_kernelIiLj4ELb0EL18RadixRankAlgorithm1ELj256ELj1ELj10EEvPKT_Pi, .Lfunc_end16-_Z11rank_kernelIiLj4ELb0EL18RadixRankAlgorithm1ELj256ELj1ELj10EEvPKT_Pi
                                        ; -- End function
	.section	.AMDGPU.csdata,"",@progbits
; Kernel info:
; codeLenInByte = 1020
; NumSgprs: 24
; NumVgprs: 20
; ScratchSize: 0
; MemoryBound: 0
; FloatMode: 240
; IeeeMode: 1
; LDSByteSize: 8224 bytes/workgroup (compile time only)
; SGPRBlocks: 2
; VGPRBlocks: 2
; NumSGPRsForWavesPerEU: 24
; NumVGPRsForWavesPerEU: 20
; Occupancy: 16
; WaveLimiterHint : 0
; COMPUTE_PGM_RSRC2:SCRATCH_EN: 0
; COMPUTE_PGM_RSRC2:USER_SGPR: 15
; COMPUTE_PGM_RSRC2:TRAP_HANDLER: 0
; COMPUTE_PGM_RSRC2:TGID_X_EN: 1
; COMPUTE_PGM_RSRC2:TGID_Y_EN: 0
; COMPUTE_PGM_RSRC2:TGID_Z_EN: 0
; COMPUTE_PGM_RSRC2:TIDIG_COMP_CNT: 0
	.section	.text._Z11rank_kernelIiLj4ELb0EL18RadixRankAlgorithm2ELj256ELj1ELj10EEvPKT_Pi,"axG",@progbits,_Z11rank_kernelIiLj4ELb0EL18RadixRankAlgorithm2ELj256ELj1ELj10EEvPKT_Pi,comdat
	.protected	_Z11rank_kernelIiLj4ELb0EL18RadixRankAlgorithm2ELj256ELj1ELj10EEvPKT_Pi ; -- Begin function _Z11rank_kernelIiLj4ELb0EL18RadixRankAlgorithm2ELj256ELj1ELj10EEvPKT_Pi
	.globl	_Z11rank_kernelIiLj4ELb0EL18RadixRankAlgorithm2ELj256ELj1ELj10EEvPKT_Pi
	.p2align	8
	.type	_Z11rank_kernelIiLj4ELb0EL18RadixRankAlgorithm2ELj256ELj1ELj10EEvPKT_Pi,@function
_Z11rank_kernelIiLj4ELb0EL18RadixRankAlgorithm2ELj256ELj1ELj10EEvPKT_Pi: ; @_Z11rank_kernelIiLj4ELb0EL18RadixRankAlgorithm2ELj256ELj1ELj10EEvPKT_Pi
; %bb.0:
	s_clause 0x1
	s_load_b128 s[16:19], s[0:1], 0x0
	s_load_b32 s7, s[0:1], 0x1c
	v_and_b32_e32 v1, 0x3ff, v0
	s_mov_b32 s13, 0
	s_lshl_b32 s12, s15, 8
	v_mov_b32_e32 v3, 0
	s_lshl_b64 s[14:15], s[12:13], 2
	v_lshlrev_b32_e32 v2, 2, v1
	v_mbcnt_lo_u32_b32 v4, -1, 0
	v_bfe_u32 v5, v0, 10, 10
	v_bfe_u32 v0, v0, 20, 10
	v_lshrrev_b32_e32 v11, 3, v1
	v_cmp_gt_u32_e64 s5, 8, v1
	v_and_b32_e32 v6, 15, v4
	v_add_nc_u32_e32 v9, -1, v4
	v_and_b32_e32 v8, 16, v4
	v_cmp_eq_u32_e32 vcc_lo, 0, v4
	v_and_b32_e32 v10, 7, v4
	v_cmp_lt_u32_e64 s2, 3, v6
	v_cmp_lt_u32_e64 s3, 7, v6
	s_waitcnt lgkmcnt(0)
	s_add_u32 s0, s16, s14
	s_addc_u32 s1, s17, s15
	s_lshr_b32 s6, s7, 16
	global_load_b32 v7, v2, s[0:1]
	v_mad_u32_u24 v0, v0, s6, v5
	s_and_b32 s7, s7, 0xffff
	v_cmp_eq_u32_e64 s0, 0, v6
	v_cmp_lt_u32_e64 s1, 1, v6
	v_cmp_eq_u32_e64 s4, 0, v8
	v_mad_u64_u32 v[5:6], null, v0, s7, v[1:2]
	v_cmp_gt_i32_e64 s7, 0, v9
	v_or_b32_e32 v8, 31, v1
	v_and_b32_e32 v0, 28, v11
	v_cmp_lt_u32_e64 s6, 31, v1
	v_cmp_lt_u32_e64 s8, 1, v10
	v_cndmask_b32_e64 v4, v9, v4, s7
	v_cmp_eq_u32_e64 s7, 0, v10
	v_cmp_lt_u32_e64 s9, 3, v10
	v_cmp_eq_u32_e64 s10, v8, v1
	v_lshrrev_b32_e32 v5, 5, v5
	v_lshlrev_b32_e32 v4, 2, v4
	s_waitcnt vmcnt(0)
	v_xor_b32_e32 v6, 0x80000000, v7
	v_add_nc_u32_e32 v7, -4, v0
	s_branch .LBB17_2
.LBB17_1:                               ;   in Loop: Header=BB17_2 Depth=1
	s_add_i32 s13, s13, 1
	s_delay_alu instid0(SALU_CYCLE_1)
	s_cmp_eq_u32 s13, 10
	s_cbranch_scc1 .LBB17_12
.LBB17_2:                               ; =>This Loop Header: Depth=1
                                        ;     Child Loop BB17_4 Depth 2
	s_mov_b32 s16, -4
	s_mov_b32 s17, 28
	s_branch .LBB17_4
.LBB17_3:                               ;   in Loop: Header=BB17_4 Depth=2
	s_or_b32 exec_lo, exec_lo, s11
	s_waitcnt lgkmcnt(0)
	v_add_nc_u32_e32 v10, v11, v10
	s_add_i32 s16, s16, 4
	s_add_i32 s17, s17, -4
	s_cmp_lt_u32 s16, 28
	ds_bpermute_b32 v10, v4, v10
	s_waitcnt lgkmcnt(0)
	v_cndmask_b32_e32 v10, v10, v11, vcc_lo
	ds_store_b32 v2, v10 offset:32
	s_waitcnt lgkmcnt(0)
	s_barrier
	buffer_gl0_inv
	s_cbranch_scc0 .LBB17_1
.LBB17_4:                               ;   Parent Loop BB17_2 Depth=1
                                        ; =>  This Inner Loop Header: Depth=2
	v_lshlrev_b32_e32 v8, s17, v6
	ds_store_b32 v2, v3 offset:32
	s_waitcnt lgkmcnt(0)
	s_barrier
	buffer_gl0_inv
	v_bfe_u32 v9, v8, 28, 1
	v_lshrrev_b32_e32 v11, 28, v8
	v_not_b32_e32 v14, v8
	; wave barrier
	s_delay_alu instid0(VALU_DEP_3) | instskip(NEXT) | instid1(VALU_DEP_1)
	v_add_co_u32 v9, s11, v9, -1
	v_cndmask_b32_e64 v10, 0, 1, s11
	s_delay_alu instid0(VALU_DEP_4) | instskip(SKIP_1) | instid1(VALU_DEP_3)
	v_lshlrev_b32_e32 v12, 30, v11
	v_lshlrev_b32_e32 v13, 29, v11
	v_cmp_ne_u32_e64 s11, 0, v10
	s_delay_alu instid0(VALU_DEP_3) | instskip(SKIP_1) | instid1(VALU_DEP_4)
	v_not_b32_e32 v10, v12
	v_cmp_gt_i32_e64 s12, 0, v12
	v_not_b32_e32 v12, v13
	s_delay_alu instid0(VALU_DEP_4) | instskip(NEXT) | instid1(VALU_DEP_4)
	v_xor_b32_e32 v9, s11, v9
	v_ashrrev_i32_e32 v10, 31, v10
	v_cmp_gt_i32_e64 s11, 0, v13
	s_delay_alu instid0(VALU_DEP_4) | instskip(NEXT) | instid1(VALU_DEP_4)
	v_ashrrev_i32_e32 v12, 31, v12
	v_and_b32_e32 v9, exec_lo, v9
	s_delay_alu instid0(VALU_DEP_4) | instskip(SKIP_3) | instid1(VALU_DEP_4)
	v_xor_b32_e32 v10, s12, v10
	v_cmp_gt_i32_e64 s12, 0, v8
	v_ashrrev_i32_e32 v8, 31, v14
	v_xor_b32_e32 v12, s11, v12
	v_and_b32_e32 v9, v9, v10
	s_delay_alu instid0(VALU_DEP_3) | instskip(NEXT) | instid1(VALU_DEP_2)
	v_xor_b32_e32 v8, s12, v8
	v_and_b32_e32 v9, v9, v12
	s_delay_alu instid0(VALU_DEP_1) | instskip(SKIP_1) | instid1(VALU_DEP_2)
	v_and_b32_e32 v10, v9, v8
	v_mad_u32_u24 v9, v11, 9, v5
	v_mbcnt_lo_u32_b32 v8, v10, 0
	v_cmp_ne_u32_e64 s12, 0, v10
	s_delay_alu instid0(VALU_DEP_3) | instskip(NEXT) | instid1(VALU_DEP_3)
	v_lshl_add_u32 v9, v9, 2, 32
	v_cmp_eq_u32_e64 s11, 0, v8
	s_delay_alu instid0(VALU_DEP_1) | instskip(NEXT) | instid1(SALU_CYCLE_1)
	s_and_b32 s12, s12, s11
	s_and_saveexec_b32 s11, s12
	s_cbranch_execz .LBB17_6
; %bb.5:                                ;   in Loop: Header=BB17_4 Depth=2
	v_bcnt_u32_b32 v10, v10, 0
	ds_store_b32 v9, v10
.LBB17_6:                               ;   in Loop: Header=BB17_4 Depth=2
	s_or_b32 exec_lo, exec_lo, s11
	; wave barrier
	s_waitcnt lgkmcnt(0)
	s_barrier
	buffer_gl0_inv
	ds_load_b32 v10, v2 offset:32
	s_waitcnt lgkmcnt(0)
	v_mov_b32_dpp v11, v10 row_shr:1 row_mask:0xf bank_mask:0xf
	s_delay_alu instid0(VALU_DEP_1) | instskip(NEXT) | instid1(VALU_DEP_1)
	v_cndmask_b32_e64 v11, v11, 0, s0
	v_add_nc_u32_e32 v10, v11, v10
	s_delay_alu instid0(VALU_DEP_1) | instskip(NEXT) | instid1(VALU_DEP_1)
	v_mov_b32_dpp v11, v10 row_shr:2 row_mask:0xf bank_mask:0xf
	v_cndmask_b32_e64 v11, 0, v11, s1
	s_delay_alu instid0(VALU_DEP_1) | instskip(NEXT) | instid1(VALU_DEP_1)
	v_add_nc_u32_e32 v10, v10, v11
	v_mov_b32_dpp v11, v10 row_shr:4 row_mask:0xf bank_mask:0xf
	s_delay_alu instid0(VALU_DEP_1) | instskip(NEXT) | instid1(VALU_DEP_1)
	v_cndmask_b32_e64 v11, 0, v11, s2
	v_add_nc_u32_e32 v10, v10, v11
	s_delay_alu instid0(VALU_DEP_1) | instskip(NEXT) | instid1(VALU_DEP_1)
	v_mov_b32_dpp v11, v10 row_shr:8 row_mask:0xf bank_mask:0xf
	v_cndmask_b32_e64 v11, 0, v11, s3
	s_delay_alu instid0(VALU_DEP_1) | instskip(SKIP_3) | instid1(VALU_DEP_1)
	v_add_nc_u32_e32 v10, v10, v11
	ds_swizzle_b32 v11, v10 offset:swizzle(BROADCAST,32,15)
	s_waitcnt lgkmcnt(0)
	v_cndmask_b32_e64 v11, v11, 0, s4
	v_add_nc_u32_e32 v10, v10, v11
	s_and_saveexec_b32 s11, s10
	s_cbranch_execz .LBB17_8
; %bb.7:                                ;   in Loop: Header=BB17_4 Depth=2
	ds_store_b32 v0, v10
.LBB17_8:                               ;   in Loop: Header=BB17_4 Depth=2
	s_or_b32 exec_lo, exec_lo, s11
	s_waitcnt lgkmcnt(0)
	s_barrier
	buffer_gl0_inv
	s_and_saveexec_b32 s11, s5
	s_cbranch_execz .LBB17_10
; %bb.9:                                ;   in Loop: Header=BB17_4 Depth=2
	ds_load_b32 v11, v2
	s_waitcnt lgkmcnt(0)
	v_mov_b32_dpp v12, v11 row_shr:1 row_mask:0xf bank_mask:0xf
	s_delay_alu instid0(VALU_DEP_1) | instskip(NEXT) | instid1(VALU_DEP_1)
	v_cndmask_b32_e64 v12, v12, 0, s7
	v_add_nc_u32_e32 v11, v12, v11
	s_delay_alu instid0(VALU_DEP_1) | instskip(NEXT) | instid1(VALU_DEP_1)
	v_mov_b32_dpp v12, v11 row_shr:2 row_mask:0xf bank_mask:0xf
	v_cndmask_b32_e64 v12, 0, v12, s8
	s_delay_alu instid0(VALU_DEP_1) | instskip(NEXT) | instid1(VALU_DEP_1)
	v_add_nc_u32_e32 v11, v11, v12
	v_mov_b32_dpp v12, v11 row_shr:4 row_mask:0xf bank_mask:0xf
	s_delay_alu instid0(VALU_DEP_1) | instskip(NEXT) | instid1(VALU_DEP_1)
	v_cndmask_b32_e64 v12, 0, v12, s9
	v_add_nc_u32_e32 v11, v11, v12
	ds_store_b32 v2, v11
.LBB17_10:                              ;   in Loop: Header=BB17_4 Depth=2
	s_or_b32 exec_lo, exec_lo, s11
	v_mov_b32_e32 v11, 0
	s_waitcnt lgkmcnt(0)
	s_barrier
	buffer_gl0_inv
	s_and_saveexec_b32 s11, s6
	s_cbranch_execz .LBB17_3
; %bb.11:                               ;   in Loop: Header=BB17_4 Depth=2
	ds_load_b32 v11, v7
	s_branch .LBB17_3
.LBB17_12:
	ds_load_b32 v0, v9
	v_lshlrev_b32_e32 v1, 2, v1
	s_add_u32 s0, s18, s14
	s_addc_u32 s1, s19, s15
	s_waitcnt lgkmcnt(0)
	v_add_nc_u32_e32 v0, v0, v8
	global_store_b32 v1, v0, s[0:1]
	s_nop 0
	s_sendmsg sendmsg(MSG_DEALLOC_VGPRS)
	s_endpgm
	.section	.rodata,"a",@progbits
	.p2align	6, 0x0
	.amdhsa_kernel _Z11rank_kernelIiLj4ELb0EL18RadixRankAlgorithm2ELj256ELj1ELj10EEvPKT_Pi
		.amdhsa_group_segment_fixed_size 1056
		.amdhsa_private_segment_fixed_size 0
		.amdhsa_kernarg_size 272
		.amdhsa_user_sgpr_count 15
		.amdhsa_user_sgpr_dispatch_ptr 0
		.amdhsa_user_sgpr_queue_ptr 0
		.amdhsa_user_sgpr_kernarg_segment_ptr 1
		.amdhsa_user_sgpr_dispatch_id 0
		.amdhsa_user_sgpr_private_segment_size 0
		.amdhsa_wavefront_size32 1
		.amdhsa_uses_dynamic_stack 0
		.amdhsa_enable_private_segment 0
		.amdhsa_system_sgpr_workgroup_id_x 1
		.amdhsa_system_sgpr_workgroup_id_y 0
		.amdhsa_system_sgpr_workgroup_id_z 0
		.amdhsa_system_sgpr_workgroup_info 0
		.amdhsa_system_vgpr_workitem_id 2
		.amdhsa_next_free_vgpr 15
		.amdhsa_next_free_sgpr 20
		.amdhsa_reserve_vcc 1
		.amdhsa_float_round_mode_32 0
		.amdhsa_float_round_mode_16_64 0
		.amdhsa_float_denorm_mode_32 3
		.amdhsa_float_denorm_mode_16_64 3
		.amdhsa_dx10_clamp 1
		.amdhsa_ieee_mode 1
		.amdhsa_fp16_overflow 0
		.amdhsa_workgroup_processor_mode 1
		.amdhsa_memory_ordered 1
		.amdhsa_forward_progress 0
		.amdhsa_shared_vgpr_count 0
		.amdhsa_exception_fp_ieee_invalid_op 0
		.amdhsa_exception_fp_denorm_src 0
		.amdhsa_exception_fp_ieee_div_zero 0
		.amdhsa_exception_fp_ieee_overflow 0
		.amdhsa_exception_fp_ieee_underflow 0
		.amdhsa_exception_fp_ieee_inexact 0
		.amdhsa_exception_int_div_zero 0
	.end_amdhsa_kernel
	.section	.text._Z11rank_kernelIiLj4ELb0EL18RadixRankAlgorithm2ELj256ELj1ELj10EEvPKT_Pi,"axG",@progbits,_Z11rank_kernelIiLj4ELb0EL18RadixRankAlgorithm2ELj256ELj1ELj10EEvPKT_Pi,comdat
.Lfunc_end17:
	.size	_Z11rank_kernelIiLj4ELb0EL18RadixRankAlgorithm2ELj256ELj1ELj10EEvPKT_Pi, .Lfunc_end17-_Z11rank_kernelIiLj4ELb0EL18RadixRankAlgorithm2ELj256ELj1ELj10EEvPKT_Pi
                                        ; -- End function
	.section	.AMDGPU.csdata,"",@progbits
; Kernel info:
; codeLenInByte = 1032
; NumSgprs: 22
; NumVgprs: 15
; ScratchSize: 0
; MemoryBound: 0
; FloatMode: 240
; IeeeMode: 1
; LDSByteSize: 1056 bytes/workgroup (compile time only)
; SGPRBlocks: 2
; VGPRBlocks: 1
; NumSGPRsForWavesPerEU: 22
; NumVGPRsForWavesPerEU: 15
; Occupancy: 16
; WaveLimiterHint : 0
; COMPUTE_PGM_RSRC2:SCRATCH_EN: 0
; COMPUTE_PGM_RSRC2:USER_SGPR: 15
; COMPUTE_PGM_RSRC2:TRAP_HANDLER: 0
; COMPUTE_PGM_RSRC2:TGID_X_EN: 1
; COMPUTE_PGM_RSRC2:TGID_Y_EN: 0
; COMPUTE_PGM_RSRC2:TGID_Z_EN: 0
; COMPUTE_PGM_RSRC2:TIDIG_COMP_CNT: 2
	.section	.text._Z11rank_kernelIiLj4ELb0EL18RadixRankAlgorithm0ELj256ELj4ELj10EEvPKT_Pi,"axG",@progbits,_Z11rank_kernelIiLj4ELb0EL18RadixRankAlgorithm0ELj256ELj4ELj10EEvPKT_Pi,comdat
	.protected	_Z11rank_kernelIiLj4ELb0EL18RadixRankAlgorithm0ELj256ELj4ELj10EEvPKT_Pi ; -- Begin function _Z11rank_kernelIiLj4ELb0EL18RadixRankAlgorithm0ELj256ELj4ELj10EEvPKT_Pi
	.globl	_Z11rank_kernelIiLj4ELb0EL18RadixRankAlgorithm0ELj256ELj4ELj10EEvPKT_Pi
	.p2align	8
	.type	_Z11rank_kernelIiLj4ELb0EL18RadixRankAlgorithm0ELj256ELj4ELj10EEvPKT_Pi,@function
_Z11rank_kernelIiLj4ELb0EL18RadixRankAlgorithm0ELj256ELj4ELj10EEvPKT_Pi: ; @_Z11rank_kernelIiLj4ELb0EL18RadixRankAlgorithm0ELj256ELj4ELj10EEvPKT_Pi
; %bb.0:
	s_load_b128 s[16:19], s[0:1], 0x0
	s_mov_b32 s21, 0
	s_lshl_b32 s20, s15, 10
	v_dual_mov_b32 v2, 0 :: v_dual_lshlrev_b32 v1, 4, v0
	s_lshl_b64 s[12:13], s[20:21], 2
	v_mbcnt_lo_u32_b32 v4, -1, 0
	v_or_b32_e32 v11, 31, v0
	v_lshrrev_b32_e32 v13, 3, v0
	v_lshlrev_b32_e32 v3, 5, v0
	v_cmp_gt_u32_e32 vcc_lo, 8, v0
	v_add_nc_u32_e32 v12, -1, v4
	v_and_b32_e32 v5, 15, v4
	v_and_b32_e32 v10, 16, v4
	;; [unrolled: 1-line block ×3, first 2 shown]
	v_cmp_eq_u32_e64 s7, v11, v0
	v_cmp_gt_i32_e64 s8, 0, v12
	v_cmp_eq_u32_e64 s2, 0, v5
	v_cmp_lt_u32_e64 s3, 1, v5
	v_cmp_lt_u32_e64 s4, 3, v5
	s_waitcnt lgkmcnt(0)
	s_add_u32 s0, s16, s12
	s_addc_u32 s1, s17, s13
	v_cmp_lt_u32_e64 s5, 7, v5
	global_load_b128 v[6:9], v1, s[0:1]
	v_cndmask_b32_e64 v5, v12, v4, s8
	v_lshlrev_b32_e32 v1, 2, v0
	v_cmp_lt_u32_e64 s0, 31, v0
	v_cmp_eq_u32_e64 s1, 0, v4
	v_cmp_eq_u32_e64 s6, 0, v10
	v_and_b32_e32 v4, 28, v13
	v_cmp_eq_u32_e64 s8, 0, v14
	v_cmp_lt_u32_e64 s9, 1, v14
	v_cmp_lt_u32_e64 s10, 3, v14
	v_lshlrev_b32_e32 v5, 2, v5
	v_or_b32_e32 v10, 0xffffff00, v0
	s_waitcnt vmcnt(0)
	v_xor_b32_e32 v6, 0x80000000, v6
	v_xor_b32_e32 v7, 0x80000000, v7
	;; [unrolled: 1-line block ×4, first 2 shown]
	s_branch .LBB18_2
.LBB18_1:                               ;   in Loop: Header=BB18_2 Depth=1
	s_add_i32 s21, s21, 1
	s_delay_alu instid0(SALU_CYCLE_1)
	s_cmp_eq_u32 s21, 10
	s_cbranch_scc1 .LBB18_12
.LBB18_2:                               ; =>This Loop Header: Depth=1
                                        ;     Child Loop BB18_4 Depth 2
                                        ;       Child Loop BB18_5 Depth 3
	s_mov_b32 s14, 0
	s_branch .LBB18_4
.LBB18_3:                               ;   in Loop: Header=BB18_4 Depth=2
	s_or_b32 exec_lo, exec_lo, s11
	s_waitcnt lgkmcnt(0)
	v_add_nc_u32_e32 v19, v20, v19
	ds_load_b32 v23, v2 offset:8220
	ds_load_2addr_b32 v[21:22], v3 offset1:1
	s_add_i32 s11, s14, 4
	s_cmp_lt_u32 s14, 28
	s_mov_b32 s14, s11
	ds_bpermute_b32 v19, v5, v19
	s_waitcnt lgkmcnt(0)
	v_cndmask_b32_e64 v24, v19, v20, s1
	ds_load_2addr_b32 v[19:20], v3 offset0:2 offset1:3
	v_lshl_add_u32 v25, v23, 16, v24
	ds_load_2addr_b32 v[23:24], v3 offset0:4 offset1:5
	ds_load_b32 v26, v3 offset:24
	v_add_nc_u32_e32 v21, v25, v21
	s_delay_alu instid0(VALU_DEP_1) | instskip(SKIP_1) | instid1(VALU_DEP_1)
	v_add_nc_u32_e32 v22, v22, v21
	s_waitcnt lgkmcnt(2)
	v_add_nc_u32_e32 v19, v19, v22
	s_delay_alu instid0(VALU_DEP_1) | instskip(SKIP_1) | instid1(VALU_DEP_1)
	v_add_nc_u32_e32 v20, v20, v19
	s_waitcnt lgkmcnt(1)
	;; [unrolled: 4-line block ×3, first 2 shown]
	v_add_nc_u32_e32 v26, v26, v24
	ds_store_2addr_b32 v3, v25, v21 offset1:1
	ds_store_2addr_b32 v3, v22, v19 offset0:2 offset1:3
	ds_store_2addr_b32 v3, v20, v23 offset0:4 offset1:5
	;; [unrolled: 1-line block ×3, first 2 shown]
	s_waitcnt lgkmcnt(0)
	s_barrier
	buffer_gl0_inv
	s_cbranch_scc0 .LBB18_1
.LBB18_4:                               ;   Parent Loop BB18_2 Depth=1
                                        ; =>  This Loop Header: Depth=2
                                        ;       Child Loop BB18_5 Depth 3
	v_dual_mov_b32 v11, v10 :: v_dual_mov_b32 v12, v1
	s_mov_b32 s15, 0
.LBB18_5:                               ;   Parent Loop BB18_2 Depth=1
                                        ;     Parent Loop BB18_4 Depth=2
                                        ; =>    This Inner Loop Header: Depth=3
	s_delay_alu instid0(VALU_DEP_1) | instskip(SKIP_3) | instid1(VALU_DEP_1)
	v_add_nc_u32_e32 v11, 0x100, v11
	ds_store_b32 v12, v2
	v_add_nc_u32_e32 v12, 0x400, v12
	v_cmp_lt_u32_e64 s11, 0x6ff, v11
	s_or_b32 s15, s11, s15
	s_delay_alu instid0(SALU_CYCLE_1)
	s_and_not1_b32 exec_lo, exec_lo, s15
	s_cbranch_execnz .LBB18_5
; %bb.6:                                ;   in Loop: Header=BB18_4 Depth=2
	s_or_b32 exec_lo, exec_lo, s15
	s_sub_i32 s11, 28, s14
	s_delay_alu instid0(SALU_CYCLE_1) | instskip(SKIP_1) | instid1(VALU_DEP_2)
	v_lshlrev_b32_e32 v11, s11, v6
	v_lshlrev_b32_e32 v13, s11, v7
	v_lshrrev_b32_e32 v12, 20, v11
	s_delay_alu instid0(VALU_DEP_2) | instskip(NEXT) | instid1(VALU_DEP_2)
	v_lshrrev_b32_e32 v14, 20, v13
	v_and_or_b32 v12, 0x700, v12, v0
	s_delay_alu instid0(VALU_DEP_2) | instskip(NEXT) | instid1(VALU_DEP_2)
	v_and_or_b32 v14, 0x700, v14, v0
	v_alignbit_b32 v11, v12, v11, 31
	s_delay_alu instid0(VALU_DEP_2) | instskip(NEXT) | instid1(VALU_DEP_2)
	v_alignbit_b32 v13, v14, v13, 31
	v_lshlrev_b32_e32 v12, 1, v11
	s_delay_alu instid0(VALU_DEP_2)
	v_lshlrev_b32_e32 v14, 1, v13
	ds_load_u16 v11, v12
	s_waitcnt lgkmcnt(0)
	v_add_nc_u16 v15, v11, 1
	ds_store_b16 v12, v15
	ds_load_u16 v13, v14
	v_lshlrev_b32_e32 v15, s11, v8
	s_delay_alu instid0(VALU_DEP_1) | instskip(NEXT) | instid1(VALU_DEP_1)
	v_lshrrev_b32_e32 v16, 20, v15
	v_and_or_b32 v16, 0x700, v16, v0
	s_delay_alu instid0(VALU_DEP_1) | instskip(SKIP_2) | instid1(VALU_DEP_2)
	v_alignbit_b32 v15, v16, v15, 31
	s_waitcnt lgkmcnt(0)
	v_add_nc_u16 v17, v13, 1
	v_lshlrev_b32_e32 v16, 1, v15
	ds_store_b16 v14, v17
	ds_load_u16 v15, v16
	v_lshlrev_b32_e32 v17, s11, v9
	s_delay_alu instid0(VALU_DEP_1) | instskip(NEXT) | instid1(VALU_DEP_1)
	v_lshrrev_b32_e32 v18, 20, v17
	v_and_or_b32 v18, 0x700, v18, v0
	s_delay_alu instid0(VALU_DEP_1) | instskip(SKIP_2) | instid1(VALU_DEP_2)
	v_alignbit_b32 v17, v18, v17, 31
	s_waitcnt lgkmcnt(0)
	v_add_nc_u16 v19, v15, 1
	v_lshlrev_b32_e32 v18, 1, v17
	ds_store_b16 v16, v19
	ds_load_u16 v17, v18
	s_waitcnt lgkmcnt(0)
	v_add_nc_u16 v19, v17, 1
	ds_store_b16 v18, v19
	s_waitcnt lgkmcnt(0)
	s_barrier
	buffer_gl0_inv
	ds_load_2addr_b32 v[19:20], v3 offset1:1
	ds_load_2addr_b32 v[21:22], v3 offset0:2 offset1:3
	ds_load_2addr_b32 v[23:24], v3 offset0:4 offset1:5
	ds_load_2addr_b32 v[25:26], v3 offset0:6 offset1:7
	s_waitcnt lgkmcnt(3)
	v_add_nc_u32_e32 v19, v20, v19
	s_waitcnt lgkmcnt(2)
	s_delay_alu instid0(VALU_DEP_1) | instskip(SKIP_1) | instid1(VALU_DEP_1)
	v_add3_u32 v19, v19, v21, v22
	s_waitcnt lgkmcnt(1)
	v_add3_u32 v19, v19, v23, v24
	s_waitcnt lgkmcnt(0)
	s_delay_alu instid0(VALU_DEP_1) | instskip(NEXT) | instid1(VALU_DEP_1)
	v_add3_u32 v19, v19, v25, v26
	v_mov_b32_dpp v20, v19 row_shr:1 row_mask:0xf bank_mask:0xf
	s_delay_alu instid0(VALU_DEP_1) | instskip(NEXT) | instid1(VALU_DEP_1)
	v_cndmask_b32_e64 v20, v20, 0, s2
	v_add_nc_u32_e32 v19, v20, v19
	s_delay_alu instid0(VALU_DEP_1) | instskip(NEXT) | instid1(VALU_DEP_1)
	v_mov_b32_dpp v20, v19 row_shr:2 row_mask:0xf bank_mask:0xf
	v_cndmask_b32_e64 v20, 0, v20, s3
	s_delay_alu instid0(VALU_DEP_1) | instskip(NEXT) | instid1(VALU_DEP_1)
	v_add_nc_u32_e32 v19, v19, v20
	v_mov_b32_dpp v20, v19 row_shr:4 row_mask:0xf bank_mask:0xf
	s_delay_alu instid0(VALU_DEP_1) | instskip(NEXT) | instid1(VALU_DEP_1)
	v_cndmask_b32_e64 v20, 0, v20, s4
	v_add_nc_u32_e32 v19, v19, v20
	s_delay_alu instid0(VALU_DEP_1) | instskip(NEXT) | instid1(VALU_DEP_1)
	v_mov_b32_dpp v20, v19 row_shr:8 row_mask:0xf bank_mask:0xf
	v_cndmask_b32_e64 v20, 0, v20, s5
	s_delay_alu instid0(VALU_DEP_1) | instskip(SKIP_3) | instid1(VALU_DEP_1)
	v_add_nc_u32_e32 v19, v19, v20
	ds_swizzle_b32 v20, v19 offset:swizzle(BROADCAST,32,15)
	s_waitcnt lgkmcnt(0)
	v_cndmask_b32_e64 v20, v20, 0, s6
	v_add_nc_u32_e32 v19, v19, v20
	s_and_saveexec_b32 s11, s7
	s_cbranch_execz .LBB18_8
; %bb.7:                                ;   in Loop: Header=BB18_4 Depth=2
	ds_store_b32 v4, v19 offset:8192
.LBB18_8:                               ;   in Loop: Header=BB18_4 Depth=2
	s_or_b32 exec_lo, exec_lo, s11
	s_waitcnt lgkmcnt(0)
	s_barrier
	buffer_gl0_inv
	s_and_saveexec_b32 s11, vcc_lo
	s_cbranch_execz .LBB18_10
; %bb.9:                                ;   in Loop: Header=BB18_4 Depth=2
	ds_load_b32 v20, v1 offset:8192
	s_waitcnt lgkmcnt(0)
	v_mov_b32_dpp v21, v20 row_shr:1 row_mask:0xf bank_mask:0xf
	s_delay_alu instid0(VALU_DEP_1) | instskip(NEXT) | instid1(VALU_DEP_1)
	v_cndmask_b32_e64 v21, v21, 0, s8
	v_add_nc_u32_e32 v20, v21, v20
	s_delay_alu instid0(VALU_DEP_1) | instskip(NEXT) | instid1(VALU_DEP_1)
	v_mov_b32_dpp v21, v20 row_shr:2 row_mask:0xf bank_mask:0xf
	v_cndmask_b32_e64 v21, 0, v21, s9
	s_delay_alu instid0(VALU_DEP_1) | instskip(NEXT) | instid1(VALU_DEP_1)
	v_add_nc_u32_e32 v20, v20, v21
	v_mov_b32_dpp v21, v20 row_shr:4 row_mask:0xf bank_mask:0xf
	s_delay_alu instid0(VALU_DEP_1) | instskip(NEXT) | instid1(VALU_DEP_1)
	v_cndmask_b32_e64 v21, 0, v21, s10
	v_add_nc_u32_e32 v20, v20, v21
	ds_store_b32 v1, v20 offset:8192
.LBB18_10:                              ;   in Loop: Header=BB18_4 Depth=2
	s_or_b32 exec_lo, exec_lo, s11
	v_mov_b32_e32 v20, 0
	s_waitcnt lgkmcnt(0)
	s_barrier
	buffer_gl0_inv
	s_and_saveexec_b32 s11, s0
	s_cbranch_execz .LBB18_3
; %bb.11:                               ;   in Loop: Header=BB18_4 Depth=2
	ds_load_b32 v20, v4 offset:8188
	s_branch .LBB18_3
.LBB18_12:
	ds_load_u16 v0, v12
	ds_load_u16 v3, v14
	;; [unrolled: 1-line block ×4, first 2 shown]
	v_and_b32_e32 v2, 0xffff, v11
	v_and_b32_e32 v6, 0xffff, v13
	;; [unrolled: 1-line block ×4, first 2 shown]
	s_add_u32 s0, s18, s12
	s_addc_u32 s1, s19, s13
	s_waitcnt lgkmcnt(3)
	v_add_nc_u32_e32 v2, v0, v2
	s_waitcnt lgkmcnt(2)
	v_add_nc_u32_e32 v3, v3, v6
	;; [unrolled: 2-line block ×4, first 2 shown]
	v_lshlrev_b32_e32 v0, 2, v1
	global_store_b128 v0, v[2:5], s[0:1]
	s_nop 0
	s_sendmsg sendmsg(MSG_DEALLOC_VGPRS)
	s_endpgm
	.section	.rodata,"a",@progbits
	.p2align	6, 0x0
	.amdhsa_kernel _Z11rank_kernelIiLj4ELb0EL18RadixRankAlgorithm0ELj256ELj4ELj10EEvPKT_Pi
		.amdhsa_group_segment_fixed_size 8224
		.amdhsa_private_segment_fixed_size 0
		.amdhsa_kernarg_size 16
		.amdhsa_user_sgpr_count 15
		.amdhsa_user_sgpr_dispatch_ptr 0
		.amdhsa_user_sgpr_queue_ptr 0
		.amdhsa_user_sgpr_kernarg_segment_ptr 1
		.amdhsa_user_sgpr_dispatch_id 0
		.amdhsa_user_sgpr_private_segment_size 0
		.amdhsa_wavefront_size32 1
		.amdhsa_uses_dynamic_stack 0
		.amdhsa_enable_private_segment 0
		.amdhsa_system_sgpr_workgroup_id_x 1
		.amdhsa_system_sgpr_workgroup_id_y 0
		.amdhsa_system_sgpr_workgroup_id_z 0
		.amdhsa_system_sgpr_workgroup_info 0
		.amdhsa_system_vgpr_workitem_id 0
		.amdhsa_next_free_vgpr 27
		.amdhsa_next_free_sgpr 22
		.amdhsa_reserve_vcc 1
		.amdhsa_float_round_mode_32 0
		.amdhsa_float_round_mode_16_64 0
		.amdhsa_float_denorm_mode_32 3
		.amdhsa_float_denorm_mode_16_64 3
		.amdhsa_dx10_clamp 1
		.amdhsa_ieee_mode 1
		.amdhsa_fp16_overflow 0
		.amdhsa_workgroup_processor_mode 1
		.amdhsa_memory_ordered 1
		.amdhsa_forward_progress 0
		.amdhsa_shared_vgpr_count 0
		.amdhsa_exception_fp_ieee_invalid_op 0
		.amdhsa_exception_fp_denorm_src 0
		.amdhsa_exception_fp_ieee_div_zero 0
		.amdhsa_exception_fp_ieee_overflow 0
		.amdhsa_exception_fp_ieee_underflow 0
		.amdhsa_exception_fp_ieee_inexact 0
		.amdhsa_exception_int_div_zero 0
	.end_amdhsa_kernel
	.section	.text._Z11rank_kernelIiLj4ELb0EL18RadixRankAlgorithm0ELj256ELj4ELj10EEvPKT_Pi,"axG",@progbits,_Z11rank_kernelIiLj4ELb0EL18RadixRankAlgorithm0ELj256ELj4ELj10EEvPKT_Pi,comdat
.Lfunc_end18:
	.size	_Z11rank_kernelIiLj4ELb0EL18RadixRankAlgorithm0ELj256ELj4ELj10EEvPKT_Pi, .Lfunc_end18-_Z11rank_kernelIiLj4ELb0EL18RadixRankAlgorithm0ELj256ELj4ELj10EEvPKT_Pi
                                        ; -- End function
	.section	.AMDGPU.csdata,"",@progbits
; Kernel info:
; codeLenInByte = 1364
; NumSgprs: 24
; NumVgprs: 27
; ScratchSize: 0
; MemoryBound: 0
; FloatMode: 240
; IeeeMode: 1
; LDSByteSize: 8224 bytes/workgroup (compile time only)
; SGPRBlocks: 2
; VGPRBlocks: 3
; NumSGPRsForWavesPerEU: 24
; NumVGPRsForWavesPerEU: 27
; Occupancy: 16
; WaveLimiterHint : 0
; COMPUTE_PGM_RSRC2:SCRATCH_EN: 0
; COMPUTE_PGM_RSRC2:USER_SGPR: 15
; COMPUTE_PGM_RSRC2:TRAP_HANDLER: 0
; COMPUTE_PGM_RSRC2:TGID_X_EN: 1
; COMPUTE_PGM_RSRC2:TGID_Y_EN: 0
; COMPUTE_PGM_RSRC2:TGID_Z_EN: 0
; COMPUTE_PGM_RSRC2:TIDIG_COMP_CNT: 0
	.section	.text._Z11rank_kernelIiLj4ELb0EL18RadixRankAlgorithm1ELj256ELj4ELj10EEvPKT_Pi,"axG",@progbits,_Z11rank_kernelIiLj4ELb0EL18RadixRankAlgorithm1ELj256ELj4ELj10EEvPKT_Pi,comdat
	.protected	_Z11rank_kernelIiLj4ELb0EL18RadixRankAlgorithm1ELj256ELj4ELj10EEvPKT_Pi ; -- Begin function _Z11rank_kernelIiLj4ELb0EL18RadixRankAlgorithm1ELj256ELj4ELj10EEvPKT_Pi
	.globl	_Z11rank_kernelIiLj4ELb0EL18RadixRankAlgorithm1ELj256ELj4ELj10EEvPKT_Pi
	.p2align	8
	.type	_Z11rank_kernelIiLj4ELb0EL18RadixRankAlgorithm1ELj256ELj4ELj10EEvPKT_Pi,@function
_Z11rank_kernelIiLj4ELb0EL18RadixRankAlgorithm1ELj256ELj4ELj10EEvPKT_Pi: ; @_Z11rank_kernelIiLj4ELb0EL18RadixRankAlgorithm1ELj256ELj4ELj10EEvPKT_Pi
; %bb.0:
	s_load_b128 s[16:19], s[0:1], 0x0
	s_mov_b32 s21, 0
	s_lshl_b32 s20, s15, 10
	v_dual_mov_b32 v10, 0 :: v_dual_lshlrev_b32 v1, 4, v0
	s_lshl_b64 s[12:13], s[20:21], 2
	v_mbcnt_lo_u32_b32 v5, -1, 0
	v_or_b32_e32 v8, 31, v0
	v_lshrrev_b32_e32 v13, 3, v0
	v_lshlrev_b32_e32 v9, 2, v0
	v_lshlrev_b32_e32 v11, 5, v0
	v_add_nc_u32_e32 v12, -1, v5
	v_and_b32_e32 v6, 15, v5
	v_and_b32_e32 v7, 16, v5
	v_and_b32_e32 v14, 7, v5
	v_cmp_gt_u32_e32 vcc_lo, 8, v0
	v_cmp_gt_i32_e64 s8, 0, v12
	v_cmp_eq_u32_e64 s2, 0, v6
	v_cmp_lt_u32_e64 s3, 1, v6
	v_cmp_lt_u32_e64 s4, 3, v6
	s_waitcnt lgkmcnt(0)
	s_add_u32 s0, s16, s12
	s_addc_u32 s1, s17, s13
	v_cmp_lt_u32_e64 s5, 7, v6
	global_load_b128 v[1:4], v1, s[0:1]
	v_cmp_eq_u32_e64 s1, 0, v5
	v_cndmask_b32_e64 v5, v12, v5, s8
	v_cmp_lt_u32_e64 s0, 31, v0
	v_cmp_eq_u32_e64 s6, 0, v7
	v_cmp_eq_u32_e64 s7, v8, v0
	v_and_b32_e32 v12, 28, v13
	v_cmp_eq_u32_e64 s8, 0, v14
	v_cmp_lt_u32_e64 s9, 1, v14
	v_cmp_lt_u32_e64 s10, 3, v14
	v_lshlrev_b32_e32 v13, 2, v5
	v_or_b32_e32 v18, 0xffffff00, v0
	s_waitcnt vmcnt(0)
	v_xor_b32_e32 v14, 0x80000000, v1
	v_xor_b32_e32 v15, 0x80000000, v2
	;; [unrolled: 1-line block ×4, first 2 shown]
	s_branch .LBB19_2
.LBB19_1:                               ;   in Loop: Header=BB19_2 Depth=1
	s_add_i32 s21, s21, 1
	s_delay_alu instid0(SALU_CYCLE_1)
	s_cmp_eq_u32 s21, 10
	s_cbranch_scc1 .LBB19_12
.LBB19_2:                               ; =>This Loop Header: Depth=1
                                        ;     Child Loop BB19_4 Depth 2
                                        ;       Child Loop BB19_5 Depth 3
	s_mov_b32 s14, 0
	s_branch .LBB19_4
.LBB19_3:                               ;   in Loop: Header=BB19_4 Depth=2
	s_or_b32 exec_lo, exec_lo, s11
	s_waitcnt lgkmcnt(0)
	v_add_nc_u32_e32 v2, v27, v2
	ds_load_b32 v28, v10 offset:8220
	s_add_i32 s11, s14, 4
	s_cmp_lt_u32 s14, 28
	s_mov_b32 s14, s11
	ds_bpermute_b32 v2, v13, v2
	s_waitcnt lgkmcnt(0)
	v_cndmask_b32_e64 v2, v2, v27, s1
	s_delay_alu instid0(VALU_DEP_1) | instskip(NEXT) | instid1(VALU_DEP_1)
	v_lshl_add_u32 v2, v28, 16, v2
	v_add_nc_u32_e32 v7, v2, v7
	s_delay_alu instid0(VALU_DEP_1) | instskip(NEXT) | instid1(VALU_DEP_1)
	v_add_nc_u32_e32 v8, v7, v8
	v_add_nc_u32_e32 v5, v8, v5
	s_delay_alu instid0(VALU_DEP_1) | instskip(NEXT) | instid1(VALU_DEP_1)
	v_add_nc_u32_e32 v6, v5, v6
	;; [unrolled: 3-line block ×3, first 2 shown]
	v_add_nc_u32_e32 v1, v4, v1
	ds_store_2addr_b32 v11, v2, v7 offset1:1
	ds_store_2addr_b32 v11, v8, v5 offset0:2 offset1:3
	ds_store_2addr_b32 v11, v6, v3 offset0:4 offset1:5
	;; [unrolled: 1-line block ×3, first 2 shown]
	s_waitcnt lgkmcnt(0)
	s_barrier
	buffer_gl0_inv
	s_cbranch_scc0 .LBB19_1
.LBB19_4:                               ;   Parent Loop BB19_2 Depth=1
                                        ; =>  This Loop Header: Depth=2
                                        ;       Child Loop BB19_5 Depth 3
	v_dual_mov_b32 v1, v18 :: v_dual_mov_b32 v2, v9
	s_mov_b32 s15, 0
.LBB19_5:                               ;   Parent Loop BB19_2 Depth=1
                                        ;     Parent Loop BB19_4 Depth=2
                                        ; =>    This Inner Loop Header: Depth=3
	s_delay_alu instid0(VALU_DEP_1) | instskip(SKIP_3) | instid1(VALU_DEP_1)
	v_add_nc_u32_e32 v1, 0x100, v1
	ds_store_b32 v2, v10
	v_add_nc_u32_e32 v2, 0x400, v2
	v_cmp_lt_u32_e64 s11, 0x6ff, v1
	s_or_b32 s15, s11, s15
	s_delay_alu instid0(SALU_CYCLE_1)
	s_and_not1_b32 exec_lo, exec_lo, s15
	s_cbranch_execnz .LBB19_5
; %bb.6:                                ;   in Loop: Header=BB19_4 Depth=2
	s_or_b32 exec_lo, exec_lo, s15
	s_sub_i32 s11, 28, s14
	s_delay_alu instid0(SALU_CYCLE_1) | instskip(NEXT) | instid1(VALU_DEP_1)
	v_lshlrev_b32_e32 v1, s11, v14
	v_lshrrev_b32_e32 v2, 20, v1
	s_delay_alu instid0(VALU_DEP_1) | instskip(NEXT) | instid1(VALU_DEP_1)
	v_and_or_b32 v2, 0x700, v2, v0
	v_alignbit_b32 v1, v2, v1, 31
	s_delay_alu instid0(VALU_DEP_1) | instskip(SKIP_3) | instid1(VALU_DEP_1)
	v_lshlrev_b32_e32 v20, 1, v1
	v_lshlrev_b32_e32 v1, s11, v15
	ds_load_u16 v19, v20
	v_lshrrev_b32_e32 v2, 20, v1
	v_and_or_b32 v2, 0x700, v2, v0
	s_delay_alu instid0(VALU_DEP_1) | instskip(NEXT) | instid1(VALU_DEP_1)
	v_alignbit_b32 v1, v2, v1, 31
	v_lshlrev_b32_e32 v22, 1, v1
	v_lshlrev_b32_e32 v1, s11, v16
	s_waitcnt lgkmcnt(0)
	v_add_nc_u16 v2, v19, 1
	ds_store_b16 v20, v2
	ds_load_u16 v21, v22
	v_lshrrev_b32_e32 v2, 20, v1
	s_delay_alu instid0(VALU_DEP_1) | instskip(NEXT) | instid1(VALU_DEP_1)
	v_and_or_b32 v2, 0x700, v2, v0
	v_alignbit_b32 v1, v2, v1, 31
	s_delay_alu instid0(VALU_DEP_1)
	v_lshlrev_b32_e32 v24, 1, v1
	v_lshlrev_b32_e32 v1, s11, v17
	s_waitcnt lgkmcnt(0)
	v_add_nc_u16 v2, v21, 1
	ds_store_b16 v22, v2
	ds_load_u16 v23, v24
	v_lshrrev_b32_e32 v2, 20, v1
	s_delay_alu instid0(VALU_DEP_1) | instskip(NEXT) | instid1(VALU_DEP_1)
	v_and_or_b32 v2, 0x700, v2, v0
	v_alignbit_b32 v1, v2, v1, 31
	s_delay_alu instid0(VALU_DEP_1)
	v_lshlrev_b32_e32 v26, 1, v1
	s_waitcnt lgkmcnt(0)
	v_add_nc_u16 v2, v23, 1
	ds_store_b16 v24, v2
	ds_load_u16 v25, v26
	s_waitcnt lgkmcnt(0)
	v_add_nc_u16 v1, v25, 1
	ds_store_b16 v26, v1
	s_waitcnt lgkmcnt(0)
	s_barrier
	buffer_gl0_inv
	ds_load_2addr_b32 v[7:8], v11 offset1:1
	ds_load_2addr_b32 v[5:6], v11 offset0:2 offset1:3
	ds_load_2addr_b32 v[3:4], v11 offset0:4 offset1:5
	;; [unrolled: 1-line block ×3, first 2 shown]
	s_waitcnt lgkmcnt(3)
	v_add_nc_u32_e32 v27, v8, v7
	s_waitcnt lgkmcnt(2)
	s_delay_alu instid0(VALU_DEP_1) | instskip(SKIP_1) | instid1(VALU_DEP_1)
	v_add3_u32 v27, v27, v5, v6
	s_waitcnt lgkmcnt(1)
	v_add3_u32 v27, v27, v3, v4
	s_waitcnt lgkmcnt(0)
	s_delay_alu instid0(VALU_DEP_1) | instskip(NEXT) | instid1(VALU_DEP_1)
	v_add3_u32 v2, v27, v1, v2
	v_mov_b32_dpp v27, v2 row_shr:1 row_mask:0xf bank_mask:0xf
	s_delay_alu instid0(VALU_DEP_1) | instskip(NEXT) | instid1(VALU_DEP_1)
	v_cndmask_b32_e64 v27, v27, 0, s2
	v_add_nc_u32_e32 v2, v27, v2
	s_delay_alu instid0(VALU_DEP_1) | instskip(NEXT) | instid1(VALU_DEP_1)
	v_mov_b32_dpp v27, v2 row_shr:2 row_mask:0xf bank_mask:0xf
	v_cndmask_b32_e64 v27, 0, v27, s3
	s_delay_alu instid0(VALU_DEP_1) | instskip(NEXT) | instid1(VALU_DEP_1)
	v_add_nc_u32_e32 v2, v2, v27
	v_mov_b32_dpp v27, v2 row_shr:4 row_mask:0xf bank_mask:0xf
	s_delay_alu instid0(VALU_DEP_1) | instskip(NEXT) | instid1(VALU_DEP_1)
	v_cndmask_b32_e64 v27, 0, v27, s4
	v_add_nc_u32_e32 v2, v2, v27
	s_delay_alu instid0(VALU_DEP_1) | instskip(NEXT) | instid1(VALU_DEP_1)
	v_mov_b32_dpp v27, v2 row_shr:8 row_mask:0xf bank_mask:0xf
	v_cndmask_b32_e64 v27, 0, v27, s5
	s_delay_alu instid0(VALU_DEP_1) | instskip(SKIP_3) | instid1(VALU_DEP_1)
	v_add_nc_u32_e32 v2, v2, v27
	ds_swizzle_b32 v27, v2 offset:swizzle(BROADCAST,32,15)
	s_waitcnt lgkmcnt(0)
	v_cndmask_b32_e64 v27, v27, 0, s6
	v_add_nc_u32_e32 v2, v2, v27
	s_and_saveexec_b32 s11, s7
	s_cbranch_execz .LBB19_8
; %bb.7:                                ;   in Loop: Header=BB19_4 Depth=2
	ds_store_b32 v12, v2 offset:8192
.LBB19_8:                               ;   in Loop: Header=BB19_4 Depth=2
	s_or_b32 exec_lo, exec_lo, s11
	s_waitcnt lgkmcnt(0)
	s_barrier
	buffer_gl0_inv
	s_and_saveexec_b32 s11, vcc_lo
	s_cbranch_execz .LBB19_10
; %bb.9:                                ;   in Loop: Header=BB19_4 Depth=2
	ds_load_b32 v27, v9 offset:8192
	s_waitcnt lgkmcnt(0)
	v_mov_b32_dpp v28, v27 row_shr:1 row_mask:0xf bank_mask:0xf
	s_delay_alu instid0(VALU_DEP_1) | instskip(NEXT) | instid1(VALU_DEP_1)
	v_cndmask_b32_e64 v28, v28, 0, s8
	v_add_nc_u32_e32 v27, v28, v27
	s_delay_alu instid0(VALU_DEP_1) | instskip(NEXT) | instid1(VALU_DEP_1)
	v_mov_b32_dpp v28, v27 row_shr:2 row_mask:0xf bank_mask:0xf
	v_cndmask_b32_e64 v28, 0, v28, s9
	s_delay_alu instid0(VALU_DEP_1) | instskip(NEXT) | instid1(VALU_DEP_1)
	v_add_nc_u32_e32 v27, v27, v28
	v_mov_b32_dpp v28, v27 row_shr:4 row_mask:0xf bank_mask:0xf
	s_delay_alu instid0(VALU_DEP_1) | instskip(NEXT) | instid1(VALU_DEP_1)
	v_cndmask_b32_e64 v28, 0, v28, s10
	v_add_nc_u32_e32 v27, v27, v28
	ds_store_b32 v9, v27 offset:8192
.LBB19_10:                              ;   in Loop: Header=BB19_4 Depth=2
	s_or_b32 exec_lo, exec_lo, s11
	v_mov_b32_e32 v27, 0
	s_waitcnt lgkmcnt(0)
	s_barrier
	buffer_gl0_inv
	s_and_saveexec_b32 s11, s0
	s_cbranch_execz .LBB19_3
; %bb.11:                               ;   in Loop: Header=BB19_4 Depth=2
	ds_load_b32 v27, v12 offset:8188
	s_branch .LBB19_3
.LBB19_12:
	ds_load_u16 v0, v20
	ds_load_u16 v1, v22
	;; [unrolled: 1-line block ×4, first 2 shown]
	v_and_b32_e32 v4, 0xffff, v19
	v_and_b32_e32 v5, 0xffff, v21
	;; [unrolled: 1-line block ×4, first 2 shown]
	s_add_u32 s0, s18, s12
	s_addc_u32 s1, s19, s13
	s_waitcnt lgkmcnt(3)
	v_add_nc_u32_e32 v0, v0, v4
	s_waitcnt lgkmcnt(2)
	v_add_nc_u32_e32 v1, v1, v5
	;; [unrolled: 2-line block ×4, first 2 shown]
	v_lshlrev_b32_e32 v4, 2, v9
	global_store_b128 v4, v[0:3], s[0:1]
	s_nop 0
	s_sendmsg sendmsg(MSG_DEALLOC_VGPRS)
	s_endpgm
	.section	.rodata,"a",@progbits
	.p2align	6, 0x0
	.amdhsa_kernel _Z11rank_kernelIiLj4ELb0EL18RadixRankAlgorithm1ELj256ELj4ELj10EEvPKT_Pi
		.amdhsa_group_segment_fixed_size 8224
		.amdhsa_private_segment_fixed_size 0
		.amdhsa_kernarg_size 16
		.amdhsa_user_sgpr_count 15
		.amdhsa_user_sgpr_dispatch_ptr 0
		.amdhsa_user_sgpr_queue_ptr 0
		.amdhsa_user_sgpr_kernarg_segment_ptr 1
		.amdhsa_user_sgpr_dispatch_id 0
		.amdhsa_user_sgpr_private_segment_size 0
		.amdhsa_wavefront_size32 1
		.amdhsa_uses_dynamic_stack 0
		.amdhsa_enable_private_segment 0
		.amdhsa_system_sgpr_workgroup_id_x 1
		.amdhsa_system_sgpr_workgroup_id_y 0
		.amdhsa_system_sgpr_workgroup_id_z 0
		.amdhsa_system_sgpr_workgroup_info 0
		.amdhsa_system_vgpr_workitem_id 0
		.amdhsa_next_free_vgpr 29
		.amdhsa_next_free_sgpr 22
		.amdhsa_reserve_vcc 1
		.amdhsa_float_round_mode_32 0
		.amdhsa_float_round_mode_16_64 0
		.amdhsa_float_denorm_mode_32 3
		.amdhsa_float_denorm_mode_16_64 3
		.amdhsa_dx10_clamp 1
		.amdhsa_ieee_mode 1
		.amdhsa_fp16_overflow 0
		.amdhsa_workgroup_processor_mode 1
		.amdhsa_memory_ordered 1
		.amdhsa_forward_progress 0
		.amdhsa_shared_vgpr_count 0
		.amdhsa_exception_fp_ieee_invalid_op 0
		.amdhsa_exception_fp_denorm_src 0
		.amdhsa_exception_fp_ieee_div_zero 0
		.amdhsa_exception_fp_ieee_overflow 0
		.amdhsa_exception_fp_ieee_underflow 0
		.amdhsa_exception_fp_ieee_inexact 0
		.amdhsa_exception_int_div_zero 0
	.end_amdhsa_kernel
	.section	.text._Z11rank_kernelIiLj4ELb0EL18RadixRankAlgorithm1ELj256ELj4ELj10EEvPKT_Pi,"axG",@progbits,_Z11rank_kernelIiLj4ELb0EL18RadixRankAlgorithm1ELj256ELj4ELj10EEvPKT_Pi,comdat
.Lfunc_end19:
	.size	_Z11rank_kernelIiLj4ELb0EL18RadixRankAlgorithm1ELj256ELj4ELj10EEvPKT_Pi, .Lfunc_end19-_Z11rank_kernelIiLj4ELb0EL18RadixRankAlgorithm1ELj256ELj4ELj10EEvPKT_Pi
                                        ; -- End function
	.section	.AMDGPU.csdata,"",@progbits
; Kernel info:
; codeLenInByte = 1320
; NumSgprs: 24
; NumVgprs: 29
; ScratchSize: 0
; MemoryBound: 0
; FloatMode: 240
; IeeeMode: 1
; LDSByteSize: 8224 bytes/workgroup (compile time only)
; SGPRBlocks: 2
; VGPRBlocks: 3
; NumSGPRsForWavesPerEU: 24
; NumVGPRsForWavesPerEU: 29
; Occupancy: 16
; WaveLimiterHint : 0
; COMPUTE_PGM_RSRC2:SCRATCH_EN: 0
; COMPUTE_PGM_RSRC2:USER_SGPR: 15
; COMPUTE_PGM_RSRC2:TRAP_HANDLER: 0
; COMPUTE_PGM_RSRC2:TGID_X_EN: 1
; COMPUTE_PGM_RSRC2:TGID_Y_EN: 0
; COMPUTE_PGM_RSRC2:TGID_Z_EN: 0
; COMPUTE_PGM_RSRC2:TIDIG_COMP_CNT: 0
	.section	.text._Z11rank_kernelIiLj4ELb0EL18RadixRankAlgorithm2ELj256ELj4ELj10EEvPKT_Pi,"axG",@progbits,_Z11rank_kernelIiLj4ELb0EL18RadixRankAlgorithm2ELj256ELj4ELj10EEvPKT_Pi,comdat
	.protected	_Z11rank_kernelIiLj4ELb0EL18RadixRankAlgorithm2ELj256ELj4ELj10EEvPKT_Pi ; -- Begin function _Z11rank_kernelIiLj4ELb0EL18RadixRankAlgorithm2ELj256ELj4ELj10EEvPKT_Pi
	.globl	_Z11rank_kernelIiLj4ELb0EL18RadixRankAlgorithm2ELj256ELj4ELj10EEvPKT_Pi
	.p2align	8
	.type	_Z11rank_kernelIiLj4ELb0EL18RadixRankAlgorithm2ELj256ELj4ELj10EEvPKT_Pi,@function
_Z11rank_kernelIiLj4ELb0EL18RadixRankAlgorithm2ELj256ELj4ELj10EEvPKT_Pi: ; @_Z11rank_kernelIiLj4ELb0EL18RadixRankAlgorithm2ELj256ELj4ELj10EEvPKT_Pi
; %bb.0:
	s_clause 0x1
	s_load_b128 s[16:19], s[0:1], 0x0
	s_load_b32 s8, s[0:1], 0x1c
	v_and_b32_e32 v2, 0x3ff, v0
	s_mov_b32 s13, 0
	s_lshl_b32 s12, s15, 10
	v_mbcnt_lo_u32_b32 v3, -1, 0
	s_lshl_b64 s[14:15], s[12:13], 2
	v_lshlrev_b32_e32 v1, 4, v2
	v_bfe_u32 v4, v0, 10, 10
	v_bfe_u32 v9, v0, 20, 10
	v_add_nc_u32_e32 v12, -1, v3
	v_and_b32_e32 v10, 15, v3
	v_and_b32_e32 v11, 16, v3
	v_cmp_eq_u32_e32 vcc_lo, 0, v3
	v_and_b32_e32 v13, 7, v3
	s_delay_alu instid0(VALU_DEP_4) | instskip(SKIP_2) | instid1(VALU_DEP_4)
	v_cmp_lt_u32_e64 s2, 3, v10
	v_cmp_lt_u32_e64 s3, 7, v10
	v_cmp_eq_u32_e64 s4, 0, v11
	v_cmp_lt_u32_e64 s9, 3, v13
	s_waitcnt lgkmcnt(0)
	s_add_u32 s0, s16, s14
	s_addc_u32 s1, s17, s15
	s_lshr_b32 s7, s8, 16
	global_load_b128 v[5:8], v1, s[0:1]
	v_mov_b32_e32 v1, 0
	v_mad_u32_u24 v4, v9, s7, v4
	v_cmp_gt_i32_e64 s7, 0, v12
	v_cmp_eq_u32_e64 s0, 0, v10
	v_cmp_lt_u32_e64 s1, 1, v10
	v_or_b32_e32 v11, 31, v2
	v_lshlrev_b32_e32 v0, 2, v2
	v_cndmask_b32_e64 v3, v12, v3, s7
	s_and_b32 s7, s8, 0xffff
	v_cmp_gt_u32_e64 s5, 8, v2
	v_cmp_lt_u32_e64 s6, 31, v2
	v_cmp_eq_u32_e64 s10, v11, v2
	v_mad_u64_u32 v[9:10], null, v4, s7, v[2:3]
	v_lshrrev_b32_e32 v4, 3, v2
	v_lshlrev_b32_e32 v2, 2, v3
	v_cmp_eq_u32_e64 s7, 0, v13
	v_cmp_lt_u32_e64 s8, 1, v13
	s_delay_alu instid0(VALU_DEP_4) | instskip(SKIP_1) | instid1(VALU_DEP_2)
	v_and_b32_e32 v3, 28, v4
	v_lshrrev_b32_e32 v4, 5, v9
	v_add_nc_u32_e32 v9, -4, v3
	s_waitcnt vmcnt(0)
	v_xor_b32_e32 v5, 0x80000000, v5
	v_xor_b32_e32 v6, 0x80000000, v6
	;; [unrolled: 1-line block ×4, first 2 shown]
	s_branch .LBB20_2
.LBB20_1:                               ;   in Loop: Header=BB20_2 Depth=1
	s_add_i32 s13, s13, 1
	s_delay_alu instid0(SALU_CYCLE_1)
	s_cmp_eq_u32 s13, 10
	s_cbranch_scc1 .LBB20_18
.LBB20_2:                               ; =>This Loop Header: Depth=1
                                        ;     Child Loop BB20_4 Depth 2
	s_mov_b32 s16, -4
	s_mov_b32 s17, 28
	s_branch .LBB20_4
.LBB20_3:                               ;   in Loop: Header=BB20_4 Depth=2
	s_or_b32 exec_lo, exec_lo, s11
	s_waitcnt lgkmcnt(0)
	v_add_nc_u32_e32 v21, v22, v21
	s_add_i32 s16, s16, 4
	s_add_i32 s17, s17, -4
	s_cmp_lt_u32 s16, 28
	ds_bpermute_b32 v21, v2, v21
	s_waitcnt lgkmcnt(0)
	v_cndmask_b32_e32 v21, v21, v22, vcc_lo
	ds_store_b32 v0, v21 offset:32
	s_waitcnt lgkmcnt(0)
	s_barrier
	buffer_gl0_inv
	s_cbranch_scc0 .LBB20_1
.LBB20_4:                               ;   Parent Loop BB20_2 Depth=1
                                        ; =>  This Inner Loop Header: Depth=2
	v_lshlrev_b32_e32 v10, s17, v5
	ds_store_b32 v0, v1 offset:32
	s_waitcnt lgkmcnt(0)
	s_barrier
	buffer_gl0_inv
	v_bfe_u32 v11, v10, 28, 1
	v_lshrrev_b32_e32 v13, 28, v10
	v_not_b32_e32 v16, v10
	; wave barrier
	s_delay_alu instid0(VALU_DEP_3) | instskip(NEXT) | instid1(VALU_DEP_1)
	v_add_co_u32 v11, s11, v11, -1
	v_cndmask_b32_e64 v12, 0, 1, s11
	s_delay_alu instid0(VALU_DEP_4) | instskip(SKIP_1) | instid1(VALU_DEP_3)
	v_lshlrev_b32_e32 v14, 30, v13
	v_lshlrev_b32_e32 v15, 29, v13
	v_cmp_ne_u32_e64 s11, 0, v12
	s_delay_alu instid0(VALU_DEP_3) | instskip(SKIP_1) | instid1(VALU_DEP_4)
	v_not_b32_e32 v12, v14
	v_cmp_gt_i32_e64 s12, 0, v14
	v_not_b32_e32 v14, v15
	s_delay_alu instid0(VALU_DEP_4) | instskip(NEXT) | instid1(VALU_DEP_4)
	v_xor_b32_e32 v11, s11, v11
	v_ashrrev_i32_e32 v12, 31, v12
	v_cmp_gt_i32_e64 s11, 0, v15
	s_delay_alu instid0(VALU_DEP_4) | instskip(NEXT) | instid1(VALU_DEP_4)
	v_ashrrev_i32_e32 v14, 31, v14
	v_and_b32_e32 v11, exec_lo, v11
	s_delay_alu instid0(VALU_DEP_4) | instskip(SKIP_3) | instid1(VALU_DEP_4)
	v_xor_b32_e32 v12, s12, v12
	v_cmp_gt_i32_e64 s12, 0, v10
	v_ashrrev_i32_e32 v10, 31, v16
	v_xor_b32_e32 v14, s11, v14
	v_and_b32_e32 v11, v11, v12
	s_delay_alu instid0(VALU_DEP_3) | instskip(NEXT) | instid1(VALU_DEP_2)
	v_xor_b32_e32 v10, s12, v10
	v_and_b32_e32 v11, v11, v14
	s_delay_alu instid0(VALU_DEP_1) | instskip(SKIP_1) | instid1(VALU_DEP_2)
	v_and_b32_e32 v12, v11, v10
	v_mad_u32_u24 v11, v13, 9, v4
	v_mbcnt_lo_u32_b32 v10, v12, 0
	v_cmp_ne_u32_e64 s12, 0, v12
	s_delay_alu instid0(VALU_DEP_3) | instskip(NEXT) | instid1(VALU_DEP_3)
	v_lshl_add_u32 v11, v11, 2, 32
	v_cmp_eq_u32_e64 s11, 0, v10
	s_delay_alu instid0(VALU_DEP_1) | instskip(NEXT) | instid1(SALU_CYCLE_1)
	s_and_b32 s12, s12, s11
	s_and_saveexec_b32 s11, s12
	s_cbranch_execz .LBB20_6
; %bb.5:                                ;   in Loop: Header=BB20_4 Depth=2
	v_bcnt_u32_b32 v12, v12, 0
	ds_store_b32 v11, v12
.LBB20_6:                               ;   in Loop: Header=BB20_4 Depth=2
	s_or_b32 exec_lo, exec_lo, s11
	v_lshlrev_b32_e32 v12, s17, v6
	; wave barrier
	s_delay_alu instid0(VALU_DEP_1) | instskip(SKIP_2) | instid1(VALU_DEP_3)
	v_bfe_u32 v13, v12, 28, 1
	v_lshrrev_b32_e32 v14, 28, v12
	v_not_b32_e32 v18, v12
	v_add_co_u32 v13, s11, v13, -1
	s_delay_alu instid0(VALU_DEP_1) | instskip(NEXT) | instid1(VALU_DEP_4)
	v_cndmask_b32_e64 v15, 0, 1, s11
	v_lshlrev_b32_e32 v16, 30, v14
	v_lshlrev_b32_e32 v17, 29, v14
	s_delay_alu instid0(VALU_DEP_3) | instskip(NEXT) | instid1(VALU_DEP_3)
	v_cmp_ne_u32_e64 s11, 0, v15
	v_not_b32_e32 v15, v16
	v_cmp_gt_i32_e64 s12, 0, v16
	s_delay_alu instid0(VALU_DEP_4) | instskip(NEXT) | instid1(VALU_DEP_4)
	v_not_b32_e32 v16, v17
	v_xor_b32_e32 v13, s11, v13
	s_delay_alu instid0(VALU_DEP_4) | instskip(SKIP_1) | instid1(VALU_DEP_4)
	v_ashrrev_i32_e32 v15, 31, v15
	v_cmp_gt_i32_e64 s11, 0, v17
	v_ashrrev_i32_e32 v16, 31, v16
	s_delay_alu instid0(VALU_DEP_4) | instskip(NEXT) | instid1(VALU_DEP_4)
	v_and_b32_e32 v13, exec_lo, v13
	v_xor_b32_e32 v15, s12, v15
	v_cmp_gt_i32_e64 s12, 0, v12
	v_mul_u32_u24_e32 v12, 9, v14
	v_ashrrev_i32_e32 v14, 31, v18
	v_xor_b32_e32 v16, s11, v16
	v_and_b32_e32 v13, v13, v15
	s_delay_alu instid0(VALU_DEP_4) | instskip(NEXT) | instid1(VALU_DEP_4)
	v_add_lshl_u32 v17, v4, v12, 2
	v_xor_b32_e32 v14, s12, v14
	s_delay_alu instid0(VALU_DEP_3) | instskip(SKIP_3) | instid1(VALU_DEP_2)
	v_and_b32_e32 v13, v13, v16
	ds_load_b32 v12, v17 offset:32
	; wave barrier
	v_and_b32_e32 v15, v13, v14
	v_add_nc_u32_e32 v14, 32, v17
	v_mbcnt_lo_u32_b32 v13, v15, 0
	v_cmp_ne_u32_e64 s12, 0, v15
	s_delay_alu instid0(VALU_DEP_2) | instskip(NEXT) | instid1(VALU_DEP_1)
	v_cmp_eq_u32_e64 s11, 0, v13
	s_and_b32 s12, s12, s11
	s_delay_alu instid0(SALU_CYCLE_1)
	s_and_saveexec_b32 s11, s12
	s_cbranch_execz .LBB20_8
; %bb.7:                                ;   in Loop: Header=BB20_4 Depth=2
	s_waitcnt lgkmcnt(0)
	v_bcnt_u32_b32 v15, v15, v12
	ds_store_b32 v14, v15
.LBB20_8:                               ;   in Loop: Header=BB20_4 Depth=2
	s_or_b32 exec_lo, exec_lo, s11
	v_lshlrev_b32_e32 v15, s17, v7
	; wave barrier
	s_delay_alu instid0(VALU_DEP_1) | instskip(SKIP_2) | instid1(VALU_DEP_3)
	v_bfe_u32 v16, v15, 28, 1
	v_lshrrev_b32_e32 v17, 28, v15
	v_not_b32_e32 v21, v15
	v_add_co_u32 v16, s11, v16, -1
	s_delay_alu instid0(VALU_DEP_1) | instskip(NEXT) | instid1(VALU_DEP_4)
	v_cndmask_b32_e64 v18, 0, 1, s11
	v_lshlrev_b32_e32 v19, 30, v17
	v_lshlrev_b32_e32 v20, 29, v17
	s_delay_alu instid0(VALU_DEP_3) | instskip(NEXT) | instid1(VALU_DEP_3)
	v_cmp_ne_u32_e64 s11, 0, v18
	v_not_b32_e32 v18, v19
	v_cmp_gt_i32_e64 s12, 0, v19
	s_delay_alu instid0(VALU_DEP_4) | instskip(NEXT) | instid1(VALU_DEP_4)
	v_not_b32_e32 v19, v20
	v_xor_b32_e32 v16, s11, v16
	s_delay_alu instid0(VALU_DEP_4) | instskip(SKIP_1) | instid1(VALU_DEP_4)
	v_ashrrev_i32_e32 v18, 31, v18
	v_cmp_gt_i32_e64 s11, 0, v20
	v_ashrrev_i32_e32 v19, 31, v19
	s_delay_alu instid0(VALU_DEP_4) | instskip(NEXT) | instid1(VALU_DEP_4)
	v_and_b32_e32 v16, exec_lo, v16
	v_xor_b32_e32 v18, s12, v18
	v_cmp_gt_i32_e64 s12, 0, v15
	v_mul_u32_u24_e32 v15, 9, v17
	v_ashrrev_i32_e32 v17, 31, v21
	v_xor_b32_e32 v19, s11, v19
	v_and_b32_e32 v16, v16, v18
	s_delay_alu instid0(VALU_DEP_4) | instskip(NEXT) | instid1(VALU_DEP_4)
	v_add_lshl_u32 v20, v4, v15, 2
	v_xor_b32_e32 v17, s12, v17
	s_delay_alu instid0(VALU_DEP_3) | instskip(SKIP_3) | instid1(VALU_DEP_2)
	v_and_b32_e32 v16, v16, v19
	ds_load_b32 v15, v20 offset:32
	; wave barrier
	v_and_b32_e32 v18, v16, v17
	v_add_nc_u32_e32 v17, 32, v20
	v_mbcnt_lo_u32_b32 v16, v18, 0
	v_cmp_ne_u32_e64 s12, 0, v18
	s_delay_alu instid0(VALU_DEP_2) | instskip(NEXT) | instid1(VALU_DEP_1)
	v_cmp_eq_u32_e64 s11, 0, v16
	s_and_b32 s12, s12, s11
	s_delay_alu instid0(SALU_CYCLE_1)
	s_and_saveexec_b32 s11, s12
	s_cbranch_execz .LBB20_10
; %bb.9:                                ;   in Loop: Header=BB20_4 Depth=2
	s_waitcnt lgkmcnt(0)
	v_bcnt_u32_b32 v18, v18, v15
	ds_store_b32 v17, v18
.LBB20_10:                              ;   in Loop: Header=BB20_4 Depth=2
	s_or_b32 exec_lo, exec_lo, s11
	v_lshlrev_b32_e32 v18, s17, v8
	; wave barrier
	s_delay_alu instid0(VALU_DEP_1) | instskip(SKIP_2) | instid1(VALU_DEP_3)
	v_bfe_u32 v19, v18, 28, 1
	v_lshrrev_b32_e32 v20, 28, v18
	v_not_b32_e32 v24, v18
	v_add_co_u32 v19, s11, v19, -1
	s_delay_alu instid0(VALU_DEP_1) | instskip(NEXT) | instid1(VALU_DEP_4)
	v_cndmask_b32_e64 v21, 0, 1, s11
	v_lshlrev_b32_e32 v22, 30, v20
	v_lshlrev_b32_e32 v23, 29, v20
	s_delay_alu instid0(VALU_DEP_3) | instskip(NEXT) | instid1(VALU_DEP_3)
	v_cmp_ne_u32_e64 s11, 0, v21
	v_not_b32_e32 v21, v22
	v_cmp_gt_i32_e64 s12, 0, v22
	s_delay_alu instid0(VALU_DEP_4) | instskip(NEXT) | instid1(VALU_DEP_4)
	v_not_b32_e32 v22, v23
	v_xor_b32_e32 v19, s11, v19
	s_delay_alu instid0(VALU_DEP_4) | instskip(SKIP_1) | instid1(VALU_DEP_4)
	v_ashrrev_i32_e32 v21, 31, v21
	v_cmp_gt_i32_e64 s11, 0, v23
	v_ashrrev_i32_e32 v22, 31, v22
	s_delay_alu instid0(VALU_DEP_4) | instskip(NEXT) | instid1(VALU_DEP_4)
	v_and_b32_e32 v19, exec_lo, v19
	v_xor_b32_e32 v21, s12, v21
	v_cmp_gt_i32_e64 s12, 0, v18
	v_mul_u32_u24_e32 v18, 9, v20
	v_ashrrev_i32_e32 v20, 31, v24
	v_xor_b32_e32 v22, s11, v22
	v_and_b32_e32 v19, v19, v21
	s_delay_alu instid0(VALU_DEP_4) | instskip(NEXT) | instid1(VALU_DEP_4)
	v_add_lshl_u32 v23, v4, v18, 2
	v_xor_b32_e32 v20, s12, v20
	s_delay_alu instid0(VALU_DEP_3) | instskip(SKIP_3) | instid1(VALU_DEP_2)
	v_and_b32_e32 v19, v19, v22
	ds_load_b32 v18, v23 offset:32
	; wave barrier
	v_and_b32_e32 v21, v19, v20
	v_add_nc_u32_e32 v20, 32, v23
	v_mbcnt_lo_u32_b32 v19, v21, 0
	v_cmp_ne_u32_e64 s12, 0, v21
	s_delay_alu instid0(VALU_DEP_2) | instskip(NEXT) | instid1(VALU_DEP_1)
	v_cmp_eq_u32_e64 s11, 0, v19
	s_and_b32 s12, s12, s11
	s_delay_alu instid0(SALU_CYCLE_1)
	s_and_saveexec_b32 s11, s12
	s_cbranch_execz .LBB20_12
; %bb.11:                               ;   in Loop: Header=BB20_4 Depth=2
	s_waitcnt lgkmcnt(0)
	v_bcnt_u32_b32 v21, v21, v18
	ds_store_b32 v20, v21
.LBB20_12:                              ;   in Loop: Header=BB20_4 Depth=2
	s_or_b32 exec_lo, exec_lo, s11
	; wave barrier
	s_waitcnt lgkmcnt(0)
	s_barrier
	buffer_gl0_inv
	ds_load_b32 v21, v0 offset:32
	s_waitcnt lgkmcnt(0)
	v_mov_b32_dpp v22, v21 row_shr:1 row_mask:0xf bank_mask:0xf
	s_delay_alu instid0(VALU_DEP_1) | instskip(NEXT) | instid1(VALU_DEP_1)
	v_cndmask_b32_e64 v22, v22, 0, s0
	v_add_nc_u32_e32 v21, v22, v21
	s_delay_alu instid0(VALU_DEP_1) | instskip(NEXT) | instid1(VALU_DEP_1)
	v_mov_b32_dpp v22, v21 row_shr:2 row_mask:0xf bank_mask:0xf
	v_cndmask_b32_e64 v22, 0, v22, s1
	s_delay_alu instid0(VALU_DEP_1) | instskip(NEXT) | instid1(VALU_DEP_1)
	v_add_nc_u32_e32 v21, v21, v22
	v_mov_b32_dpp v22, v21 row_shr:4 row_mask:0xf bank_mask:0xf
	s_delay_alu instid0(VALU_DEP_1) | instskip(NEXT) | instid1(VALU_DEP_1)
	v_cndmask_b32_e64 v22, 0, v22, s2
	v_add_nc_u32_e32 v21, v21, v22
	s_delay_alu instid0(VALU_DEP_1) | instskip(NEXT) | instid1(VALU_DEP_1)
	v_mov_b32_dpp v22, v21 row_shr:8 row_mask:0xf bank_mask:0xf
	v_cndmask_b32_e64 v22, 0, v22, s3
	s_delay_alu instid0(VALU_DEP_1) | instskip(SKIP_3) | instid1(VALU_DEP_1)
	v_add_nc_u32_e32 v21, v21, v22
	ds_swizzle_b32 v22, v21 offset:swizzle(BROADCAST,32,15)
	s_waitcnt lgkmcnt(0)
	v_cndmask_b32_e64 v22, v22, 0, s4
	v_add_nc_u32_e32 v21, v21, v22
	s_and_saveexec_b32 s11, s10
	s_delay_alu instid0(SALU_CYCLE_1)
	s_xor_b32 s11, exec_lo, s11
	s_cbranch_execz .LBB20_14
; %bb.13:                               ;   in Loop: Header=BB20_4 Depth=2
	ds_store_b32 v3, v21
.LBB20_14:                              ;   in Loop: Header=BB20_4 Depth=2
	s_or_b32 exec_lo, exec_lo, s11
	s_waitcnt lgkmcnt(0)
	s_barrier
	buffer_gl0_inv
	s_and_saveexec_b32 s11, s5
	s_cbranch_execz .LBB20_16
; %bb.15:                               ;   in Loop: Header=BB20_4 Depth=2
	ds_load_b32 v22, v0
	s_waitcnt lgkmcnt(0)
	v_mov_b32_dpp v23, v22 row_shr:1 row_mask:0xf bank_mask:0xf
	s_delay_alu instid0(VALU_DEP_1) | instskip(NEXT) | instid1(VALU_DEP_1)
	v_cndmask_b32_e64 v23, v23, 0, s7
	v_add_nc_u32_e32 v22, v23, v22
	s_delay_alu instid0(VALU_DEP_1) | instskip(NEXT) | instid1(VALU_DEP_1)
	v_mov_b32_dpp v23, v22 row_shr:2 row_mask:0xf bank_mask:0xf
	v_cndmask_b32_e64 v23, 0, v23, s8
	s_delay_alu instid0(VALU_DEP_1) | instskip(NEXT) | instid1(VALU_DEP_1)
	v_add_nc_u32_e32 v22, v22, v23
	v_mov_b32_dpp v23, v22 row_shr:4 row_mask:0xf bank_mask:0xf
	s_delay_alu instid0(VALU_DEP_1) | instskip(NEXT) | instid1(VALU_DEP_1)
	v_cndmask_b32_e64 v23, 0, v23, s9
	v_add_nc_u32_e32 v22, v22, v23
	ds_store_b32 v0, v22
.LBB20_16:                              ;   in Loop: Header=BB20_4 Depth=2
	s_or_b32 exec_lo, exec_lo, s11
	v_mov_b32_e32 v22, 0
	s_waitcnt lgkmcnt(0)
	s_barrier
	buffer_gl0_inv
	s_and_saveexec_b32 s11, s6
	s_cbranch_execz .LBB20_3
; %bb.17:                               ;   in Loop: Header=BB20_4 Depth=2
	ds_load_b32 v22, v9
	s_branch .LBB20_3
.LBB20_18:
	ds_load_b32 v1, v11
	ds_load_b32 v2, v14
	;; [unrolled: 1-line block ×4, first 2 shown]
	v_lshlrev_b32_e32 v0, 2, v0
	s_add_u32 s0, s18, s14
	s_addc_u32 s1, s19, s15
	s_waitcnt lgkmcnt(3)
	v_add_nc_u32_e32 v1, v1, v10
	s_waitcnt lgkmcnt(2)
	v_add3_u32 v2, v13, v12, v2
	s_waitcnt lgkmcnt(1)
	v_add3_u32 v3, v16, v15, v3
	;; [unrolled: 2-line block ×3, first 2 shown]
	global_store_b128 v0, v[1:4], s[0:1]
	s_nop 0
	s_sendmsg sendmsg(MSG_DEALLOC_VGPRS)
	s_endpgm
	.section	.rodata,"a",@progbits
	.p2align	6, 0x0
	.amdhsa_kernel _Z11rank_kernelIiLj4ELb0EL18RadixRankAlgorithm2ELj256ELj4ELj10EEvPKT_Pi
		.amdhsa_group_segment_fixed_size 1056
		.amdhsa_private_segment_fixed_size 0
		.amdhsa_kernarg_size 272
		.amdhsa_user_sgpr_count 15
		.amdhsa_user_sgpr_dispatch_ptr 0
		.amdhsa_user_sgpr_queue_ptr 0
		.amdhsa_user_sgpr_kernarg_segment_ptr 1
		.amdhsa_user_sgpr_dispatch_id 0
		.amdhsa_user_sgpr_private_segment_size 0
		.amdhsa_wavefront_size32 1
		.amdhsa_uses_dynamic_stack 0
		.amdhsa_enable_private_segment 0
		.amdhsa_system_sgpr_workgroup_id_x 1
		.amdhsa_system_sgpr_workgroup_id_y 0
		.amdhsa_system_sgpr_workgroup_id_z 0
		.amdhsa_system_sgpr_workgroup_info 0
		.amdhsa_system_vgpr_workitem_id 2
		.amdhsa_next_free_vgpr 25
		.amdhsa_next_free_sgpr 20
		.amdhsa_reserve_vcc 1
		.amdhsa_float_round_mode_32 0
		.amdhsa_float_round_mode_16_64 0
		.amdhsa_float_denorm_mode_32 3
		.amdhsa_float_denorm_mode_16_64 3
		.amdhsa_dx10_clamp 1
		.amdhsa_ieee_mode 1
		.amdhsa_fp16_overflow 0
		.amdhsa_workgroup_processor_mode 1
		.amdhsa_memory_ordered 1
		.amdhsa_forward_progress 0
		.amdhsa_shared_vgpr_count 0
		.amdhsa_exception_fp_ieee_invalid_op 0
		.amdhsa_exception_fp_denorm_src 0
		.amdhsa_exception_fp_ieee_div_zero 0
		.amdhsa_exception_fp_ieee_overflow 0
		.amdhsa_exception_fp_ieee_underflow 0
		.amdhsa_exception_fp_ieee_inexact 0
		.amdhsa_exception_int_div_zero 0
	.end_amdhsa_kernel
	.section	.text._Z11rank_kernelIiLj4ELb0EL18RadixRankAlgorithm2ELj256ELj4ELj10EEvPKT_Pi,"axG",@progbits,_Z11rank_kernelIiLj4ELb0EL18RadixRankAlgorithm2ELj256ELj4ELj10EEvPKT_Pi,comdat
.Lfunc_end20:
	.size	_Z11rank_kernelIiLj4ELb0EL18RadixRankAlgorithm2ELj256ELj4ELj10EEvPKT_Pi, .Lfunc_end20-_Z11rank_kernelIiLj4ELb0EL18RadixRankAlgorithm2ELj256ELj4ELj10EEvPKT_Pi
                                        ; -- End function
	.section	.AMDGPU.csdata,"",@progbits
; Kernel info:
; codeLenInByte = 1892
; NumSgprs: 22
; NumVgprs: 25
; ScratchSize: 0
; MemoryBound: 0
; FloatMode: 240
; IeeeMode: 1
; LDSByteSize: 1056 bytes/workgroup (compile time only)
; SGPRBlocks: 2
; VGPRBlocks: 3
; NumSGPRsForWavesPerEU: 22
; NumVGPRsForWavesPerEU: 25
; Occupancy: 16
; WaveLimiterHint : 0
; COMPUTE_PGM_RSRC2:SCRATCH_EN: 0
; COMPUTE_PGM_RSRC2:USER_SGPR: 15
; COMPUTE_PGM_RSRC2:TRAP_HANDLER: 0
; COMPUTE_PGM_RSRC2:TGID_X_EN: 1
; COMPUTE_PGM_RSRC2:TGID_Y_EN: 0
; COMPUTE_PGM_RSRC2:TGID_Z_EN: 0
; COMPUTE_PGM_RSRC2:TIDIG_COMP_CNT: 2
	.section	.text._Z11rank_kernelIiLj4ELb0EL18RadixRankAlgorithm0ELj256ELj8ELj10EEvPKT_Pi,"axG",@progbits,_Z11rank_kernelIiLj4ELb0EL18RadixRankAlgorithm0ELj256ELj8ELj10EEvPKT_Pi,comdat
	.protected	_Z11rank_kernelIiLj4ELb0EL18RadixRankAlgorithm0ELj256ELj8ELj10EEvPKT_Pi ; -- Begin function _Z11rank_kernelIiLj4ELb0EL18RadixRankAlgorithm0ELj256ELj8ELj10EEvPKT_Pi
	.globl	_Z11rank_kernelIiLj4ELb0EL18RadixRankAlgorithm0ELj256ELj8ELj10EEvPKT_Pi
	.p2align	8
	.type	_Z11rank_kernelIiLj4ELb0EL18RadixRankAlgorithm0ELj256ELj8ELj10EEvPKT_Pi,@function
_Z11rank_kernelIiLj4ELb0EL18RadixRankAlgorithm0ELj256ELj8ELj10EEvPKT_Pi: ; @_Z11rank_kernelIiLj4ELb0EL18RadixRankAlgorithm0ELj256ELj8ELj10EEvPKT_Pi
; %bb.0:
	s_load_b128 s[16:19], s[0:1], 0x0
	s_mov_b32 s21, 0
	s_lshl_b32 s20, s15, 11
	v_dual_mov_b32 v3, 0 :: v_dual_lshlrev_b32 v2, 5, v0
	s_lshl_b64 s[12:13], s[20:21], 2
	v_mbcnt_lo_u32_b32 v5, -1, 0
	v_or_b32_e32 v16, 31, v0
	v_lshrrev_b32_e32 v18, 3, v0
	v_lshlrev_b32_e32 v1, 3, v0
	v_cmp_gt_u32_e32 vcc_lo, 8, v0
	v_add_nc_u32_e32 v17, -1, v5
	v_and_b32_e32 v6, 15, v5
	v_and_b32_e32 v15, 16, v5
	v_and_b32_e32 v19, 7, v5
	v_lshlrev_b32_e32 v4, 2, v0
	v_cmp_gt_i32_e64 s8, 0, v17
	v_cmp_eq_u32_e64 s2, 0, v6
	v_cmp_lt_u32_e64 s3, 1, v6
	v_cmp_lt_u32_e64 s4, 3, v6
	s_waitcnt lgkmcnt(0)
	s_add_u32 s0, s16, s12
	s_addc_u32 s1, s17, s13
	v_cmp_lt_u32_e64 s5, 7, v6
	s_clause 0x1
	global_load_b128 v[7:10], v2, s[0:1]
	global_load_b128 v[11:14], v2, s[0:1] offset:16
	v_cndmask_b32_e64 v6, v17, v5, s8
	v_cmp_lt_u32_e64 s0, 31, v0
	v_cmp_eq_u32_e64 s1, 0, v5
	v_cmp_eq_u32_e64 s6, 0, v15
	;; [unrolled: 1-line block ×3, first 2 shown]
	v_and_b32_e32 v5, 28, v18
	v_cmp_eq_u32_e64 s8, 0, v19
	v_cmp_lt_u32_e64 s9, 1, v19
	v_cmp_lt_u32_e64 s10, 3, v19
	v_lshlrev_b32_e32 v6, 2, v6
	v_or_b32_e32 v15, 0xffffff00, v0
	s_waitcnt vmcnt(1)
	v_xor_b32_e32 v7, 0x80000000, v7
	v_xor_b32_e32 v8, 0x80000000, v8
	;; [unrolled: 1-line block ×4, first 2 shown]
	s_waitcnt vmcnt(0)
	v_xor_b32_e32 v11, 0x80000000, v11
	v_xor_b32_e32 v12, 0x80000000, v12
	;; [unrolled: 1-line block ×4, first 2 shown]
	s_branch .LBB21_2
.LBB21_1:                               ;   in Loop: Header=BB21_2 Depth=1
	s_add_i32 s21, s21, 1
	s_delay_alu instid0(SALU_CYCLE_1)
	s_cmp_eq_u32 s21, 10
	s_cbranch_scc1 .LBB21_12
.LBB21_2:                               ; =>This Loop Header: Depth=1
                                        ;     Child Loop BB21_4 Depth 2
                                        ;       Child Loop BB21_5 Depth 3
	s_mov_b32 s14, 0
	s_branch .LBB21_4
.LBB21_3:                               ;   in Loop: Header=BB21_4 Depth=2
	s_or_b32 exec_lo, exec_lo, s11
	s_waitcnt lgkmcnt(0)
	v_add_nc_u32_e32 v32, v33, v32
	ds_load_b32 v36, v3 offset:8220
	ds_load_2addr_b32 v[34:35], v2 offset1:1
	s_add_i32 s11, s14, 4
	s_cmp_lt_u32 s14, 28
	s_mov_b32 s14, s11
	ds_bpermute_b32 v32, v6, v32
	s_waitcnt lgkmcnt(0)
	v_cndmask_b32_e64 v37, v32, v33, s1
	ds_load_2addr_b32 v[32:33], v2 offset0:2 offset1:3
	v_lshl_add_u32 v38, v36, 16, v37
	ds_load_2addr_b32 v[36:37], v2 offset0:4 offset1:5
	ds_load_b32 v39, v2 offset:24
	v_add_nc_u32_e32 v34, v38, v34
	s_delay_alu instid0(VALU_DEP_1) | instskip(SKIP_1) | instid1(VALU_DEP_1)
	v_add_nc_u32_e32 v35, v35, v34
	s_waitcnt lgkmcnt(2)
	v_add_nc_u32_e32 v32, v32, v35
	s_delay_alu instid0(VALU_DEP_1) | instskip(SKIP_1) | instid1(VALU_DEP_1)
	v_add_nc_u32_e32 v33, v33, v32
	s_waitcnt lgkmcnt(1)
	;; [unrolled: 4-line block ×3, first 2 shown]
	v_add_nc_u32_e32 v39, v39, v37
	ds_store_2addr_b32 v2, v38, v34 offset1:1
	ds_store_2addr_b32 v2, v35, v32 offset0:2 offset1:3
	ds_store_2addr_b32 v2, v33, v36 offset0:4 offset1:5
	;; [unrolled: 1-line block ×3, first 2 shown]
	s_waitcnt lgkmcnt(0)
	s_barrier
	buffer_gl0_inv
	s_cbranch_scc0 .LBB21_1
.LBB21_4:                               ;   Parent Loop BB21_2 Depth=1
                                        ; =>  This Loop Header: Depth=2
                                        ;       Child Loop BB21_5 Depth 3
	v_dual_mov_b32 v16, v15 :: v_dual_mov_b32 v17, v4
	s_mov_b32 s15, 0
.LBB21_5:                               ;   Parent Loop BB21_2 Depth=1
                                        ;     Parent Loop BB21_4 Depth=2
                                        ; =>    This Inner Loop Header: Depth=3
	s_delay_alu instid0(VALU_DEP_1) | instskip(SKIP_3) | instid1(VALU_DEP_1)
	v_add_nc_u32_e32 v16, 0x100, v16
	ds_store_b32 v17, v3
	v_add_nc_u32_e32 v17, 0x400, v17
	v_cmp_lt_u32_e64 s11, 0x6ff, v16
	s_or_b32 s15, s11, s15
	s_delay_alu instid0(SALU_CYCLE_1)
	s_and_not1_b32 exec_lo, exec_lo, s15
	s_cbranch_execnz .LBB21_5
; %bb.6:                                ;   in Loop: Header=BB21_4 Depth=2
	s_or_b32 exec_lo, exec_lo, s15
	s_sub_i32 s11, 28, s14
	s_delay_alu instid0(SALU_CYCLE_1) | instskip(SKIP_1) | instid1(VALU_DEP_2)
	v_lshlrev_b32_e32 v16, s11, v7
	v_lshlrev_b32_e32 v18, s11, v8
	v_lshrrev_b32_e32 v17, 20, v16
	s_delay_alu instid0(VALU_DEP_2) | instskip(NEXT) | instid1(VALU_DEP_2)
	v_lshrrev_b32_e32 v19, 20, v18
	v_and_or_b32 v17, 0x700, v17, v0
	s_delay_alu instid0(VALU_DEP_2) | instskip(NEXT) | instid1(VALU_DEP_2)
	v_and_or_b32 v19, 0x700, v19, v0
	v_alignbit_b32 v16, v17, v16, 31
	s_delay_alu instid0(VALU_DEP_2) | instskip(NEXT) | instid1(VALU_DEP_2)
	v_alignbit_b32 v18, v19, v18, 31
	v_lshlrev_b32_e32 v17, 1, v16
	s_delay_alu instid0(VALU_DEP_2)
	v_lshlrev_b32_e32 v19, 1, v18
	ds_load_u16 v16, v17
	s_waitcnt lgkmcnt(0)
	v_add_nc_u16 v20, v16, 1
	ds_store_b16 v17, v20
	ds_load_u16 v18, v19
	v_lshlrev_b32_e32 v20, s11, v9
	s_delay_alu instid0(VALU_DEP_1) | instskip(NEXT) | instid1(VALU_DEP_1)
	v_lshrrev_b32_e32 v21, 20, v20
	v_and_or_b32 v21, 0x700, v21, v0
	s_delay_alu instid0(VALU_DEP_1) | instskip(SKIP_2) | instid1(VALU_DEP_2)
	v_alignbit_b32 v20, v21, v20, 31
	s_waitcnt lgkmcnt(0)
	v_add_nc_u16 v22, v18, 1
	v_lshlrev_b32_e32 v21, 1, v20
	ds_store_b16 v19, v22
	ds_load_u16 v20, v21
	v_lshlrev_b32_e32 v22, s11, v10
	s_delay_alu instid0(VALU_DEP_1) | instskip(NEXT) | instid1(VALU_DEP_1)
	v_lshrrev_b32_e32 v23, 20, v22
	v_and_or_b32 v23, 0x700, v23, v0
	s_delay_alu instid0(VALU_DEP_1) | instskip(SKIP_2) | instid1(VALU_DEP_2)
	v_alignbit_b32 v22, v23, v22, 31
	s_waitcnt lgkmcnt(0)
	v_add_nc_u16 v24, v20, 1
	v_lshlrev_b32_e32 v23, 1, v22
	;; [unrolled: 11-line block ×6, first 2 shown]
	ds_store_b16 v29, v32
	ds_load_u16 v30, v31
	s_waitcnt lgkmcnt(0)
	v_add_nc_u16 v32, v30, 1
	ds_store_b16 v31, v32
	s_waitcnt lgkmcnt(0)
	s_barrier
	buffer_gl0_inv
	ds_load_2addr_b32 v[32:33], v2 offset1:1
	ds_load_2addr_b32 v[34:35], v2 offset0:2 offset1:3
	ds_load_2addr_b32 v[36:37], v2 offset0:4 offset1:5
	;; [unrolled: 1-line block ×3, first 2 shown]
	s_waitcnt lgkmcnt(3)
	v_add_nc_u32_e32 v32, v33, v32
	s_waitcnt lgkmcnt(2)
	s_delay_alu instid0(VALU_DEP_1) | instskip(SKIP_1) | instid1(VALU_DEP_1)
	v_add3_u32 v32, v32, v34, v35
	s_waitcnt lgkmcnt(1)
	v_add3_u32 v32, v32, v36, v37
	s_waitcnt lgkmcnt(0)
	s_delay_alu instid0(VALU_DEP_1) | instskip(NEXT) | instid1(VALU_DEP_1)
	v_add3_u32 v32, v32, v38, v39
	v_mov_b32_dpp v33, v32 row_shr:1 row_mask:0xf bank_mask:0xf
	s_delay_alu instid0(VALU_DEP_1) | instskip(NEXT) | instid1(VALU_DEP_1)
	v_cndmask_b32_e64 v33, v33, 0, s2
	v_add_nc_u32_e32 v32, v33, v32
	s_delay_alu instid0(VALU_DEP_1) | instskip(NEXT) | instid1(VALU_DEP_1)
	v_mov_b32_dpp v33, v32 row_shr:2 row_mask:0xf bank_mask:0xf
	v_cndmask_b32_e64 v33, 0, v33, s3
	s_delay_alu instid0(VALU_DEP_1) | instskip(NEXT) | instid1(VALU_DEP_1)
	v_add_nc_u32_e32 v32, v32, v33
	v_mov_b32_dpp v33, v32 row_shr:4 row_mask:0xf bank_mask:0xf
	s_delay_alu instid0(VALU_DEP_1) | instskip(NEXT) | instid1(VALU_DEP_1)
	v_cndmask_b32_e64 v33, 0, v33, s4
	v_add_nc_u32_e32 v32, v32, v33
	s_delay_alu instid0(VALU_DEP_1) | instskip(NEXT) | instid1(VALU_DEP_1)
	v_mov_b32_dpp v33, v32 row_shr:8 row_mask:0xf bank_mask:0xf
	v_cndmask_b32_e64 v33, 0, v33, s5
	s_delay_alu instid0(VALU_DEP_1) | instskip(SKIP_3) | instid1(VALU_DEP_1)
	v_add_nc_u32_e32 v32, v32, v33
	ds_swizzle_b32 v33, v32 offset:swizzle(BROADCAST,32,15)
	s_waitcnt lgkmcnt(0)
	v_cndmask_b32_e64 v33, v33, 0, s6
	v_add_nc_u32_e32 v32, v32, v33
	s_and_saveexec_b32 s11, s7
	s_cbranch_execz .LBB21_8
; %bb.7:                                ;   in Loop: Header=BB21_4 Depth=2
	ds_store_b32 v5, v32 offset:8192
.LBB21_8:                               ;   in Loop: Header=BB21_4 Depth=2
	s_or_b32 exec_lo, exec_lo, s11
	s_waitcnt lgkmcnt(0)
	s_barrier
	buffer_gl0_inv
	s_and_saveexec_b32 s11, vcc_lo
	s_cbranch_execz .LBB21_10
; %bb.9:                                ;   in Loop: Header=BB21_4 Depth=2
	ds_load_b32 v33, v4 offset:8192
	s_waitcnt lgkmcnt(0)
	v_mov_b32_dpp v34, v33 row_shr:1 row_mask:0xf bank_mask:0xf
	s_delay_alu instid0(VALU_DEP_1) | instskip(NEXT) | instid1(VALU_DEP_1)
	v_cndmask_b32_e64 v34, v34, 0, s8
	v_add_nc_u32_e32 v33, v34, v33
	s_delay_alu instid0(VALU_DEP_1) | instskip(NEXT) | instid1(VALU_DEP_1)
	v_mov_b32_dpp v34, v33 row_shr:2 row_mask:0xf bank_mask:0xf
	v_cndmask_b32_e64 v34, 0, v34, s9
	s_delay_alu instid0(VALU_DEP_1) | instskip(NEXT) | instid1(VALU_DEP_1)
	v_add_nc_u32_e32 v33, v33, v34
	v_mov_b32_dpp v34, v33 row_shr:4 row_mask:0xf bank_mask:0xf
	s_delay_alu instid0(VALU_DEP_1) | instskip(NEXT) | instid1(VALU_DEP_1)
	v_cndmask_b32_e64 v34, 0, v34, s10
	v_add_nc_u32_e32 v33, v33, v34
	ds_store_b32 v4, v33 offset:8192
.LBB21_10:                              ;   in Loop: Header=BB21_4 Depth=2
	s_or_b32 exec_lo, exec_lo, s11
	v_mov_b32_e32 v33, 0
	s_waitcnt lgkmcnt(0)
	s_barrier
	buffer_gl0_inv
	s_and_saveexec_b32 s11, s0
	s_cbranch_execz .LBB21_3
; %bb.11:                               ;   in Loop: Header=BB21_4 Depth=2
	ds_load_b32 v33, v5 offset:8188
	s_branch .LBB21_3
.LBB21_12:
	ds_load_u16 v0, v17
	ds_load_u16 v3, v19
	;; [unrolled: 1-line block ×8, first 2 shown]
	v_and_b32_e32 v2, 0xffff, v16
	v_and_b32_e32 v10, 0xffff, v18
	;; [unrolled: 1-line block ×8, first 2 shown]
	s_add_u32 s0, s18, s12
	s_addc_u32 s1, s19, s13
	s_waitcnt lgkmcnt(7)
	v_add_nc_u32_e32 v2, v0, v2
	s_waitcnt lgkmcnt(6)
	v_add_nc_u32_e32 v3, v3, v10
	;; [unrolled: 2-line block ×4, first 2 shown]
	v_lshlrev_b32_e32 v0, 2, v1
	s_waitcnt lgkmcnt(3)
	v_add_nc_u32_e32 v6, v6, v13
	s_waitcnt lgkmcnt(2)
	v_add_nc_u32_e32 v7, v7, v14
	;; [unrolled: 2-line block ×4, first 2 shown]
	s_clause 0x1
	global_store_b128 v0, v[2:5], s[0:1]
	global_store_b128 v0, v[6:9], s[0:1] offset:16
	s_nop 0
	s_sendmsg sendmsg(MSG_DEALLOC_VGPRS)
	s_endpgm
	.section	.rodata,"a",@progbits
	.p2align	6, 0x0
	.amdhsa_kernel _Z11rank_kernelIiLj4ELb0EL18RadixRankAlgorithm0ELj256ELj8ELj10EEvPKT_Pi
		.amdhsa_group_segment_fixed_size 8224
		.amdhsa_private_segment_fixed_size 0
		.amdhsa_kernarg_size 16
		.amdhsa_user_sgpr_count 15
		.amdhsa_user_sgpr_dispatch_ptr 0
		.amdhsa_user_sgpr_queue_ptr 0
		.amdhsa_user_sgpr_kernarg_segment_ptr 1
		.amdhsa_user_sgpr_dispatch_id 0
		.amdhsa_user_sgpr_private_segment_size 0
		.amdhsa_wavefront_size32 1
		.amdhsa_uses_dynamic_stack 0
		.amdhsa_enable_private_segment 0
		.amdhsa_system_sgpr_workgroup_id_x 1
		.amdhsa_system_sgpr_workgroup_id_y 0
		.amdhsa_system_sgpr_workgroup_id_z 0
		.amdhsa_system_sgpr_workgroup_info 0
		.amdhsa_system_vgpr_workitem_id 0
		.amdhsa_next_free_vgpr 40
		.amdhsa_next_free_sgpr 22
		.amdhsa_reserve_vcc 1
		.amdhsa_float_round_mode_32 0
		.amdhsa_float_round_mode_16_64 0
		.amdhsa_float_denorm_mode_32 3
		.amdhsa_float_denorm_mode_16_64 3
		.amdhsa_dx10_clamp 1
		.amdhsa_ieee_mode 1
		.amdhsa_fp16_overflow 0
		.amdhsa_workgroup_processor_mode 1
		.amdhsa_memory_ordered 1
		.amdhsa_forward_progress 0
		.amdhsa_shared_vgpr_count 0
		.amdhsa_exception_fp_ieee_invalid_op 0
		.amdhsa_exception_fp_denorm_src 0
		.amdhsa_exception_fp_ieee_div_zero 0
		.amdhsa_exception_fp_ieee_overflow 0
		.amdhsa_exception_fp_ieee_underflow 0
		.amdhsa_exception_fp_ieee_inexact 0
		.amdhsa_exception_int_div_zero 0
	.end_amdhsa_kernel
	.section	.text._Z11rank_kernelIiLj4ELb0EL18RadixRankAlgorithm0ELj256ELj8ELj10EEvPKT_Pi,"axG",@progbits,_Z11rank_kernelIiLj4ELb0EL18RadixRankAlgorithm0ELj256ELj8ELj10EEvPKT_Pi,comdat
.Lfunc_end21:
	.size	_Z11rank_kernelIiLj4ELb0EL18RadixRankAlgorithm0ELj256ELj8ELj10EEvPKT_Pi, .Lfunc_end21-_Z11rank_kernelIiLj4ELb0EL18RadixRankAlgorithm0ELj256ELj8ELj10EEvPKT_Pi
                                        ; -- End function
	.section	.AMDGPU.csdata,"",@progbits
; Kernel info:
; codeLenInByte = 1792
; NumSgprs: 24
; NumVgprs: 40
; ScratchSize: 0
; MemoryBound: 0
; FloatMode: 240
; IeeeMode: 1
; LDSByteSize: 8224 bytes/workgroup (compile time only)
; SGPRBlocks: 2
; VGPRBlocks: 4
; NumSGPRsForWavesPerEU: 24
; NumVGPRsForWavesPerEU: 40
; Occupancy: 16
; WaveLimiterHint : 0
; COMPUTE_PGM_RSRC2:SCRATCH_EN: 0
; COMPUTE_PGM_RSRC2:USER_SGPR: 15
; COMPUTE_PGM_RSRC2:TRAP_HANDLER: 0
; COMPUTE_PGM_RSRC2:TGID_X_EN: 1
; COMPUTE_PGM_RSRC2:TGID_Y_EN: 0
; COMPUTE_PGM_RSRC2:TGID_Z_EN: 0
; COMPUTE_PGM_RSRC2:TIDIG_COMP_CNT: 0
	.section	.text._Z11rank_kernelIiLj4ELb0EL18RadixRankAlgorithm1ELj256ELj8ELj10EEvPKT_Pi,"axG",@progbits,_Z11rank_kernelIiLj4ELb0EL18RadixRankAlgorithm1ELj256ELj8ELj10EEvPKT_Pi,comdat
	.protected	_Z11rank_kernelIiLj4ELb0EL18RadixRankAlgorithm1ELj256ELj8ELj10EEvPKT_Pi ; -- Begin function _Z11rank_kernelIiLj4ELb0EL18RadixRankAlgorithm1ELj256ELj8ELj10EEvPKT_Pi
	.globl	_Z11rank_kernelIiLj4ELb0EL18RadixRankAlgorithm1ELj256ELj8ELj10EEvPKT_Pi
	.p2align	8
	.type	_Z11rank_kernelIiLj4ELb0EL18RadixRankAlgorithm1ELj256ELj8ELj10EEvPKT_Pi,@function
_Z11rank_kernelIiLj4ELb0EL18RadixRankAlgorithm1ELj256ELj8ELj10EEvPKT_Pi: ; @_Z11rank_kernelIiLj4ELb0EL18RadixRankAlgorithm1ELj256ELj8ELj10EEvPKT_Pi
; %bb.0:
	s_load_b128 s[16:19], s[0:1], 0x0
	s_mov_b32 s21, 0
	s_lshl_b32 s20, s15, 11
	v_dual_mov_b32 v11, 0 :: v_dual_lshlrev_b32 v10, 5, v0
	s_lshl_b64 s[12:13], s[20:21], 2
	v_mbcnt_lo_u32_b32 v13, -1, 0
	v_or_b32_e32 v16, 31, v0
	v_lshrrev_b32_e32 v18, 3, v0
	v_lshlrev_b32_e32 v9, 3, v0
	v_cmp_gt_u32_e32 vcc_lo, 8, v0
	v_add_nc_u32_e32 v17, -1, v13
	v_and_b32_e32 v14, 15, v13
	v_and_b32_e32 v15, 16, v13
	;; [unrolled: 1-line block ×3, first 2 shown]
	v_lshlrev_b32_e32 v12, 2, v0
	v_cmp_gt_i32_e64 s8, 0, v17
	v_cmp_eq_u32_e64 s2, 0, v14
	v_cmp_lt_u32_e64 s3, 1, v14
	v_cmp_lt_u32_e64 s4, 3, v14
	s_waitcnt lgkmcnt(0)
	s_add_u32 s0, s16, s12
	s_addc_u32 s1, s17, s13
	v_cmp_lt_u32_e64 s5, 7, v14
	s_clause 0x1
	global_load_b128 v[1:4], v10, s[0:1]
	global_load_b128 v[5:8], v10, s[0:1] offset:16
	v_cndmask_b32_e64 v14, v17, v13, s8
	v_cmp_lt_u32_e64 s0, 31, v0
	v_cmp_eq_u32_e64 s1, 0, v13
	v_cmp_eq_u32_e64 s6, 0, v15
	;; [unrolled: 1-line block ×3, first 2 shown]
	v_and_b32_e32 v13, 28, v18
	v_cmp_eq_u32_e64 s8, 0, v19
	v_cmp_lt_u32_e64 s9, 1, v19
	v_cmp_lt_u32_e64 s10, 3, v19
	v_lshlrev_b32_e32 v14, 2, v14
	v_or_b32_e32 v23, 0xffffff00, v0
	s_waitcnt vmcnt(1)
	v_xor_b32_e32 v15, 0x80000000, v1
	v_xor_b32_e32 v16, 0x80000000, v2
	;; [unrolled: 1-line block ×4, first 2 shown]
	s_waitcnt vmcnt(0)
	v_xor_b32_e32 v19, 0x80000000, v5
	v_xor_b32_e32 v20, 0x80000000, v6
	;; [unrolled: 1-line block ×4, first 2 shown]
	s_branch .LBB22_2
.LBB22_1:                               ;   in Loop: Header=BB22_2 Depth=1
	s_add_i32 s21, s21, 1
	s_delay_alu instid0(SALU_CYCLE_1)
	s_cmp_eq_u32 s21, 10
	s_cbranch_scc1 .LBB22_12
.LBB22_2:                               ; =>This Loop Header: Depth=1
                                        ;     Child Loop BB22_4 Depth 2
                                        ;       Child Loop BB22_5 Depth 3
	s_mov_b32 s14, 0
	s_branch .LBB22_4
.LBB22_3:                               ;   in Loop: Header=BB22_4 Depth=2
	s_or_b32 exec_lo, exec_lo, s11
	s_waitcnt lgkmcnt(0)
	v_add_nc_u32_e32 v2, v40, v2
	ds_load_b32 v41, v11 offset:8220
	s_add_i32 s11, s14, 4
	s_cmp_lt_u32 s14, 28
	s_mov_b32 s14, s11
	ds_bpermute_b32 v2, v14, v2
	s_waitcnt lgkmcnt(0)
	v_cndmask_b32_e64 v2, v2, v40, s1
	s_delay_alu instid0(VALU_DEP_1) | instskip(NEXT) | instid1(VALU_DEP_1)
	v_lshl_add_u32 v2, v41, 16, v2
	v_add_nc_u32_e32 v7, v2, v7
	s_delay_alu instid0(VALU_DEP_1) | instskip(NEXT) | instid1(VALU_DEP_1)
	v_add_nc_u32_e32 v8, v7, v8
	v_add_nc_u32_e32 v5, v8, v5
	s_delay_alu instid0(VALU_DEP_1) | instskip(NEXT) | instid1(VALU_DEP_1)
	v_add_nc_u32_e32 v6, v5, v6
	;; [unrolled: 3-line block ×3, first 2 shown]
	v_add_nc_u32_e32 v1, v4, v1
	ds_store_2addr_b32 v10, v2, v7 offset1:1
	ds_store_2addr_b32 v10, v8, v5 offset0:2 offset1:3
	ds_store_2addr_b32 v10, v6, v3 offset0:4 offset1:5
	;; [unrolled: 1-line block ×3, first 2 shown]
	s_waitcnt lgkmcnt(0)
	s_barrier
	buffer_gl0_inv
	s_cbranch_scc0 .LBB22_1
.LBB22_4:                               ;   Parent Loop BB22_2 Depth=1
                                        ; =>  This Loop Header: Depth=2
                                        ;       Child Loop BB22_5 Depth 3
	v_dual_mov_b32 v1, v23 :: v_dual_mov_b32 v2, v12
	s_mov_b32 s15, 0
.LBB22_5:                               ;   Parent Loop BB22_2 Depth=1
                                        ;     Parent Loop BB22_4 Depth=2
                                        ; =>    This Inner Loop Header: Depth=3
	s_delay_alu instid0(VALU_DEP_1) | instskip(SKIP_3) | instid1(VALU_DEP_1)
	v_add_nc_u32_e32 v1, 0x100, v1
	ds_store_b32 v2, v11
	v_add_nc_u32_e32 v2, 0x400, v2
	v_cmp_lt_u32_e64 s11, 0x6ff, v1
	s_or_b32 s15, s11, s15
	s_delay_alu instid0(SALU_CYCLE_1)
	s_and_not1_b32 exec_lo, exec_lo, s15
	s_cbranch_execnz .LBB22_5
; %bb.6:                                ;   in Loop: Header=BB22_4 Depth=2
	s_or_b32 exec_lo, exec_lo, s15
	s_sub_i32 s11, 28, s14
	s_delay_alu instid0(SALU_CYCLE_1) | instskip(NEXT) | instid1(VALU_DEP_1)
	v_lshlrev_b32_e32 v1, s11, v15
	v_lshrrev_b32_e32 v2, 20, v1
	s_delay_alu instid0(VALU_DEP_1) | instskip(NEXT) | instid1(VALU_DEP_1)
	v_and_or_b32 v2, 0x700, v2, v0
	v_alignbit_b32 v1, v2, v1, 31
	s_delay_alu instid0(VALU_DEP_1) | instskip(SKIP_3) | instid1(VALU_DEP_1)
	v_lshlrev_b32_e32 v25, 1, v1
	v_lshlrev_b32_e32 v1, s11, v16
	ds_load_u16 v24, v25
	v_lshrrev_b32_e32 v2, 20, v1
	v_and_or_b32 v2, 0x700, v2, v0
	s_delay_alu instid0(VALU_DEP_1) | instskip(NEXT) | instid1(VALU_DEP_1)
	v_alignbit_b32 v1, v2, v1, 31
	v_lshlrev_b32_e32 v27, 1, v1
	v_lshlrev_b32_e32 v1, s11, v17
	s_waitcnt lgkmcnt(0)
	v_add_nc_u16 v2, v24, 1
	ds_store_b16 v25, v2
	ds_load_u16 v26, v27
	v_lshrrev_b32_e32 v2, 20, v1
	s_delay_alu instid0(VALU_DEP_1) | instskip(NEXT) | instid1(VALU_DEP_1)
	v_and_or_b32 v2, 0x700, v2, v0
	v_alignbit_b32 v1, v2, v1, 31
	s_delay_alu instid0(VALU_DEP_1)
	v_lshlrev_b32_e32 v29, 1, v1
	v_lshlrev_b32_e32 v1, s11, v18
	s_waitcnt lgkmcnt(0)
	v_add_nc_u16 v2, v26, 1
	ds_store_b16 v27, v2
	ds_load_u16 v28, v29
	v_lshrrev_b32_e32 v2, 20, v1
	s_delay_alu instid0(VALU_DEP_1) | instskip(NEXT) | instid1(VALU_DEP_1)
	v_and_or_b32 v2, 0x700, v2, v0
	v_alignbit_b32 v1, v2, v1, 31
	s_delay_alu instid0(VALU_DEP_1)
	;; [unrolled: 11-line block ×6, first 2 shown]
	v_lshlrev_b32_e32 v39, 1, v1
	s_waitcnt lgkmcnt(0)
	v_add_nc_u16 v2, v36, 1
	ds_store_b16 v37, v2
	ds_load_u16 v38, v39
	s_waitcnt lgkmcnt(0)
	v_add_nc_u16 v1, v38, 1
	ds_store_b16 v39, v1
	s_waitcnt lgkmcnt(0)
	s_barrier
	buffer_gl0_inv
	ds_load_2addr_b32 v[7:8], v10 offset1:1
	ds_load_2addr_b32 v[5:6], v10 offset0:2 offset1:3
	ds_load_2addr_b32 v[3:4], v10 offset0:4 offset1:5
	;; [unrolled: 1-line block ×3, first 2 shown]
	s_waitcnt lgkmcnt(3)
	v_add_nc_u32_e32 v40, v8, v7
	s_waitcnt lgkmcnt(2)
	s_delay_alu instid0(VALU_DEP_1) | instskip(SKIP_1) | instid1(VALU_DEP_1)
	v_add3_u32 v40, v40, v5, v6
	s_waitcnt lgkmcnt(1)
	v_add3_u32 v40, v40, v3, v4
	s_waitcnt lgkmcnt(0)
	s_delay_alu instid0(VALU_DEP_1) | instskip(NEXT) | instid1(VALU_DEP_1)
	v_add3_u32 v2, v40, v1, v2
	v_mov_b32_dpp v40, v2 row_shr:1 row_mask:0xf bank_mask:0xf
	s_delay_alu instid0(VALU_DEP_1) | instskip(NEXT) | instid1(VALU_DEP_1)
	v_cndmask_b32_e64 v40, v40, 0, s2
	v_add_nc_u32_e32 v2, v40, v2
	s_delay_alu instid0(VALU_DEP_1) | instskip(NEXT) | instid1(VALU_DEP_1)
	v_mov_b32_dpp v40, v2 row_shr:2 row_mask:0xf bank_mask:0xf
	v_cndmask_b32_e64 v40, 0, v40, s3
	s_delay_alu instid0(VALU_DEP_1) | instskip(NEXT) | instid1(VALU_DEP_1)
	v_add_nc_u32_e32 v2, v2, v40
	v_mov_b32_dpp v40, v2 row_shr:4 row_mask:0xf bank_mask:0xf
	s_delay_alu instid0(VALU_DEP_1) | instskip(NEXT) | instid1(VALU_DEP_1)
	v_cndmask_b32_e64 v40, 0, v40, s4
	v_add_nc_u32_e32 v2, v2, v40
	s_delay_alu instid0(VALU_DEP_1) | instskip(NEXT) | instid1(VALU_DEP_1)
	v_mov_b32_dpp v40, v2 row_shr:8 row_mask:0xf bank_mask:0xf
	v_cndmask_b32_e64 v40, 0, v40, s5
	s_delay_alu instid0(VALU_DEP_1) | instskip(SKIP_3) | instid1(VALU_DEP_1)
	v_add_nc_u32_e32 v2, v2, v40
	ds_swizzle_b32 v40, v2 offset:swizzle(BROADCAST,32,15)
	s_waitcnt lgkmcnt(0)
	v_cndmask_b32_e64 v40, v40, 0, s6
	v_add_nc_u32_e32 v2, v2, v40
	s_and_saveexec_b32 s11, s7
	s_cbranch_execz .LBB22_8
; %bb.7:                                ;   in Loop: Header=BB22_4 Depth=2
	ds_store_b32 v13, v2 offset:8192
.LBB22_8:                               ;   in Loop: Header=BB22_4 Depth=2
	s_or_b32 exec_lo, exec_lo, s11
	s_waitcnt lgkmcnt(0)
	s_barrier
	buffer_gl0_inv
	s_and_saveexec_b32 s11, vcc_lo
	s_cbranch_execz .LBB22_10
; %bb.9:                                ;   in Loop: Header=BB22_4 Depth=2
	ds_load_b32 v40, v12 offset:8192
	s_waitcnt lgkmcnt(0)
	v_mov_b32_dpp v41, v40 row_shr:1 row_mask:0xf bank_mask:0xf
	s_delay_alu instid0(VALU_DEP_1) | instskip(NEXT) | instid1(VALU_DEP_1)
	v_cndmask_b32_e64 v41, v41, 0, s8
	v_add_nc_u32_e32 v40, v41, v40
	s_delay_alu instid0(VALU_DEP_1) | instskip(NEXT) | instid1(VALU_DEP_1)
	v_mov_b32_dpp v41, v40 row_shr:2 row_mask:0xf bank_mask:0xf
	v_cndmask_b32_e64 v41, 0, v41, s9
	s_delay_alu instid0(VALU_DEP_1) | instskip(NEXT) | instid1(VALU_DEP_1)
	v_add_nc_u32_e32 v40, v40, v41
	v_mov_b32_dpp v41, v40 row_shr:4 row_mask:0xf bank_mask:0xf
	s_delay_alu instid0(VALU_DEP_1) | instskip(NEXT) | instid1(VALU_DEP_1)
	v_cndmask_b32_e64 v41, 0, v41, s10
	v_add_nc_u32_e32 v40, v40, v41
	ds_store_b32 v12, v40 offset:8192
.LBB22_10:                              ;   in Loop: Header=BB22_4 Depth=2
	s_or_b32 exec_lo, exec_lo, s11
	v_mov_b32_e32 v40, 0
	s_waitcnt lgkmcnt(0)
	s_barrier
	buffer_gl0_inv
	s_and_saveexec_b32 s11, s0
	s_cbranch_execz .LBB22_3
; %bb.11:                               ;   in Loop: Header=BB22_4 Depth=2
	ds_load_b32 v40, v13 offset:8188
	s_branch .LBB22_3
.LBB22_12:
	ds_load_u16 v0, v25
	ds_load_u16 v1, v27
	;; [unrolled: 1-line block ×8, first 2 shown]
	v_and_b32_e32 v8, 0xffff, v24
	v_and_b32_e32 v10, 0xffff, v26
	;; [unrolled: 1-line block ×8, first 2 shown]
	s_add_u32 s0, s18, s12
	s_addc_u32 s1, s19, s13
	s_waitcnt lgkmcnt(7)
	v_add_nc_u32_e32 v0, v0, v8
	s_waitcnt lgkmcnt(6)
	v_add_nc_u32_e32 v1, v1, v10
	;; [unrolled: 2-line block ×4, first 2 shown]
	v_lshlrev_b32_e32 v8, 2, v9
	s_waitcnt lgkmcnt(3)
	v_add_nc_u32_e32 v4, v4, v13
	s_waitcnt lgkmcnt(2)
	v_add_nc_u32_e32 v5, v5, v14
	;; [unrolled: 2-line block ×4, first 2 shown]
	s_clause 0x1
	global_store_b128 v8, v[0:3], s[0:1]
	global_store_b128 v8, v[4:7], s[0:1] offset:16
	s_nop 0
	s_sendmsg sendmsg(MSG_DEALLOC_VGPRS)
	s_endpgm
	.section	.rodata,"a",@progbits
	.p2align	6, 0x0
	.amdhsa_kernel _Z11rank_kernelIiLj4ELb0EL18RadixRankAlgorithm1ELj256ELj8ELj10EEvPKT_Pi
		.amdhsa_group_segment_fixed_size 8224
		.amdhsa_private_segment_fixed_size 0
		.amdhsa_kernarg_size 16
		.amdhsa_user_sgpr_count 15
		.amdhsa_user_sgpr_dispatch_ptr 0
		.amdhsa_user_sgpr_queue_ptr 0
		.amdhsa_user_sgpr_kernarg_segment_ptr 1
		.amdhsa_user_sgpr_dispatch_id 0
		.amdhsa_user_sgpr_private_segment_size 0
		.amdhsa_wavefront_size32 1
		.amdhsa_uses_dynamic_stack 0
		.amdhsa_enable_private_segment 0
		.amdhsa_system_sgpr_workgroup_id_x 1
		.amdhsa_system_sgpr_workgroup_id_y 0
		.amdhsa_system_sgpr_workgroup_id_z 0
		.amdhsa_system_sgpr_workgroup_info 0
		.amdhsa_system_vgpr_workitem_id 0
		.amdhsa_next_free_vgpr 42
		.amdhsa_next_free_sgpr 22
		.amdhsa_reserve_vcc 1
		.amdhsa_float_round_mode_32 0
		.amdhsa_float_round_mode_16_64 0
		.amdhsa_float_denorm_mode_32 3
		.amdhsa_float_denorm_mode_16_64 3
		.amdhsa_dx10_clamp 1
		.amdhsa_ieee_mode 1
		.amdhsa_fp16_overflow 0
		.amdhsa_workgroup_processor_mode 1
		.amdhsa_memory_ordered 1
		.amdhsa_forward_progress 0
		.amdhsa_shared_vgpr_count 0
		.amdhsa_exception_fp_ieee_invalid_op 0
		.amdhsa_exception_fp_denorm_src 0
		.amdhsa_exception_fp_ieee_div_zero 0
		.amdhsa_exception_fp_ieee_overflow 0
		.amdhsa_exception_fp_ieee_underflow 0
		.amdhsa_exception_fp_ieee_inexact 0
		.amdhsa_exception_int_div_zero 0
	.end_amdhsa_kernel
	.section	.text._Z11rank_kernelIiLj4ELb0EL18RadixRankAlgorithm1ELj256ELj8ELj10EEvPKT_Pi,"axG",@progbits,_Z11rank_kernelIiLj4ELb0EL18RadixRankAlgorithm1ELj256ELj8ELj10EEvPKT_Pi,comdat
.Lfunc_end22:
	.size	_Z11rank_kernelIiLj4ELb0EL18RadixRankAlgorithm1ELj256ELj8ELj10EEvPKT_Pi, .Lfunc_end22-_Z11rank_kernelIiLj4ELb0EL18RadixRankAlgorithm1ELj256ELj8ELj10EEvPKT_Pi
                                        ; -- End function
	.section	.AMDGPU.csdata,"",@progbits
; Kernel info:
; codeLenInByte = 1748
; NumSgprs: 24
; NumVgprs: 42
; ScratchSize: 0
; MemoryBound: 0
; FloatMode: 240
; IeeeMode: 1
; LDSByteSize: 8224 bytes/workgroup (compile time only)
; SGPRBlocks: 2
; VGPRBlocks: 5
; NumSGPRsForWavesPerEU: 24
; NumVGPRsForWavesPerEU: 42
; Occupancy: 16
; WaveLimiterHint : 0
; COMPUTE_PGM_RSRC2:SCRATCH_EN: 0
; COMPUTE_PGM_RSRC2:USER_SGPR: 15
; COMPUTE_PGM_RSRC2:TRAP_HANDLER: 0
; COMPUTE_PGM_RSRC2:TGID_X_EN: 1
; COMPUTE_PGM_RSRC2:TGID_Y_EN: 0
; COMPUTE_PGM_RSRC2:TGID_Z_EN: 0
; COMPUTE_PGM_RSRC2:TIDIG_COMP_CNT: 0
	.section	.text._Z11rank_kernelIiLj4ELb0EL18RadixRankAlgorithm2ELj256ELj8ELj10EEvPKT_Pi,"axG",@progbits,_Z11rank_kernelIiLj4ELb0EL18RadixRankAlgorithm2ELj256ELj8ELj10EEvPKT_Pi,comdat
	.protected	_Z11rank_kernelIiLj4ELb0EL18RadixRankAlgorithm2ELj256ELj8ELj10EEvPKT_Pi ; -- Begin function _Z11rank_kernelIiLj4ELb0EL18RadixRankAlgorithm2ELj256ELj8ELj10EEvPKT_Pi
	.globl	_Z11rank_kernelIiLj4ELb0EL18RadixRankAlgorithm2ELj256ELj8ELj10EEvPKT_Pi
	.p2align	8
	.type	_Z11rank_kernelIiLj4ELb0EL18RadixRankAlgorithm2ELj256ELj8ELj10EEvPKT_Pi,@function
_Z11rank_kernelIiLj4ELb0EL18RadixRankAlgorithm2ELj256ELj8ELj10EEvPKT_Pi: ; @_Z11rank_kernelIiLj4ELb0EL18RadixRankAlgorithm2ELj256ELj8ELj10EEvPKT_Pi
; %bb.0:
	s_clause 0x1
	s_load_b128 s[16:19], s[0:1], 0x0
	s_load_b32 s8, s[0:1], 0x1c
	v_and_b32_e32 v3, 0x3ff, v0
	s_mov_b32 s13, 0
	s_lshl_b32 s12, s15, 11
	v_mbcnt_lo_u32_b32 v4, -1, 0
	s_lshl_b64 s[14:15], s[12:13], 2
	v_lshlrev_b32_e32 v1, 5, v3
	v_bfe_u32 v5, v0, 10, 10
	v_bfe_u32 v14, v0, 20, 10
	v_add_nc_u32_e32 v17, -1, v4
	v_and_b32_e32 v15, 15, v4
	v_cmp_eq_u32_e32 vcc_lo, 0, v4
	v_and_b32_e32 v18, 7, v4
	v_lshlrev_b32_e32 v0, 3, v3
	v_lshlrev_b32_e32 v2, 2, v3
	v_cmp_lt_u32_e64 s2, 3, v15
	v_cmp_lt_u32_e64 s3, 7, v15
	v_cmp_gt_u32_e64 s5, 8, v3
	v_cmp_lt_u32_e64 s6, 31, v3
	s_waitcnt lgkmcnt(0)
	s_add_u32 s0, s16, s14
	s_addc_u32 s1, s17, s15
	s_lshr_b32 s7, s8, 16
	s_clause 0x1
	global_load_b128 v[6:9], v1, s[0:1]
	global_load_b128 v[10:13], v1, s[0:1] offset:16
	v_mad_u32_u24 v5, v14, s7, v5
	v_cmp_gt_i32_e64 s7, 0, v17
	v_dual_mov_b32 v1, 0 :: v_dual_and_b32 v16, 16, v4
	v_cmp_eq_u32_e64 s0, 0, v15
	v_cmp_lt_u32_e64 s1, 1, v15
	s_delay_alu instid0(VALU_DEP_4)
	v_cndmask_b32_e64 v4, v17, v4, s7
	s_and_b32 s7, s8, 0xffff
	v_cmp_eq_u32_e64 s4, 0, v16
	v_or_b32_e32 v16, 31, v3
	v_cmp_lt_u32_e64 s8, 1, v18
	v_mad_u64_u32 v[14:15], null, v5, s7, v[3:4]
	v_lshrrev_b32_e32 v5, 3, v3
	s_delay_alu instid0(VALU_DEP_4)
	v_cmp_eq_u32_e64 s10, v16, v3
	v_lshlrev_b32_e32 v3, 2, v4
	v_cmp_eq_u32_e64 s7, 0, v18
	v_cmp_lt_u32_e64 s9, 3, v18
	v_and_b32_e32 v4, 28, v5
	v_lshrrev_b32_e32 v5, 5, v14
	s_delay_alu instid0(VALU_DEP_2)
	v_add_nc_u32_e32 v14, -4, v4
	s_waitcnt vmcnt(1)
	v_xor_b32_e32 v6, 0x80000000, v6
	v_xor_b32_e32 v7, 0x80000000, v7
	;; [unrolled: 1-line block ×4, first 2 shown]
	s_waitcnt vmcnt(0)
	v_xor_b32_e32 v10, 0x80000000, v10
	v_xor_b32_e32 v11, 0x80000000, v11
	;; [unrolled: 1-line block ×4, first 2 shown]
	s_branch .LBB23_2
.LBB23_1:                               ;   in Loop: Header=BB23_2 Depth=1
	s_add_i32 s13, s13, 1
	s_delay_alu instid0(SALU_CYCLE_1)
	s_cmp_eq_u32 s13, 10
	s_cbranch_scc1 .LBB23_26
.LBB23_2:                               ; =>This Loop Header: Depth=1
                                        ;     Child Loop BB23_4 Depth 2
	s_mov_b32 s16, -4
	s_mov_b32 s17, 28
	s_branch .LBB23_4
.LBB23_3:                               ;   in Loop: Header=BB23_4 Depth=2
	s_or_b32 exec_lo, exec_lo, s11
	s_waitcnt lgkmcnt(0)
	v_add_nc_u32_e32 v38, v39, v38
	s_add_i32 s16, s16, 4
	s_add_i32 s17, s17, -4
	s_cmp_lt_u32 s16, 28
	ds_bpermute_b32 v38, v3, v38
	s_waitcnt lgkmcnt(0)
	v_cndmask_b32_e32 v38, v38, v39, vcc_lo
	ds_store_b32 v2, v38 offset:32
	s_waitcnt lgkmcnt(0)
	s_barrier
	buffer_gl0_inv
	s_cbranch_scc0 .LBB23_1
.LBB23_4:                               ;   Parent Loop BB23_2 Depth=1
                                        ; =>  This Inner Loop Header: Depth=2
	v_lshlrev_b32_e32 v15, s17, v6
	ds_store_b32 v2, v1 offset:32
	s_waitcnt lgkmcnt(0)
	s_barrier
	buffer_gl0_inv
	v_bfe_u32 v16, v15, 28, 1
	v_lshrrev_b32_e32 v18, 28, v15
	v_not_b32_e32 v21, v15
	; wave barrier
	s_delay_alu instid0(VALU_DEP_3) | instskip(NEXT) | instid1(VALU_DEP_1)
	v_add_co_u32 v16, s11, v16, -1
	v_cndmask_b32_e64 v17, 0, 1, s11
	s_delay_alu instid0(VALU_DEP_4) | instskip(SKIP_1) | instid1(VALU_DEP_3)
	v_lshlrev_b32_e32 v19, 30, v18
	v_lshlrev_b32_e32 v20, 29, v18
	v_cmp_ne_u32_e64 s11, 0, v17
	s_delay_alu instid0(VALU_DEP_3) | instskip(SKIP_1) | instid1(VALU_DEP_4)
	v_not_b32_e32 v17, v19
	v_cmp_gt_i32_e64 s12, 0, v19
	v_not_b32_e32 v19, v20
	s_delay_alu instid0(VALU_DEP_4) | instskip(NEXT) | instid1(VALU_DEP_4)
	v_xor_b32_e32 v16, s11, v16
	v_ashrrev_i32_e32 v17, 31, v17
	v_cmp_gt_i32_e64 s11, 0, v20
	s_delay_alu instid0(VALU_DEP_4) | instskip(NEXT) | instid1(VALU_DEP_4)
	v_ashrrev_i32_e32 v19, 31, v19
	v_and_b32_e32 v16, exec_lo, v16
	s_delay_alu instid0(VALU_DEP_4) | instskip(SKIP_3) | instid1(VALU_DEP_4)
	v_xor_b32_e32 v17, s12, v17
	v_cmp_gt_i32_e64 s12, 0, v15
	v_ashrrev_i32_e32 v15, 31, v21
	v_xor_b32_e32 v19, s11, v19
	v_and_b32_e32 v16, v16, v17
	s_delay_alu instid0(VALU_DEP_3) | instskip(NEXT) | instid1(VALU_DEP_2)
	v_xor_b32_e32 v15, s12, v15
	v_and_b32_e32 v16, v16, v19
	s_delay_alu instid0(VALU_DEP_1) | instskip(SKIP_1) | instid1(VALU_DEP_2)
	v_and_b32_e32 v17, v16, v15
	v_mad_u32_u24 v16, v18, 9, v5
	v_mbcnt_lo_u32_b32 v15, v17, 0
	v_cmp_ne_u32_e64 s12, 0, v17
	s_delay_alu instid0(VALU_DEP_3) | instskip(NEXT) | instid1(VALU_DEP_3)
	v_lshl_add_u32 v16, v16, 2, 32
	v_cmp_eq_u32_e64 s11, 0, v15
	s_delay_alu instid0(VALU_DEP_1) | instskip(NEXT) | instid1(SALU_CYCLE_1)
	s_and_b32 s12, s12, s11
	s_and_saveexec_b32 s11, s12
	s_cbranch_execz .LBB23_6
; %bb.5:                                ;   in Loop: Header=BB23_4 Depth=2
	v_bcnt_u32_b32 v17, v17, 0
	ds_store_b32 v16, v17
.LBB23_6:                               ;   in Loop: Header=BB23_4 Depth=2
	s_or_b32 exec_lo, exec_lo, s11
	v_lshlrev_b32_e32 v17, s17, v7
	; wave barrier
	s_delay_alu instid0(VALU_DEP_1) | instskip(SKIP_2) | instid1(VALU_DEP_3)
	v_bfe_u32 v18, v17, 28, 1
	v_lshrrev_b32_e32 v19, 28, v17
	v_not_b32_e32 v23, v17
	v_add_co_u32 v18, s11, v18, -1
	s_delay_alu instid0(VALU_DEP_1) | instskip(NEXT) | instid1(VALU_DEP_4)
	v_cndmask_b32_e64 v20, 0, 1, s11
	v_lshlrev_b32_e32 v21, 30, v19
	v_lshlrev_b32_e32 v22, 29, v19
	s_delay_alu instid0(VALU_DEP_3) | instskip(NEXT) | instid1(VALU_DEP_3)
	v_cmp_ne_u32_e64 s11, 0, v20
	v_not_b32_e32 v20, v21
	v_cmp_gt_i32_e64 s12, 0, v21
	s_delay_alu instid0(VALU_DEP_4) | instskip(NEXT) | instid1(VALU_DEP_4)
	v_not_b32_e32 v21, v22
	v_xor_b32_e32 v18, s11, v18
	s_delay_alu instid0(VALU_DEP_4) | instskip(SKIP_1) | instid1(VALU_DEP_4)
	v_ashrrev_i32_e32 v20, 31, v20
	v_cmp_gt_i32_e64 s11, 0, v22
	v_ashrrev_i32_e32 v21, 31, v21
	s_delay_alu instid0(VALU_DEP_4) | instskip(NEXT) | instid1(VALU_DEP_4)
	v_and_b32_e32 v18, exec_lo, v18
	v_xor_b32_e32 v20, s12, v20
	v_cmp_gt_i32_e64 s12, 0, v17
	v_mul_u32_u24_e32 v17, 9, v19
	v_ashrrev_i32_e32 v19, 31, v23
	v_xor_b32_e32 v21, s11, v21
	v_and_b32_e32 v18, v18, v20
	s_delay_alu instid0(VALU_DEP_4) | instskip(NEXT) | instid1(VALU_DEP_4)
	v_add_lshl_u32 v22, v5, v17, 2
	v_xor_b32_e32 v19, s12, v19
	s_delay_alu instid0(VALU_DEP_3) | instskip(SKIP_3) | instid1(VALU_DEP_2)
	v_and_b32_e32 v18, v18, v21
	ds_load_b32 v17, v22 offset:32
	; wave barrier
	v_and_b32_e32 v20, v18, v19
	v_add_nc_u32_e32 v19, 32, v22
	v_mbcnt_lo_u32_b32 v18, v20, 0
	v_cmp_ne_u32_e64 s12, 0, v20
	s_delay_alu instid0(VALU_DEP_2) | instskip(NEXT) | instid1(VALU_DEP_1)
	v_cmp_eq_u32_e64 s11, 0, v18
	s_and_b32 s12, s12, s11
	s_delay_alu instid0(SALU_CYCLE_1)
	s_and_saveexec_b32 s11, s12
	s_cbranch_execz .LBB23_8
; %bb.7:                                ;   in Loop: Header=BB23_4 Depth=2
	s_waitcnt lgkmcnt(0)
	v_bcnt_u32_b32 v20, v20, v17
	ds_store_b32 v19, v20
.LBB23_8:                               ;   in Loop: Header=BB23_4 Depth=2
	s_or_b32 exec_lo, exec_lo, s11
	v_lshlrev_b32_e32 v20, s17, v8
	; wave barrier
	s_delay_alu instid0(VALU_DEP_1) | instskip(SKIP_2) | instid1(VALU_DEP_3)
	v_bfe_u32 v21, v20, 28, 1
	v_lshrrev_b32_e32 v22, 28, v20
	v_not_b32_e32 v26, v20
	v_add_co_u32 v21, s11, v21, -1
	s_delay_alu instid0(VALU_DEP_1) | instskip(NEXT) | instid1(VALU_DEP_4)
	v_cndmask_b32_e64 v23, 0, 1, s11
	v_lshlrev_b32_e32 v24, 30, v22
	v_lshlrev_b32_e32 v25, 29, v22
	s_delay_alu instid0(VALU_DEP_3) | instskip(NEXT) | instid1(VALU_DEP_3)
	v_cmp_ne_u32_e64 s11, 0, v23
	v_not_b32_e32 v23, v24
	v_cmp_gt_i32_e64 s12, 0, v24
	s_delay_alu instid0(VALU_DEP_4) | instskip(NEXT) | instid1(VALU_DEP_4)
	v_not_b32_e32 v24, v25
	v_xor_b32_e32 v21, s11, v21
	s_delay_alu instid0(VALU_DEP_4) | instskip(SKIP_1) | instid1(VALU_DEP_4)
	v_ashrrev_i32_e32 v23, 31, v23
	v_cmp_gt_i32_e64 s11, 0, v25
	v_ashrrev_i32_e32 v24, 31, v24
	s_delay_alu instid0(VALU_DEP_4) | instskip(NEXT) | instid1(VALU_DEP_4)
	v_and_b32_e32 v21, exec_lo, v21
	v_xor_b32_e32 v23, s12, v23
	v_cmp_gt_i32_e64 s12, 0, v20
	v_mul_u32_u24_e32 v20, 9, v22
	v_ashrrev_i32_e32 v22, 31, v26
	v_xor_b32_e32 v24, s11, v24
	v_and_b32_e32 v21, v21, v23
	s_delay_alu instid0(VALU_DEP_4) | instskip(NEXT) | instid1(VALU_DEP_4)
	v_add_lshl_u32 v25, v5, v20, 2
	v_xor_b32_e32 v22, s12, v22
	s_delay_alu instid0(VALU_DEP_3) | instskip(SKIP_3) | instid1(VALU_DEP_2)
	v_and_b32_e32 v21, v21, v24
	ds_load_b32 v20, v25 offset:32
	; wave barrier
	v_and_b32_e32 v23, v21, v22
	v_add_nc_u32_e32 v22, 32, v25
	v_mbcnt_lo_u32_b32 v21, v23, 0
	v_cmp_ne_u32_e64 s12, 0, v23
	s_delay_alu instid0(VALU_DEP_2) | instskip(NEXT) | instid1(VALU_DEP_1)
	v_cmp_eq_u32_e64 s11, 0, v21
	s_and_b32 s12, s12, s11
	s_delay_alu instid0(SALU_CYCLE_1)
	s_and_saveexec_b32 s11, s12
	s_cbranch_execz .LBB23_10
; %bb.9:                                ;   in Loop: Header=BB23_4 Depth=2
	s_waitcnt lgkmcnt(0)
	v_bcnt_u32_b32 v23, v23, v20
	ds_store_b32 v22, v23
.LBB23_10:                              ;   in Loop: Header=BB23_4 Depth=2
	s_or_b32 exec_lo, exec_lo, s11
	v_lshlrev_b32_e32 v23, s17, v9
	; wave barrier
	s_delay_alu instid0(VALU_DEP_1) | instskip(SKIP_2) | instid1(VALU_DEP_3)
	v_bfe_u32 v24, v23, 28, 1
	v_lshrrev_b32_e32 v25, 28, v23
	v_not_b32_e32 v29, v23
	v_add_co_u32 v24, s11, v24, -1
	s_delay_alu instid0(VALU_DEP_1) | instskip(NEXT) | instid1(VALU_DEP_4)
	v_cndmask_b32_e64 v26, 0, 1, s11
	v_lshlrev_b32_e32 v27, 30, v25
	v_lshlrev_b32_e32 v28, 29, v25
	s_delay_alu instid0(VALU_DEP_3) | instskip(NEXT) | instid1(VALU_DEP_3)
	v_cmp_ne_u32_e64 s11, 0, v26
	v_not_b32_e32 v26, v27
	v_cmp_gt_i32_e64 s12, 0, v27
	s_delay_alu instid0(VALU_DEP_4) | instskip(NEXT) | instid1(VALU_DEP_4)
	v_not_b32_e32 v27, v28
	v_xor_b32_e32 v24, s11, v24
	s_delay_alu instid0(VALU_DEP_4) | instskip(SKIP_1) | instid1(VALU_DEP_4)
	v_ashrrev_i32_e32 v26, 31, v26
	v_cmp_gt_i32_e64 s11, 0, v28
	v_ashrrev_i32_e32 v27, 31, v27
	s_delay_alu instid0(VALU_DEP_4) | instskip(NEXT) | instid1(VALU_DEP_4)
	v_and_b32_e32 v24, exec_lo, v24
	v_xor_b32_e32 v26, s12, v26
	v_cmp_gt_i32_e64 s12, 0, v23
	v_mul_u32_u24_e32 v23, 9, v25
	v_ashrrev_i32_e32 v25, 31, v29
	v_xor_b32_e32 v27, s11, v27
	v_and_b32_e32 v24, v24, v26
	s_delay_alu instid0(VALU_DEP_4) | instskip(NEXT) | instid1(VALU_DEP_4)
	v_add_lshl_u32 v28, v5, v23, 2
	v_xor_b32_e32 v25, s12, v25
	s_delay_alu instid0(VALU_DEP_3) | instskip(SKIP_3) | instid1(VALU_DEP_2)
	v_and_b32_e32 v24, v24, v27
	ds_load_b32 v23, v28 offset:32
	; wave barrier
	v_and_b32_e32 v26, v24, v25
	v_add_nc_u32_e32 v25, 32, v28
	v_mbcnt_lo_u32_b32 v24, v26, 0
	v_cmp_ne_u32_e64 s12, 0, v26
	s_delay_alu instid0(VALU_DEP_2) | instskip(NEXT) | instid1(VALU_DEP_1)
	v_cmp_eq_u32_e64 s11, 0, v24
	s_and_b32 s12, s12, s11
	s_delay_alu instid0(SALU_CYCLE_1)
	s_and_saveexec_b32 s11, s12
	s_cbranch_execz .LBB23_12
; %bb.11:                               ;   in Loop: Header=BB23_4 Depth=2
	s_waitcnt lgkmcnt(0)
	v_bcnt_u32_b32 v26, v26, v23
	ds_store_b32 v25, v26
.LBB23_12:                              ;   in Loop: Header=BB23_4 Depth=2
	s_or_b32 exec_lo, exec_lo, s11
	v_lshlrev_b32_e32 v26, s17, v10
	; wave barrier
	s_delay_alu instid0(VALU_DEP_1) | instskip(SKIP_2) | instid1(VALU_DEP_3)
	v_bfe_u32 v27, v26, 28, 1
	v_lshrrev_b32_e32 v28, 28, v26
	v_not_b32_e32 v32, v26
	v_add_co_u32 v27, s11, v27, -1
	s_delay_alu instid0(VALU_DEP_1) | instskip(NEXT) | instid1(VALU_DEP_4)
	v_cndmask_b32_e64 v29, 0, 1, s11
	v_lshlrev_b32_e32 v30, 30, v28
	v_lshlrev_b32_e32 v31, 29, v28
	s_delay_alu instid0(VALU_DEP_3) | instskip(NEXT) | instid1(VALU_DEP_3)
	v_cmp_ne_u32_e64 s11, 0, v29
	v_not_b32_e32 v29, v30
	v_cmp_gt_i32_e64 s12, 0, v30
	s_delay_alu instid0(VALU_DEP_4) | instskip(NEXT) | instid1(VALU_DEP_4)
	v_not_b32_e32 v30, v31
	v_xor_b32_e32 v27, s11, v27
	s_delay_alu instid0(VALU_DEP_4) | instskip(SKIP_1) | instid1(VALU_DEP_4)
	v_ashrrev_i32_e32 v29, 31, v29
	v_cmp_gt_i32_e64 s11, 0, v31
	v_ashrrev_i32_e32 v30, 31, v30
	s_delay_alu instid0(VALU_DEP_4) | instskip(NEXT) | instid1(VALU_DEP_4)
	v_and_b32_e32 v27, exec_lo, v27
	v_xor_b32_e32 v29, s12, v29
	v_cmp_gt_i32_e64 s12, 0, v26
	v_mul_u32_u24_e32 v26, 9, v28
	v_ashrrev_i32_e32 v28, 31, v32
	v_xor_b32_e32 v30, s11, v30
	v_and_b32_e32 v27, v27, v29
	s_delay_alu instid0(VALU_DEP_4) | instskip(NEXT) | instid1(VALU_DEP_4)
	v_add_lshl_u32 v31, v5, v26, 2
	v_xor_b32_e32 v28, s12, v28
	s_delay_alu instid0(VALU_DEP_3) | instskip(SKIP_3) | instid1(VALU_DEP_2)
	v_and_b32_e32 v27, v27, v30
	ds_load_b32 v26, v31 offset:32
	; wave barrier
	v_and_b32_e32 v29, v27, v28
	v_add_nc_u32_e32 v28, 32, v31
	v_mbcnt_lo_u32_b32 v27, v29, 0
	v_cmp_ne_u32_e64 s12, 0, v29
	s_delay_alu instid0(VALU_DEP_2) | instskip(NEXT) | instid1(VALU_DEP_1)
	v_cmp_eq_u32_e64 s11, 0, v27
	s_and_b32 s12, s12, s11
	s_delay_alu instid0(SALU_CYCLE_1)
	s_and_saveexec_b32 s11, s12
	s_cbranch_execz .LBB23_14
; %bb.13:                               ;   in Loop: Header=BB23_4 Depth=2
	s_waitcnt lgkmcnt(0)
	v_bcnt_u32_b32 v29, v29, v26
	ds_store_b32 v28, v29
.LBB23_14:                              ;   in Loop: Header=BB23_4 Depth=2
	;; [unrolled: 53-line block ×5, first 2 shown]
	s_or_b32 exec_lo, exec_lo, s11
	; wave barrier
	s_waitcnt lgkmcnt(0)
	s_barrier
	buffer_gl0_inv
	ds_load_b32 v38, v2 offset:32
	s_waitcnt lgkmcnt(0)
	v_mov_b32_dpp v39, v38 row_shr:1 row_mask:0xf bank_mask:0xf
	s_delay_alu instid0(VALU_DEP_1) | instskip(NEXT) | instid1(VALU_DEP_1)
	v_cndmask_b32_e64 v39, v39, 0, s0
	v_add_nc_u32_e32 v38, v39, v38
	s_delay_alu instid0(VALU_DEP_1) | instskip(NEXT) | instid1(VALU_DEP_1)
	v_mov_b32_dpp v39, v38 row_shr:2 row_mask:0xf bank_mask:0xf
	v_cndmask_b32_e64 v39, 0, v39, s1
	s_delay_alu instid0(VALU_DEP_1) | instskip(NEXT) | instid1(VALU_DEP_1)
	v_add_nc_u32_e32 v38, v38, v39
	v_mov_b32_dpp v39, v38 row_shr:4 row_mask:0xf bank_mask:0xf
	s_delay_alu instid0(VALU_DEP_1) | instskip(NEXT) | instid1(VALU_DEP_1)
	v_cndmask_b32_e64 v39, 0, v39, s2
	v_add_nc_u32_e32 v38, v38, v39
	s_delay_alu instid0(VALU_DEP_1) | instskip(NEXT) | instid1(VALU_DEP_1)
	v_mov_b32_dpp v39, v38 row_shr:8 row_mask:0xf bank_mask:0xf
	v_cndmask_b32_e64 v39, 0, v39, s3
	s_delay_alu instid0(VALU_DEP_1) | instskip(SKIP_3) | instid1(VALU_DEP_1)
	v_add_nc_u32_e32 v38, v38, v39
	ds_swizzle_b32 v39, v38 offset:swizzle(BROADCAST,32,15)
	s_waitcnt lgkmcnt(0)
	v_cndmask_b32_e64 v39, v39, 0, s4
	v_add_nc_u32_e32 v38, v38, v39
	s_and_saveexec_b32 s11, s10
	s_delay_alu instid0(SALU_CYCLE_1)
	s_xor_b32 s11, exec_lo, s11
	s_cbranch_execz .LBB23_22
; %bb.21:                               ;   in Loop: Header=BB23_4 Depth=2
	ds_store_b32 v4, v38
.LBB23_22:                              ;   in Loop: Header=BB23_4 Depth=2
	s_or_b32 exec_lo, exec_lo, s11
	s_waitcnt lgkmcnt(0)
	s_barrier
	buffer_gl0_inv
	s_and_saveexec_b32 s11, s5
	s_cbranch_execz .LBB23_24
; %bb.23:                               ;   in Loop: Header=BB23_4 Depth=2
	ds_load_b32 v39, v2
	s_waitcnt lgkmcnt(0)
	v_mov_b32_dpp v40, v39 row_shr:1 row_mask:0xf bank_mask:0xf
	s_delay_alu instid0(VALU_DEP_1) | instskip(NEXT) | instid1(VALU_DEP_1)
	v_cndmask_b32_e64 v40, v40, 0, s7
	v_add_nc_u32_e32 v39, v40, v39
	s_delay_alu instid0(VALU_DEP_1) | instskip(NEXT) | instid1(VALU_DEP_1)
	v_mov_b32_dpp v40, v39 row_shr:2 row_mask:0xf bank_mask:0xf
	v_cndmask_b32_e64 v40, 0, v40, s8
	s_delay_alu instid0(VALU_DEP_1) | instskip(NEXT) | instid1(VALU_DEP_1)
	v_add_nc_u32_e32 v39, v39, v40
	v_mov_b32_dpp v40, v39 row_shr:4 row_mask:0xf bank_mask:0xf
	s_delay_alu instid0(VALU_DEP_1) | instskip(NEXT) | instid1(VALU_DEP_1)
	v_cndmask_b32_e64 v40, 0, v40, s9
	v_add_nc_u32_e32 v39, v39, v40
	ds_store_b32 v2, v39
.LBB23_24:                              ;   in Loop: Header=BB23_4 Depth=2
	s_or_b32 exec_lo, exec_lo, s11
	v_mov_b32_e32 v39, 0
	s_waitcnt lgkmcnt(0)
	s_barrier
	buffer_gl0_inv
	s_and_saveexec_b32 s11, s6
	s_cbranch_execz .LBB23_3
; %bb.25:                               ;   in Loop: Header=BB23_4 Depth=2
	ds_load_b32 v39, v14
	s_branch .LBB23_3
.LBB23_26:
	ds_load_b32 v1, v16
	ds_load_b32 v2, v19
	;; [unrolled: 1-line block ×8, first 2 shown]
	v_lshlrev_b32_e32 v9, 2, v0
	s_add_u32 s0, s18, s14
	s_addc_u32 s1, s19, s15
	s_waitcnt lgkmcnt(7)
	v_add_nc_u32_e32 v0, v1, v15
	s_waitcnt lgkmcnt(6)
	v_add3_u32 v1, v18, v17, v2
	s_waitcnt lgkmcnt(5)
	v_add3_u32 v2, v21, v20, v3
	;; [unrolled: 2-line block ×7, first 2 shown]
	s_clause 0x1
	global_store_b128 v9, v[0:3], s[0:1]
	global_store_b128 v9, v[4:7], s[0:1] offset:16
	s_nop 0
	s_sendmsg sendmsg(MSG_DEALLOC_VGPRS)
	s_endpgm
	.section	.rodata,"a",@progbits
	.p2align	6, 0x0
	.amdhsa_kernel _Z11rank_kernelIiLj4ELb0EL18RadixRankAlgorithm2ELj256ELj8ELj10EEvPKT_Pi
		.amdhsa_group_segment_fixed_size 1056
		.amdhsa_private_segment_fixed_size 0
		.amdhsa_kernarg_size 272
		.amdhsa_user_sgpr_count 15
		.amdhsa_user_sgpr_dispatch_ptr 0
		.amdhsa_user_sgpr_queue_ptr 0
		.amdhsa_user_sgpr_kernarg_segment_ptr 1
		.amdhsa_user_sgpr_dispatch_id 0
		.amdhsa_user_sgpr_private_segment_size 0
		.amdhsa_wavefront_size32 1
		.amdhsa_uses_dynamic_stack 0
		.amdhsa_enable_private_segment 0
		.amdhsa_system_sgpr_workgroup_id_x 1
		.amdhsa_system_sgpr_workgroup_id_y 0
		.amdhsa_system_sgpr_workgroup_id_z 0
		.amdhsa_system_sgpr_workgroup_info 0
		.amdhsa_system_vgpr_workitem_id 2
		.amdhsa_next_free_vgpr 42
		.amdhsa_next_free_sgpr 20
		.amdhsa_reserve_vcc 1
		.amdhsa_float_round_mode_32 0
		.amdhsa_float_round_mode_16_64 0
		.amdhsa_float_denorm_mode_32 3
		.amdhsa_float_denorm_mode_16_64 3
		.amdhsa_dx10_clamp 1
		.amdhsa_ieee_mode 1
		.amdhsa_fp16_overflow 0
		.amdhsa_workgroup_processor_mode 1
		.amdhsa_memory_ordered 1
		.amdhsa_forward_progress 0
		.amdhsa_shared_vgpr_count 0
		.amdhsa_exception_fp_ieee_invalid_op 0
		.amdhsa_exception_fp_denorm_src 0
		.amdhsa_exception_fp_ieee_div_zero 0
		.amdhsa_exception_fp_ieee_overflow 0
		.amdhsa_exception_fp_ieee_underflow 0
		.amdhsa_exception_fp_ieee_inexact 0
		.amdhsa_exception_int_div_zero 0
	.end_amdhsa_kernel
	.section	.text._Z11rank_kernelIiLj4ELb0EL18RadixRankAlgorithm2ELj256ELj8ELj10EEvPKT_Pi,"axG",@progbits,_Z11rank_kernelIiLj4ELb0EL18RadixRankAlgorithm2ELj256ELj8ELj10EEvPKT_Pi,comdat
.Lfunc_end23:
	.size	_Z11rank_kernelIiLj4ELb0EL18RadixRankAlgorithm2ELj256ELj8ELj10EEvPKT_Pi, .Lfunc_end23-_Z11rank_kernelIiLj4ELb0EL18RadixRankAlgorithm2ELj256ELj8ELj10EEvPKT_Pi
                                        ; -- End function
	.section	.AMDGPU.csdata,"",@progbits
; Kernel info:
; codeLenInByte = 3048
; NumSgprs: 22
; NumVgprs: 42
; ScratchSize: 0
; MemoryBound: 0
; FloatMode: 240
; IeeeMode: 1
; LDSByteSize: 1056 bytes/workgroup (compile time only)
; SGPRBlocks: 2
; VGPRBlocks: 5
; NumSGPRsForWavesPerEU: 22
; NumVGPRsForWavesPerEU: 42
; Occupancy: 16
; WaveLimiterHint : 0
; COMPUTE_PGM_RSRC2:SCRATCH_EN: 0
; COMPUTE_PGM_RSRC2:USER_SGPR: 15
; COMPUTE_PGM_RSRC2:TRAP_HANDLER: 0
; COMPUTE_PGM_RSRC2:TGID_X_EN: 1
; COMPUTE_PGM_RSRC2:TGID_Y_EN: 0
; COMPUTE_PGM_RSRC2:TGID_Z_EN: 0
; COMPUTE_PGM_RSRC2:TIDIG_COMP_CNT: 2
	.section	.text._Z11rank_kernelIiLj4ELb0EL18RadixRankAlgorithm0ELj256ELj16ELj10EEvPKT_Pi,"axG",@progbits,_Z11rank_kernelIiLj4ELb0EL18RadixRankAlgorithm0ELj256ELj16ELj10EEvPKT_Pi,comdat
	.protected	_Z11rank_kernelIiLj4ELb0EL18RadixRankAlgorithm0ELj256ELj16ELj10EEvPKT_Pi ; -- Begin function _Z11rank_kernelIiLj4ELb0EL18RadixRankAlgorithm0ELj256ELj16ELj10EEvPKT_Pi
	.globl	_Z11rank_kernelIiLj4ELb0EL18RadixRankAlgorithm0ELj256ELj16ELj10EEvPKT_Pi
	.p2align	8
	.type	_Z11rank_kernelIiLj4ELb0EL18RadixRankAlgorithm0ELj256ELj16ELj10EEvPKT_Pi,@function
_Z11rank_kernelIiLj4ELb0EL18RadixRankAlgorithm0ELj256ELj16ELj10EEvPKT_Pi: ; @_Z11rank_kernelIiLj4ELb0EL18RadixRankAlgorithm0ELj256ELj16ELj10EEvPKT_Pi
; %bb.0:
	s_load_b128 s[16:19], s[0:1], 0x0
	s_mov_b32 s21, 0
	s_lshl_b32 s20, s15, 12
	v_dual_mov_b32 v2, 0 :: v_dual_lshlrev_b32 v1, 6, v0
	s_lshl_b64 s[12:13], s[20:21], 2
	v_mbcnt_lo_u32_b32 v5, -1, 0
	v_or_b32_e32 v24, 31, v0
	v_lshrrev_b32_e32 v26, 3, v0
	v_lshlrev_b32_e32 v3, 5, v0
	v_cmp_gt_u32_e32 vcc_lo, 8, v0
	v_add_nc_u32_e32 v25, -1, v5
	v_and_b32_e32 v6, 15, v5
	v_and_b32_e32 v23, 16, v5
	;; [unrolled: 1-line block ×3, first 2 shown]
	v_lshlrev_b32_e32 v4, 2, v0
	v_cmp_gt_i32_e64 s8, 0, v25
	v_cmp_eq_u32_e64 s2, 0, v6
	v_cmp_lt_u32_e64 s3, 1, v6
	v_cmp_lt_u32_e64 s4, 3, v6
	s_waitcnt lgkmcnt(0)
	s_add_u32 s0, s16, s12
	s_addc_u32 s1, s17, s13
	v_cmp_lt_u32_e64 s5, 7, v6
	s_clause 0x3
	global_load_b128 v[7:10], v1, s[0:1]
	global_load_b128 v[11:14], v1, s[0:1] offset:16
	global_load_b128 v[15:18], v1, s[0:1] offset:32
	;; [unrolled: 1-line block ×3, first 2 shown]
	v_cndmask_b32_e64 v6, v25, v5, s8
	v_lshlrev_b32_e32 v1, 4, v0
	v_cmp_lt_u32_e64 s0, 31, v0
	v_cmp_eq_u32_e64 s1, 0, v5
	v_cmp_eq_u32_e64 s6, 0, v23
	;; [unrolled: 1-line block ×3, first 2 shown]
	v_and_b32_e32 v5, 28, v26
	v_cmp_eq_u32_e64 s8, 0, v27
	v_cmp_lt_u32_e64 s9, 1, v27
	v_cmp_lt_u32_e64 s10, 3, v27
	v_lshlrev_b32_e32 v6, 2, v6
	v_or_b32_e32 v23, 0xffffff00, v0
	s_waitcnt vmcnt(3)
	v_xor_b32_e32 v7, 0x80000000, v7
	v_xor_b32_e32 v8, 0x80000000, v8
	v_xor_b32_e32 v9, 0x80000000, v9
	v_xor_b32_e32 v10, 0x80000000, v10
	s_waitcnt vmcnt(2)
	v_xor_b32_e32 v11, 0x80000000, v11
	v_xor_b32_e32 v12, 0x80000000, v12
	v_xor_b32_e32 v13, 0x80000000, v13
	v_xor_b32_e32 v14, 0x80000000, v14
	;; [unrolled: 5-line block ×4, first 2 shown]
	s_branch .LBB24_2
.LBB24_1:                               ;   in Loop: Header=BB24_2 Depth=1
	s_add_i32 s21, s21, 1
	s_delay_alu instid0(SALU_CYCLE_1)
	s_cmp_eq_u32 s21, 10
	s_cbranch_scc1 .LBB24_12
.LBB24_2:                               ; =>This Loop Header: Depth=1
                                        ;     Child Loop BB24_4 Depth 2
                                        ;       Child Loop BB24_5 Depth 3
	s_mov_b32 s14, 0
	s_branch .LBB24_4
.LBB24_3:                               ;   in Loop: Header=BB24_4 Depth=2
	s_or_b32 exec_lo, exec_lo, s11
	s_waitcnt lgkmcnt(0)
	v_add_nc_u32_e32 v56, v57, v56
	ds_load_b32 v60, v2 offset:8220
	ds_load_2addr_b32 v[58:59], v3 offset1:1
	s_add_i32 s11, s14, 4
	s_cmp_lt_u32 s14, 28
	s_mov_b32 s14, s11
	ds_bpermute_b32 v56, v6, v56
	s_waitcnt lgkmcnt(0)
	v_cndmask_b32_e64 v61, v56, v57, s1
	ds_load_2addr_b32 v[56:57], v3 offset0:2 offset1:3
	v_lshl_add_u32 v62, v60, 16, v61
	ds_load_2addr_b32 v[60:61], v3 offset0:4 offset1:5
	ds_load_b32 v63, v3 offset:24
	v_add_nc_u32_e32 v58, v62, v58
	s_delay_alu instid0(VALU_DEP_1) | instskip(SKIP_1) | instid1(VALU_DEP_1)
	v_add_nc_u32_e32 v59, v59, v58
	s_waitcnt lgkmcnt(2)
	v_add_nc_u32_e32 v56, v56, v59
	s_delay_alu instid0(VALU_DEP_1) | instskip(SKIP_1) | instid1(VALU_DEP_1)
	v_add_nc_u32_e32 v57, v57, v56
	s_waitcnt lgkmcnt(1)
	;; [unrolled: 4-line block ×3, first 2 shown]
	v_add_nc_u32_e32 v63, v63, v61
	ds_store_2addr_b32 v3, v62, v58 offset1:1
	ds_store_2addr_b32 v3, v59, v56 offset0:2 offset1:3
	ds_store_2addr_b32 v3, v57, v60 offset0:4 offset1:5
	;; [unrolled: 1-line block ×3, first 2 shown]
	s_waitcnt lgkmcnt(0)
	s_barrier
	buffer_gl0_inv
	s_cbranch_scc0 .LBB24_1
.LBB24_4:                               ;   Parent Loop BB24_2 Depth=1
                                        ; =>  This Loop Header: Depth=2
                                        ;       Child Loop BB24_5 Depth 3
	v_dual_mov_b32 v24, v23 :: v_dual_mov_b32 v25, v4
	s_mov_b32 s15, 0
.LBB24_5:                               ;   Parent Loop BB24_2 Depth=1
                                        ;     Parent Loop BB24_4 Depth=2
                                        ; =>    This Inner Loop Header: Depth=3
	s_delay_alu instid0(VALU_DEP_1) | instskip(SKIP_3) | instid1(VALU_DEP_1)
	v_add_nc_u32_e32 v24, 0x100, v24
	ds_store_b32 v25, v2
	v_add_nc_u32_e32 v25, 0x400, v25
	v_cmp_lt_u32_e64 s11, 0x6ff, v24
	s_or_b32 s15, s11, s15
	s_delay_alu instid0(SALU_CYCLE_1)
	s_and_not1_b32 exec_lo, exec_lo, s15
	s_cbranch_execnz .LBB24_5
; %bb.6:                                ;   in Loop: Header=BB24_4 Depth=2
	s_or_b32 exec_lo, exec_lo, s15
	s_sub_i32 s11, 28, s14
	s_delay_alu instid0(SALU_CYCLE_1) | instskip(NEXT) | instid1(VALU_DEP_1)
	v_lshlrev_b32_e32 v24, s11, v7
	v_lshrrev_b32_e32 v25, 20, v24
	s_delay_alu instid0(VALU_DEP_1) | instskip(NEXT) | instid1(VALU_DEP_1)
	v_and_or_b32 v25, 0x700, v25, v0
	v_alignbit_b32 v24, v25, v24, 31
	v_lshlrev_b32_e32 v25, s11, v8
	s_delay_alu instid0(VALU_DEP_2) | instskip(NEXT) | instid1(VALU_DEP_2)
	v_lshlrev_b32_e32 v24, 1, v24
	v_lshrrev_b32_e32 v26, 20, v25
	ds_load_u16 v27, v24
	v_and_or_b32 v26, 0x700, v26, v0
	s_delay_alu instid0(VALU_DEP_1) | instskip(NEXT) | instid1(VALU_DEP_1)
	v_alignbit_b32 v25, v26, v25, 31
	v_lshlrev_b32_e32 v25, 1, v25
	s_waitcnt lgkmcnt(0)
	v_add_nc_u16 v26, v27, 1
	ds_store_b16 v24, v26
	ds_load_u16 v29, v25
	v_lshlrev_b32_e32 v26, s11, v9
	s_delay_alu instid0(VALU_DEP_1) | instskip(NEXT) | instid1(VALU_DEP_1)
	v_lshrrev_b32_e32 v28, 20, v26
	v_and_or_b32 v28, 0x700, v28, v0
	s_delay_alu instid0(VALU_DEP_1) | instskip(SKIP_2) | instid1(VALU_DEP_2)
	v_alignbit_b32 v26, v28, v26, 31
	s_waitcnt lgkmcnt(0)
	v_add_nc_u16 v28, v29, 1
	v_lshlrev_b32_e32 v26, 1, v26
	ds_store_b16 v25, v28
	ds_load_u16 v31, v26
	v_lshlrev_b32_e32 v28, s11, v10
	s_delay_alu instid0(VALU_DEP_1) | instskip(NEXT) | instid1(VALU_DEP_1)
	v_lshrrev_b32_e32 v30, 20, v28
	v_and_or_b32 v30, 0x700, v30, v0
	s_delay_alu instid0(VALU_DEP_1) | instskip(SKIP_2) | instid1(VALU_DEP_2)
	v_alignbit_b32 v28, v30, v28, 31
	s_waitcnt lgkmcnt(0)
	v_add_nc_u16 v30, v31, 1
	v_lshlrev_b32_e32 v28, 1, v28
	;; [unrolled: 11-line block ×9, first 2 shown]
	v_lshlrev_b32_e32 v43, s11, v18
	ds_store_b16 v41, v46
	ds_load_u16 v48, v44
	v_lshrrev_b32_e32 v46, 20, v43
	s_delay_alu instid0(VALU_DEP_1) | instskip(NEXT) | instid1(VALU_DEP_1)
	v_and_or_b32 v46, 0x700, v46, v0
	v_alignbit_b32 v43, v46, v43, 31
	s_delay_alu instid0(VALU_DEP_1)
	v_lshlrev_b32_e32 v47, 1, v43
	s_waitcnt lgkmcnt(0)
	v_add_nc_u16 v46, v48, 1
	ds_store_b16 v44, v46
	ds_load_u16 v43, v47
	v_lshlrev_b32_e32 v46, s11, v19
	s_delay_alu instid0(VALU_DEP_1) | instskip(NEXT) | instid1(VALU_DEP_1)
	v_lshrrev_b32_e32 v49, 20, v46
	v_and_or_b32 v49, 0x700, v49, v0
	s_delay_alu instid0(VALU_DEP_1) | instskip(SKIP_2) | instid1(VALU_DEP_2)
	v_alignbit_b32 v46, v49, v46, 31
	s_waitcnt lgkmcnt(0)
	v_add_nc_u16 v49, v43, 1
	v_lshlrev_b32_e32 v50, 1, v46
	ds_store_b16 v47, v49
	ds_load_u16 v46, v50
	v_lshlrev_b32_e32 v49, s11, v20
	s_delay_alu instid0(VALU_DEP_1) | instskip(NEXT) | instid1(VALU_DEP_1)
	v_lshrrev_b32_e32 v51, 20, v49
	v_and_or_b32 v51, 0x700, v51, v0
	s_delay_alu instid0(VALU_DEP_1) | instskip(SKIP_2) | instid1(VALU_DEP_2)
	v_alignbit_b32 v49, v51, v49, 31
	s_waitcnt lgkmcnt(0)
	v_add_nc_u16 v51, v46, 1
	v_lshlrev_b32_e32 v52, 1, v49
	ds_store_b16 v50, v51
	ds_load_u16 v49, v52
	v_lshlrev_b32_e32 v51, s11, v21
	s_delay_alu instid0(VALU_DEP_1) | instskip(NEXT) | instid1(VALU_DEP_1)
	v_lshrrev_b32_e32 v53, 20, v51
	v_and_or_b32 v53, 0x700, v53, v0
	s_delay_alu instid0(VALU_DEP_1) | instskip(SKIP_2) | instid1(VALU_DEP_2)
	v_alignbit_b32 v51, v53, v51, 31
	s_waitcnt lgkmcnt(0)
	v_add_nc_u16 v53, v49, 1
	v_lshlrev_b32_e32 v54, 1, v51
	ds_store_b16 v52, v53
	ds_load_u16 v51, v54
	v_lshlrev_b32_e32 v53, s11, v22
	s_delay_alu instid0(VALU_DEP_1) | instskip(NEXT) | instid1(VALU_DEP_1)
	v_lshrrev_b32_e32 v55, 20, v53
	v_and_or_b32 v55, 0x700, v55, v0
	s_delay_alu instid0(VALU_DEP_1) | instskip(SKIP_2) | instid1(VALU_DEP_2)
	v_alignbit_b32 v53, v55, v53, 31
	s_waitcnt lgkmcnt(0)
	v_add_nc_u16 v56, v51, 1
	v_lshlrev_b32_e32 v55, 1, v53
	ds_store_b16 v54, v56
	ds_load_u16 v53, v55
	s_waitcnt lgkmcnt(0)
	v_add_nc_u16 v56, v53, 1
	ds_store_b16 v55, v56
	s_waitcnt lgkmcnt(0)
	s_barrier
	buffer_gl0_inv
	ds_load_2addr_b32 v[56:57], v3 offset1:1
	ds_load_2addr_b32 v[58:59], v3 offset0:2 offset1:3
	ds_load_2addr_b32 v[60:61], v3 offset0:4 offset1:5
	;; [unrolled: 1-line block ×3, first 2 shown]
	s_waitcnt lgkmcnt(3)
	v_add_nc_u32_e32 v56, v57, v56
	s_waitcnt lgkmcnt(2)
	s_delay_alu instid0(VALU_DEP_1) | instskip(SKIP_1) | instid1(VALU_DEP_1)
	v_add3_u32 v56, v56, v58, v59
	s_waitcnt lgkmcnt(1)
	v_add3_u32 v56, v56, v60, v61
	s_waitcnt lgkmcnt(0)
	s_delay_alu instid0(VALU_DEP_1) | instskip(NEXT) | instid1(VALU_DEP_1)
	v_add3_u32 v56, v56, v62, v63
	v_mov_b32_dpp v57, v56 row_shr:1 row_mask:0xf bank_mask:0xf
	s_delay_alu instid0(VALU_DEP_1) | instskip(NEXT) | instid1(VALU_DEP_1)
	v_cndmask_b32_e64 v57, v57, 0, s2
	v_add_nc_u32_e32 v56, v57, v56
	s_delay_alu instid0(VALU_DEP_1) | instskip(NEXT) | instid1(VALU_DEP_1)
	v_mov_b32_dpp v57, v56 row_shr:2 row_mask:0xf bank_mask:0xf
	v_cndmask_b32_e64 v57, 0, v57, s3
	s_delay_alu instid0(VALU_DEP_1) | instskip(NEXT) | instid1(VALU_DEP_1)
	v_add_nc_u32_e32 v56, v56, v57
	v_mov_b32_dpp v57, v56 row_shr:4 row_mask:0xf bank_mask:0xf
	s_delay_alu instid0(VALU_DEP_1) | instskip(NEXT) | instid1(VALU_DEP_1)
	v_cndmask_b32_e64 v57, 0, v57, s4
	v_add_nc_u32_e32 v56, v56, v57
	s_delay_alu instid0(VALU_DEP_1) | instskip(NEXT) | instid1(VALU_DEP_1)
	v_mov_b32_dpp v57, v56 row_shr:8 row_mask:0xf bank_mask:0xf
	v_cndmask_b32_e64 v57, 0, v57, s5
	s_delay_alu instid0(VALU_DEP_1) | instskip(SKIP_3) | instid1(VALU_DEP_1)
	v_add_nc_u32_e32 v56, v56, v57
	ds_swizzle_b32 v57, v56 offset:swizzle(BROADCAST,32,15)
	s_waitcnt lgkmcnt(0)
	v_cndmask_b32_e64 v57, v57, 0, s6
	v_add_nc_u32_e32 v56, v56, v57
	s_and_saveexec_b32 s11, s7
	s_cbranch_execz .LBB24_8
; %bb.7:                                ;   in Loop: Header=BB24_4 Depth=2
	ds_store_b32 v5, v56 offset:8192
.LBB24_8:                               ;   in Loop: Header=BB24_4 Depth=2
	s_or_b32 exec_lo, exec_lo, s11
	s_waitcnt lgkmcnt(0)
	s_barrier
	buffer_gl0_inv
	s_and_saveexec_b32 s11, vcc_lo
	s_cbranch_execz .LBB24_10
; %bb.9:                                ;   in Loop: Header=BB24_4 Depth=2
	ds_load_b32 v57, v4 offset:8192
	s_waitcnt lgkmcnt(0)
	v_mov_b32_dpp v58, v57 row_shr:1 row_mask:0xf bank_mask:0xf
	s_delay_alu instid0(VALU_DEP_1) | instskip(NEXT) | instid1(VALU_DEP_1)
	v_cndmask_b32_e64 v58, v58, 0, s8
	v_add_nc_u32_e32 v57, v58, v57
	s_delay_alu instid0(VALU_DEP_1) | instskip(NEXT) | instid1(VALU_DEP_1)
	v_mov_b32_dpp v58, v57 row_shr:2 row_mask:0xf bank_mask:0xf
	v_cndmask_b32_e64 v58, 0, v58, s9
	s_delay_alu instid0(VALU_DEP_1) | instskip(NEXT) | instid1(VALU_DEP_1)
	v_add_nc_u32_e32 v57, v57, v58
	v_mov_b32_dpp v58, v57 row_shr:4 row_mask:0xf bank_mask:0xf
	s_delay_alu instid0(VALU_DEP_1) | instskip(NEXT) | instid1(VALU_DEP_1)
	v_cndmask_b32_e64 v58, 0, v58, s10
	v_add_nc_u32_e32 v57, v57, v58
	ds_store_b32 v4, v57 offset:8192
.LBB24_10:                              ;   in Loop: Header=BB24_4 Depth=2
	s_or_b32 exec_lo, exec_lo, s11
	v_mov_b32_e32 v57, 0
	s_waitcnt lgkmcnt(0)
	s_barrier
	buffer_gl0_inv
	s_and_saveexec_b32 s11, s0
	s_cbranch_execz .LBB24_3
; %bb.11:                               ;   in Loop: Header=BB24_4 Depth=2
	ds_load_b32 v57, v5 offset:8188
	s_branch .LBB24_3
.LBB24_12:
	v_and_b32_e32 v0, 0xffff, v27
	v_and_b32_e32 v10, 0xffff, v29
	ds_load_u16 v2, v55
	ds_load_u16 v3, v54
	;; [unrolled: 1-line block ×16, first 2 shown]
	v_and_b32_e32 v14, 0xffff, v31
	v_and_b32_e32 v15, 0xffff, v33
	;; [unrolled: 1-line block ×14, first 2 shown]
	s_waitcnt lgkmcnt(15)
	v_add_nc_u32_e32 v5, v2, v4
	s_waitcnt lgkmcnt(14)
	v_add_nc_u32_e32 v4, v3, v30
	;; [unrolled: 2-line block ×9, first 2 shown]
	v_lshlrev_b32_e32 v0, 2, v1
	v_add_nc_u32_e32 v13, v22, v13
	v_add_nc_u32_e32 v12, v23, v12
	;; [unrolled: 1-line block ×7, first 2 shown]
	s_add_u32 s0, s18, s12
	s_addc_u32 s1, s19, s13
	s_clause 0x3
	global_store_b128 v0, v[14:17], s[0:1]
	global_store_b128 v0, v[10:13], s[0:1] offset:16
	global_store_b128 v0, v[6:9], s[0:1] offset:32
	;; [unrolled: 1-line block ×3, first 2 shown]
	s_nop 0
	s_sendmsg sendmsg(MSG_DEALLOC_VGPRS)
	s_endpgm
	.section	.rodata,"a",@progbits
	.p2align	6, 0x0
	.amdhsa_kernel _Z11rank_kernelIiLj4ELb0EL18RadixRankAlgorithm0ELj256ELj16ELj10EEvPKT_Pi
		.amdhsa_group_segment_fixed_size 8224
		.amdhsa_private_segment_fixed_size 0
		.amdhsa_kernarg_size 16
		.amdhsa_user_sgpr_count 15
		.amdhsa_user_sgpr_dispatch_ptr 0
		.amdhsa_user_sgpr_queue_ptr 0
		.amdhsa_user_sgpr_kernarg_segment_ptr 1
		.amdhsa_user_sgpr_dispatch_id 0
		.amdhsa_user_sgpr_private_segment_size 0
		.amdhsa_wavefront_size32 1
		.amdhsa_uses_dynamic_stack 0
		.amdhsa_enable_private_segment 0
		.amdhsa_system_sgpr_workgroup_id_x 1
		.amdhsa_system_sgpr_workgroup_id_y 0
		.amdhsa_system_sgpr_workgroup_id_z 0
		.amdhsa_system_sgpr_workgroup_info 0
		.amdhsa_system_vgpr_workitem_id 0
		.amdhsa_next_free_vgpr 64
		.amdhsa_next_free_sgpr 22
		.amdhsa_reserve_vcc 1
		.amdhsa_float_round_mode_32 0
		.amdhsa_float_round_mode_16_64 0
		.amdhsa_float_denorm_mode_32 3
		.amdhsa_float_denorm_mode_16_64 3
		.amdhsa_dx10_clamp 1
		.amdhsa_ieee_mode 1
		.amdhsa_fp16_overflow 0
		.amdhsa_workgroup_processor_mode 1
		.amdhsa_memory_ordered 1
		.amdhsa_forward_progress 0
		.amdhsa_shared_vgpr_count 0
		.amdhsa_exception_fp_ieee_invalid_op 0
		.amdhsa_exception_fp_denorm_src 0
		.amdhsa_exception_fp_ieee_div_zero 0
		.amdhsa_exception_fp_ieee_overflow 0
		.amdhsa_exception_fp_ieee_underflow 0
		.amdhsa_exception_fp_ieee_inexact 0
		.amdhsa_exception_int_div_zero 0
	.end_amdhsa_kernel
	.section	.text._Z11rank_kernelIiLj4ELb0EL18RadixRankAlgorithm0ELj256ELj16ELj10EEvPKT_Pi,"axG",@progbits,_Z11rank_kernelIiLj4ELb0EL18RadixRankAlgorithm0ELj256ELj16ELj10EEvPKT_Pi,comdat
.Lfunc_end24:
	.size	_Z11rank_kernelIiLj4ELb0EL18RadixRankAlgorithm0ELj256ELj16ELj10EEvPKT_Pi, .Lfunc_end24-_Z11rank_kernelIiLj4ELb0EL18RadixRankAlgorithm0ELj256ELj16ELj10EEvPKT_Pi
                                        ; -- End function
	.section	.AMDGPU.csdata,"",@progbits
; Kernel info:
; codeLenInByte = 2604
; NumSgprs: 24
; NumVgprs: 64
; ScratchSize: 0
; MemoryBound: 0
; FloatMode: 240
; IeeeMode: 1
; LDSByteSize: 8224 bytes/workgroup (compile time only)
; SGPRBlocks: 2
; VGPRBlocks: 7
; NumSGPRsForWavesPerEU: 24
; NumVGPRsForWavesPerEU: 64
; Occupancy: 16
; WaveLimiterHint : 0
; COMPUTE_PGM_RSRC2:SCRATCH_EN: 0
; COMPUTE_PGM_RSRC2:USER_SGPR: 15
; COMPUTE_PGM_RSRC2:TRAP_HANDLER: 0
; COMPUTE_PGM_RSRC2:TGID_X_EN: 1
; COMPUTE_PGM_RSRC2:TGID_Y_EN: 0
; COMPUTE_PGM_RSRC2:TGID_Z_EN: 0
; COMPUTE_PGM_RSRC2:TIDIG_COMP_CNT: 0
	.section	.text._Z11rank_kernelIiLj4ELb0EL18RadixRankAlgorithm1ELj256ELj16ELj10EEvPKT_Pi,"axG",@progbits,_Z11rank_kernelIiLj4ELb0EL18RadixRankAlgorithm1ELj256ELj16ELj10EEvPKT_Pi,comdat
	.protected	_Z11rank_kernelIiLj4ELb0EL18RadixRankAlgorithm1ELj256ELj16ELj10EEvPKT_Pi ; -- Begin function _Z11rank_kernelIiLj4ELb0EL18RadixRankAlgorithm1ELj256ELj16ELj10EEvPKT_Pi
	.globl	_Z11rank_kernelIiLj4ELb0EL18RadixRankAlgorithm1ELj256ELj16ELj10EEvPKT_Pi
	.p2align	8
	.type	_Z11rank_kernelIiLj4ELb0EL18RadixRankAlgorithm1ELj256ELj16ELj10EEvPKT_Pi,@function
_Z11rank_kernelIiLj4ELb0EL18RadixRankAlgorithm1ELj256ELj16ELj10EEvPKT_Pi: ; @_Z11rank_kernelIiLj4ELb0EL18RadixRankAlgorithm1ELj256ELj16ELj10EEvPKT_Pi
; %bb.0:
	s_load_b128 s[16:19], s[0:1], 0x0
	s_mov_b32 s21, 0
	s_lshl_b32 s20, s15, 12
	v_dual_mov_b32 v10, 0 :: v_dual_lshlrev_b32 v9, 6, v0
	s_lshl_b64 s[12:13], s[20:21], 2
	v_mbcnt_lo_u32_b32 v13, -1, 0
	v_or_b32_e32 v16, 31, v0
	v_lshrrev_b32_e32 v18, 3, v0
	v_lshlrev_b32_e32 v11, 5, v0
	v_cmp_gt_u32_e32 vcc_lo, 8, v0
	v_add_nc_u32_e32 v17, -1, v13
	v_and_b32_e32 v14, 15, v13
	v_and_b32_e32 v15, 16, v13
	;; [unrolled: 1-line block ×3, first 2 shown]
	v_lshlrev_b32_e32 v12, 2, v0
	v_cmp_gt_i32_e64 s8, 0, v17
	v_cmp_eq_u32_e64 s2, 0, v14
	v_cmp_lt_u32_e64 s3, 1, v14
	v_cmp_lt_u32_e64 s4, 3, v14
	s_waitcnt lgkmcnt(0)
	s_add_u32 s0, s16, s12
	s_addc_u32 s1, s17, s13
	v_cmp_lt_u32_e64 s5, 7, v14
	s_clause 0x3
	global_load_b128 v[1:4], v9, s[0:1]
	global_load_b128 v[5:8], v9, s[0:1] offset:16
	global_load_b128 v[23:26], v9, s[0:1] offset:32
	;; [unrolled: 1-line block ×3, first 2 shown]
	v_cndmask_b32_e64 v14, v17, v13, s8
	v_lshlrev_b32_e32 v9, 4, v0
	v_cmp_lt_u32_e64 s0, 31, v0
	v_cmp_eq_u32_e64 s1, 0, v13
	v_cmp_eq_u32_e64 s6, 0, v15
	;; [unrolled: 1-line block ×3, first 2 shown]
	v_and_b32_e32 v13, 28, v18
	v_cmp_eq_u32_e64 s8, 0, v19
	v_cmp_lt_u32_e64 s9, 1, v19
	v_cmp_lt_u32_e64 s10, 3, v19
	v_lshlrev_b32_e32 v14, 2, v14
	v_or_b32_e32 v31, 0xffffff00, v0
	s_waitcnt vmcnt(3)
	v_xor_b32_e32 v15, 0x80000000, v1
	v_xor_b32_e32 v16, 0x80000000, v2
	v_xor_b32_e32 v17, 0x80000000, v3
	v_xor_b32_e32 v18, 0x80000000, v4
	s_waitcnt vmcnt(2)
	v_xor_b32_e32 v19, 0x80000000, v5
	v_xor_b32_e32 v20, 0x80000000, v6
	v_xor_b32_e32 v21, 0x80000000, v7
	v_xor_b32_e32 v22, 0x80000000, v8
	;; [unrolled: 5-line block ×4, first 2 shown]
	s_branch .LBB25_2
.LBB25_1:                               ;   in Loop: Header=BB25_2 Depth=1
	s_add_i32 s21, s21, 1
	s_delay_alu instid0(SALU_CYCLE_1)
	s_cmp_eq_u32 s21, 10
	s_cbranch_scc1 .LBB25_12
.LBB25_2:                               ; =>This Loop Header: Depth=1
                                        ;     Child Loop BB25_4 Depth 2
                                        ;       Child Loop BB25_5 Depth 3
	s_mov_b32 s14, 0
	s_branch .LBB25_4
.LBB25_3:                               ;   in Loop: Header=BB25_4 Depth=2
	s_or_b32 exec_lo, exec_lo, s11
	s_waitcnt lgkmcnt(0)
	v_add_nc_u32_e32 v2, v64, v2
	ds_load_b32 v65, v10 offset:8220
	s_add_i32 s11, s14, 4
	s_cmp_lt_u32 s14, 28
	s_mov_b32 s14, s11
	ds_bpermute_b32 v2, v14, v2
	s_waitcnt lgkmcnt(0)
	v_cndmask_b32_e64 v2, v2, v64, s1
	s_delay_alu instid0(VALU_DEP_1) | instskip(NEXT) | instid1(VALU_DEP_1)
	v_lshl_add_u32 v2, v65, 16, v2
	v_add_nc_u32_e32 v7, v2, v7
	s_delay_alu instid0(VALU_DEP_1) | instskip(NEXT) | instid1(VALU_DEP_1)
	v_add_nc_u32_e32 v8, v7, v8
	v_add_nc_u32_e32 v5, v8, v5
	s_delay_alu instid0(VALU_DEP_1) | instskip(NEXT) | instid1(VALU_DEP_1)
	v_add_nc_u32_e32 v6, v5, v6
	;; [unrolled: 3-line block ×3, first 2 shown]
	v_add_nc_u32_e32 v1, v4, v1
	ds_store_2addr_b32 v11, v2, v7 offset1:1
	ds_store_2addr_b32 v11, v8, v5 offset0:2 offset1:3
	ds_store_2addr_b32 v11, v6, v3 offset0:4 offset1:5
	;; [unrolled: 1-line block ×3, first 2 shown]
	s_waitcnt lgkmcnt(0)
	s_barrier
	buffer_gl0_inv
	s_cbranch_scc0 .LBB25_1
.LBB25_4:                               ;   Parent Loop BB25_2 Depth=1
                                        ; =>  This Loop Header: Depth=2
                                        ;       Child Loop BB25_5 Depth 3
	v_dual_mov_b32 v1, v31 :: v_dual_mov_b32 v2, v12
	s_mov_b32 s15, 0
.LBB25_5:                               ;   Parent Loop BB25_2 Depth=1
                                        ;     Parent Loop BB25_4 Depth=2
                                        ; =>    This Inner Loop Header: Depth=3
	s_delay_alu instid0(VALU_DEP_1) | instskip(SKIP_3) | instid1(VALU_DEP_1)
	v_add_nc_u32_e32 v1, 0x100, v1
	ds_store_b32 v2, v10
	v_add_nc_u32_e32 v2, 0x400, v2
	v_cmp_lt_u32_e64 s11, 0x6ff, v1
	s_or_b32 s15, s11, s15
	s_delay_alu instid0(SALU_CYCLE_1)
	s_and_not1_b32 exec_lo, exec_lo, s15
	s_cbranch_execnz .LBB25_5
; %bb.6:                                ;   in Loop: Header=BB25_4 Depth=2
	s_or_b32 exec_lo, exec_lo, s15
	s_sub_i32 s11, 28, s14
	s_delay_alu instid0(SALU_CYCLE_1) | instskip(NEXT) | instid1(VALU_DEP_1)
	v_lshlrev_b32_e32 v1, s11, v15
	v_lshrrev_b32_e32 v2, 20, v1
	s_delay_alu instid0(VALU_DEP_1) | instskip(NEXT) | instid1(VALU_DEP_1)
	v_and_or_b32 v2, 0x700, v2, v0
	v_alignbit_b32 v1, v2, v1, 31
	s_delay_alu instid0(VALU_DEP_1) | instskip(SKIP_3) | instid1(VALU_DEP_1)
	v_lshlrev_b32_e32 v32, 1, v1
	v_lshlrev_b32_e32 v1, s11, v16
	ds_load_u16 v35, v32
	v_lshrrev_b32_e32 v2, 20, v1
	v_and_or_b32 v2, 0x700, v2, v0
	s_delay_alu instid0(VALU_DEP_1) | instskip(NEXT) | instid1(VALU_DEP_1)
	v_alignbit_b32 v1, v2, v1, 31
	v_lshlrev_b32_e32 v33, 1, v1
	v_lshlrev_b32_e32 v1, s11, v17
	s_waitcnt lgkmcnt(0)
	v_add_nc_u16 v2, v35, 1
	ds_store_b16 v32, v2
	ds_load_u16 v37, v33
	v_lshrrev_b32_e32 v2, 20, v1
	s_delay_alu instid0(VALU_DEP_1) | instskip(NEXT) | instid1(VALU_DEP_1)
	v_and_or_b32 v2, 0x700, v2, v0
	v_alignbit_b32 v1, v2, v1, 31
	s_delay_alu instid0(VALU_DEP_1)
	v_lshlrev_b32_e32 v34, 1, v1
	v_lshlrev_b32_e32 v1, s11, v18
	s_waitcnt lgkmcnt(0)
	v_add_nc_u16 v2, v37, 1
	ds_store_b16 v33, v2
	ds_load_u16 v39, v34
	v_lshrrev_b32_e32 v2, 20, v1
	s_delay_alu instid0(VALU_DEP_1) | instskip(NEXT) | instid1(VALU_DEP_1)
	v_and_or_b32 v2, 0x700, v2, v0
	v_alignbit_b32 v1, v2, v1, 31
	s_delay_alu instid0(VALU_DEP_1)
	v_lshlrev_b32_e32 v36, 1, v1
	v_lshlrev_b32_e32 v1, s11, v19
	s_waitcnt lgkmcnt(0)
	v_add_nc_u16 v2, v39, 1
	ds_store_b16 v34, v2
	ds_load_u16 v41, v36
	v_lshrrev_b32_e32 v2, 20, v1
	s_delay_alu instid0(VALU_DEP_1) | instskip(NEXT) | instid1(VALU_DEP_1)
	v_and_or_b32 v2, 0x700, v2, v0
	v_alignbit_b32 v1, v2, v1, 31
	s_delay_alu instid0(VALU_DEP_1)
	v_lshlrev_b32_e32 v38, 1, v1
	v_lshlrev_b32_e32 v1, s11, v20
	s_waitcnt lgkmcnt(0)
	v_add_nc_u16 v2, v41, 1
	ds_store_b16 v36, v2
	ds_load_u16 v43, v38
	v_lshrrev_b32_e32 v2, 20, v1
	s_delay_alu instid0(VALU_DEP_1) | instskip(NEXT) | instid1(VALU_DEP_1)
	v_and_or_b32 v2, 0x700, v2, v0
	v_alignbit_b32 v1, v2, v1, 31
	s_delay_alu instid0(VALU_DEP_1)
	v_lshlrev_b32_e32 v40, 1, v1
	v_lshlrev_b32_e32 v1, s11, v21
	s_waitcnt lgkmcnt(0)
	v_add_nc_u16 v2, v43, 1
	ds_store_b16 v38, v2
	ds_load_u16 v45, v40
	v_lshrrev_b32_e32 v2, 20, v1
	s_delay_alu instid0(VALU_DEP_1) | instskip(NEXT) | instid1(VALU_DEP_1)
	v_and_or_b32 v2, 0x700, v2, v0
	v_alignbit_b32 v1, v2, v1, 31
	s_delay_alu instid0(VALU_DEP_1)
	v_lshlrev_b32_e32 v42, 1, v1
	v_lshlrev_b32_e32 v1, s11, v22
	s_waitcnt lgkmcnt(0)
	v_add_nc_u16 v2, v45, 1
	ds_store_b16 v40, v2
	ds_load_u16 v46, v42
	v_lshrrev_b32_e32 v2, 20, v1
	s_delay_alu instid0(VALU_DEP_1) | instskip(NEXT) | instid1(VALU_DEP_1)
	v_and_or_b32 v2, 0x700, v2, v0
	v_alignbit_b32 v1, v2, v1, 31
	s_delay_alu instid0(VALU_DEP_1)
	v_lshlrev_b32_e32 v44, 1, v1
	v_lshlrev_b32_e32 v1, s11, v23
	s_waitcnt lgkmcnt(0)
	v_add_nc_u16 v2, v46, 1
	ds_store_b16 v42, v2
	ds_load_u16 v48, v44
	v_lshrrev_b32_e32 v2, 20, v1
	s_delay_alu instid0(VALU_DEP_1) | instskip(NEXT) | instid1(VALU_DEP_1)
	v_and_or_b32 v2, 0x700, v2, v0
	v_alignbit_b32 v1, v2, v1, 31
	s_delay_alu instid0(VALU_DEP_1)
	v_lshlrev_b32_e32 v47, 1, v1
	v_lshlrev_b32_e32 v1, s11, v24
	s_waitcnt lgkmcnt(0)
	v_add_nc_u16 v2, v48, 1
	ds_store_b16 v44, v2
	ds_load_u16 v50, v47
	v_lshrrev_b32_e32 v2, 20, v1
	s_delay_alu instid0(VALU_DEP_1) | instskip(NEXT) | instid1(VALU_DEP_1)
	v_and_or_b32 v2, 0x700, v2, v0
	v_alignbit_b32 v1, v2, v1, 31
	s_delay_alu instid0(VALU_DEP_1)
	v_lshlrev_b32_e32 v49, 1, v1
	v_lshlrev_b32_e32 v1, s11, v25
	s_waitcnt lgkmcnt(0)
	v_add_nc_u16 v2, v50, 1
	ds_store_b16 v47, v2
	ds_load_u16 v53, v49
	v_lshrrev_b32_e32 v2, 20, v1
	s_delay_alu instid0(VALU_DEP_1) | instskip(NEXT) | instid1(VALU_DEP_1)
	v_and_or_b32 v2, 0x700, v2, v0
	v_alignbit_b32 v1, v2, v1, 31
	s_delay_alu instid0(VALU_DEP_1)
	v_lshlrev_b32_e32 v52, 1, v1
	v_lshlrev_b32_e32 v1, s11, v26
	s_waitcnt lgkmcnt(0)
	v_add_nc_u16 v2, v53, 1
	ds_store_b16 v49, v2
	ds_load_u16 v56, v52
	v_lshrrev_b32_e32 v2, 20, v1
	s_delay_alu instid0(VALU_DEP_1) | instskip(NEXT) | instid1(VALU_DEP_1)
	v_and_or_b32 v2, 0x700, v2, v0
	v_alignbit_b32 v1, v2, v1, 31
	s_delay_alu instid0(VALU_DEP_1)
	v_lshlrev_b32_e32 v55, 1, v1
	v_lshlrev_b32_e32 v1, s11, v27
	s_waitcnt lgkmcnt(0)
	v_add_nc_u16 v2, v56, 1
	ds_store_b16 v52, v2
	ds_load_u16 v51, v55
	v_lshrrev_b32_e32 v2, 20, v1
	s_delay_alu instid0(VALU_DEP_1) | instskip(NEXT) | instid1(VALU_DEP_1)
	v_and_or_b32 v2, 0x700, v2, v0
	v_alignbit_b32 v1, v2, v1, 31
	s_delay_alu instid0(VALU_DEP_1)
	v_lshlrev_b32_e32 v58, 1, v1
	v_lshlrev_b32_e32 v1, s11, v28
	s_waitcnt lgkmcnt(0)
	v_add_nc_u16 v2, v51, 1
	ds_store_b16 v55, v2
	ds_load_u16 v54, v58
	v_lshrrev_b32_e32 v2, 20, v1
	s_delay_alu instid0(VALU_DEP_1) | instskip(NEXT) | instid1(VALU_DEP_1)
	v_and_or_b32 v2, 0x700, v2, v0
	v_alignbit_b32 v1, v2, v1, 31
	s_delay_alu instid0(VALU_DEP_1)
	v_lshlrev_b32_e32 v60, 1, v1
	v_lshlrev_b32_e32 v1, s11, v29
	s_waitcnt lgkmcnt(0)
	v_add_nc_u16 v2, v54, 1
	ds_store_b16 v58, v2
	ds_load_u16 v57, v60
	v_lshrrev_b32_e32 v2, 20, v1
	s_delay_alu instid0(VALU_DEP_1) | instskip(NEXT) | instid1(VALU_DEP_1)
	v_and_or_b32 v2, 0x700, v2, v0
	v_alignbit_b32 v1, v2, v1, 31
	s_delay_alu instid0(VALU_DEP_1)
	v_lshlrev_b32_e32 v62, 1, v1
	v_lshlrev_b32_e32 v1, s11, v30
	s_waitcnt lgkmcnt(0)
	v_add_nc_u16 v2, v57, 1
	ds_store_b16 v60, v2
	ds_load_u16 v59, v62
	v_lshrrev_b32_e32 v2, 20, v1
	s_delay_alu instid0(VALU_DEP_1) | instskip(NEXT) | instid1(VALU_DEP_1)
	v_and_or_b32 v2, 0x700, v2, v0
	v_alignbit_b32 v1, v2, v1, 31
	s_delay_alu instid0(VALU_DEP_1)
	v_lshlrev_b32_e32 v63, 1, v1
	s_waitcnt lgkmcnt(0)
	v_add_nc_u16 v2, v59, 1
	ds_store_b16 v62, v2
	ds_load_u16 v61, v63
	s_waitcnt lgkmcnt(0)
	v_add_nc_u16 v1, v61, 1
	ds_store_b16 v63, v1
	s_waitcnt lgkmcnt(0)
	s_barrier
	buffer_gl0_inv
	ds_load_2addr_b32 v[7:8], v11 offset1:1
	ds_load_2addr_b32 v[5:6], v11 offset0:2 offset1:3
	ds_load_2addr_b32 v[3:4], v11 offset0:4 offset1:5
	;; [unrolled: 1-line block ×3, first 2 shown]
	s_waitcnt lgkmcnt(3)
	v_add_nc_u32_e32 v64, v8, v7
	s_waitcnt lgkmcnt(2)
	s_delay_alu instid0(VALU_DEP_1) | instskip(SKIP_1) | instid1(VALU_DEP_1)
	v_add3_u32 v64, v64, v5, v6
	s_waitcnt lgkmcnt(1)
	v_add3_u32 v64, v64, v3, v4
	s_waitcnt lgkmcnt(0)
	s_delay_alu instid0(VALU_DEP_1) | instskip(NEXT) | instid1(VALU_DEP_1)
	v_add3_u32 v2, v64, v1, v2
	v_mov_b32_dpp v64, v2 row_shr:1 row_mask:0xf bank_mask:0xf
	s_delay_alu instid0(VALU_DEP_1) | instskip(NEXT) | instid1(VALU_DEP_1)
	v_cndmask_b32_e64 v64, v64, 0, s2
	v_add_nc_u32_e32 v2, v64, v2
	s_delay_alu instid0(VALU_DEP_1) | instskip(NEXT) | instid1(VALU_DEP_1)
	v_mov_b32_dpp v64, v2 row_shr:2 row_mask:0xf bank_mask:0xf
	v_cndmask_b32_e64 v64, 0, v64, s3
	s_delay_alu instid0(VALU_DEP_1) | instskip(NEXT) | instid1(VALU_DEP_1)
	v_add_nc_u32_e32 v2, v2, v64
	v_mov_b32_dpp v64, v2 row_shr:4 row_mask:0xf bank_mask:0xf
	s_delay_alu instid0(VALU_DEP_1) | instskip(NEXT) | instid1(VALU_DEP_1)
	v_cndmask_b32_e64 v64, 0, v64, s4
	v_add_nc_u32_e32 v2, v2, v64
	s_delay_alu instid0(VALU_DEP_1) | instskip(NEXT) | instid1(VALU_DEP_1)
	v_mov_b32_dpp v64, v2 row_shr:8 row_mask:0xf bank_mask:0xf
	v_cndmask_b32_e64 v64, 0, v64, s5
	s_delay_alu instid0(VALU_DEP_1) | instskip(SKIP_3) | instid1(VALU_DEP_1)
	v_add_nc_u32_e32 v2, v2, v64
	ds_swizzle_b32 v64, v2 offset:swizzle(BROADCAST,32,15)
	s_waitcnt lgkmcnt(0)
	v_cndmask_b32_e64 v64, v64, 0, s6
	v_add_nc_u32_e32 v2, v2, v64
	s_and_saveexec_b32 s11, s7
	s_cbranch_execz .LBB25_8
; %bb.7:                                ;   in Loop: Header=BB25_4 Depth=2
	ds_store_b32 v13, v2 offset:8192
.LBB25_8:                               ;   in Loop: Header=BB25_4 Depth=2
	s_or_b32 exec_lo, exec_lo, s11
	s_waitcnt lgkmcnt(0)
	s_barrier
	buffer_gl0_inv
	s_and_saveexec_b32 s11, vcc_lo
	s_cbranch_execz .LBB25_10
; %bb.9:                                ;   in Loop: Header=BB25_4 Depth=2
	ds_load_b32 v64, v12 offset:8192
	s_waitcnt lgkmcnt(0)
	v_mov_b32_dpp v65, v64 row_shr:1 row_mask:0xf bank_mask:0xf
	s_delay_alu instid0(VALU_DEP_1) | instskip(NEXT) | instid1(VALU_DEP_1)
	v_cndmask_b32_e64 v65, v65, 0, s8
	v_add_nc_u32_e32 v64, v65, v64
	s_delay_alu instid0(VALU_DEP_1) | instskip(NEXT) | instid1(VALU_DEP_1)
	v_mov_b32_dpp v65, v64 row_shr:2 row_mask:0xf bank_mask:0xf
	v_cndmask_b32_e64 v65, 0, v65, s9
	s_delay_alu instid0(VALU_DEP_1) | instskip(NEXT) | instid1(VALU_DEP_1)
	v_add_nc_u32_e32 v64, v64, v65
	v_mov_b32_dpp v65, v64 row_shr:4 row_mask:0xf bank_mask:0xf
	s_delay_alu instid0(VALU_DEP_1) | instskip(NEXT) | instid1(VALU_DEP_1)
	v_cndmask_b32_e64 v65, 0, v65, s10
	v_add_nc_u32_e32 v64, v64, v65
	ds_store_b32 v12, v64 offset:8192
.LBB25_10:                              ;   in Loop: Header=BB25_4 Depth=2
	s_or_b32 exec_lo, exec_lo, s11
	v_mov_b32_e32 v64, 0
	s_waitcnt lgkmcnt(0)
	s_barrier
	buffer_gl0_inv
	s_and_saveexec_b32 s11, s0
	s_cbranch_execz .LBB25_3
; %bb.11:                               ;   in Loop: Header=BB25_4 Depth=2
	ds_load_b32 v64, v13 offset:8188
	s_branch .LBB25_3
.LBB25_12:
	ds_load_u16 v0, v63
	ds_load_u16 v1, v62
	;; [unrolled: 1-line block ×16, first 2 shown]
	v_and_b32_e32 v8, 0xffff, v35
	v_and_b32_e32 v13, 0xffff, v37
	;; [unrolled: 1-line block ×16, first 2 shown]
	s_waitcnt lgkmcnt(15)
	v_add_nc_u32_e32 v3, v0, v2
	s_waitcnt lgkmcnt(12)
	v_add_nc_u32_e32 v0, v16, v32
	;; [unrolled: 2-line block ×6, first 2 shown]
	v_lshlrev_b32_e32 v8, 2, v9
	v_add_nc_u32_e32 v12, v22, v12
	v_add_nc_u32_e32 v11, v23, v11
	;; [unrolled: 1-line block ×10, first 2 shown]
	s_add_u32 s0, s18, s12
	s_addc_u32 s1, s19, s13
	s_clause 0x3
	global_store_b128 v8, v[13:16], s[0:1]
	global_store_b128 v8, v[9:12], s[0:1] offset:16
	global_store_b128 v8, v[4:7], s[0:1] offset:32
	;; [unrolled: 1-line block ×3, first 2 shown]
	s_nop 0
	s_sendmsg sendmsg(MSG_DEALLOC_VGPRS)
	s_endpgm
	.section	.rodata,"a",@progbits
	.p2align	6, 0x0
	.amdhsa_kernel _Z11rank_kernelIiLj4ELb0EL18RadixRankAlgorithm1ELj256ELj16ELj10EEvPKT_Pi
		.amdhsa_group_segment_fixed_size 8224
		.amdhsa_private_segment_fixed_size 0
		.amdhsa_kernarg_size 16
		.amdhsa_user_sgpr_count 15
		.amdhsa_user_sgpr_dispatch_ptr 0
		.amdhsa_user_sgpr_queue_ptr 0
		.amdhsa_user_sgpr_kernarg_segment_ptr 1
		.amdhsa_user_sgpr_dispatch_id 0
		.amdhsa_user_sgpr_private_segment_size 0
		.amdhsa_wavefront_size32 1
		.amdhsa_uses_dynamic_stack 0
		.amdhsa_enable_private_segment 0
		.amdhsa_system_sgpr_workgroup_id_x 1
		.amdhsa_system_sgpr_workgroup_id_y 0
		.amdhsa_system_sgpr_workgroup_id_z 0
		.amdhsa_system_sgpr_workgroup_info 0
		.amdhsa_system_vgpr_workitem_id 0
		.amdhsa_next_free_vgpr 66
		.amdhsa_next_free_sgpr 22
		.amdhsa_reserve_vcc 1
		.amdhsa_float_round_mode_32 0
		.amdhsa_float_round_mode_16_64 0
		.amdhsa_float_denorm_mode_32 3
		.amdhsa_float_denorm_mode_16_64 3
		.amdhsa_dx10_clamp 1
		.amdhsa_ieee_mode 1
		.amdhsa_fp16_overflow 0
		.amdhsa_workgroup_processor_mode 1
		.amdhsa_memory_ordered 1
		.amdhsa_forward_progress 0
		.amdhsa_shared_vgpr_count 0
		.amdhsa_exception_fp_ieee_invalid_op 0
		.amdhsa_exception_fp_denorm_src 0
		.amdhsa_exception_fp_ieee_div_zero 0
		.amdhsa_exception_fp_ieee_overflow 0
		.amdhsa_exception_fp_ieee_underflow 0
		.amdhsa_exception_fp_ieee_inexact 0
		.amdhsa_exception_int_div_zero 0
	.end_amdhsa_kernel
	.section	.text._Z11rank_kernelIiLj4ELb0EL18RadixRankAlgorithm1ELj256ELj16ELj10EEvPKT_Pi,"axG",@progbits,_Z11rank_kernelIiLj4ELb0EL18RadixRankAlgorithm1ELj256ELj16ELj10EEvPKT_Pi,comdat
.Lfunc_end25:
	.size	_Z11rank_kernelIiLj4ELb0EL18RadixRankAlgorithm1ELj256ELj16ELj10EEvPKT_Pi, .Lfunc_end25-_Z11rank_kernelIiLj4ELb0EL18RadixRankAlgorithm1ELj256ELj16ELj10EEvPKT_Pi
                                        ; -- End function
	.section	.AMDGPU.csdata,"",@progbits
; Kernel info:
; codeLenInByte = 2552
; NumSgprs: 24
; NumVgprs: 66
; ScratchSize: 0
; MemoryBound: 0
; FloatMode: 240
; IeeeMode: 1
; LDSByteSize: 8224 bytes/workgroup (compile time only)
; SGPRBlocks: 2
; VGPRBlocks: 8
; NumSGPRsForWavesPerEU: 24
; NumVGPRsForWavesPerEU: 66
; Occupancy: 16
; WaveLimiterHint : 0
; COMPUTE_PGM_RSRC2:SCRATCH_EN: 0
; COMPUTE_PGM_RSRC2:USER_SGPR: 15
; COMPUTE_PGM_RSRC2:TRAP_HANDLER: 0
; COMPUTE_PGM_RSRC2:TGID_X_EN: 1
; COMPUTE_PGM_RSRC2:TGID_Y_EN: 0
; COMPUTE_PGM_RSRC2:TGID_Z_EN: 0
; COMPUTE_PGM_RSRC2:TIDIG_COMP_CNT: 0
	.section	.text._Z11rank_kernelIiLj4ELb0EL18RadixRankAlgorithm2ELj256ELj16ELj10EEvPKT_Pi,"axG",@progbits,_Z11rank_kernelIiLj4ELb0EL18RadixRankAlgorithm2ELj256ELj16ELj10EEvPKT_Pi,comdat
	.protected	_Z11rank_kernelIiLj4ELb0EL18RadixRankAlgorithm2ELj256ELj16ELj10EEvPKT_Pi ; -- Begin function _Z11rank_kernelIiLj4ELb0EL18RadixRankAlgorithm2ELj256ELj16ELj10EEvPKT_Pi
	.globl	_Z11rank_kernelIiLj4ELb0EL18RadixRankAlgorithm2ELj256ELj16ELj10EEvPKT_Pi
	.p2align	8
	.type	_Z11rank_kernelIiLj4ELb0EL18RadixRankAlgorithm2ELj256ELj16ELj10EEvPKT_Pi,@function
_Z11rank_kernelIiLj4ELb0EL18RadixRankAlgorithm2ELj256ELj16ELj10EEvPKT_Pi: ; @_Z11rank_kernelIiLj4ELb0EL18RadixRankAlgorithm2ELj256ELj16ELj10EEvPKT_Pi
; %bb.0:
	s_clause 0x1
	s_load_b128 s[16:19], s[0:1], 0x0
	s_load_b32 s8, s[0:1], 0x1c
	v_and_b32_e32 v3, 0x3ff, v0
	s_mov_b32 s13, 0
	s_lshl_b32 s12, s15, 12
	v_mbcnt_lo_u32_b32 v4, -1, 0
	s_lshl_b64 s[14:15], s[12:13], 2
	v_lshlrev_b32_e32 v1, 6, v3
	v_bfe_u32 v5, v0, 10, 10
	v_bfe_u32 v22, v0, 20, 10
	v_add_nc_u32_e32 v25, -1, v4
	v_and_b32_e32 v23, 15, v4
	v_cmp_eq_u32_e32 vcc_lo, 0, v4
	v_and_b32_e32 v26, 7, v4
	v_lshlrev_b32_e32 v0, 4, v3
	v_lshlrev_b32_e32 v2, 2, v3
	v_cmp_lt_u32_e64 s2, 3, v23
	v_cmp_lt_u32_e64 s3, 7, v23
	v_cmp_gt_u32_e64 s5, 8, v3
	v_cmp_lt_u32_e64 s6, 31, v3
	s_waitcnt lgkmcnt(0)
	s_add_u32 s0, s16, s14
	s_addc_u32 s1, s17, s15
	s_lshr_b32 s7, s8, 16
	s_clause 0x3
	global_load_b128 v[6:9], v1, s[0:1]
	global_load_b128 v[10:13], v1, s[0:1] offset:16
	global_load_b128 v[14:17], v1, s[0:1] offset:32
	;; [unrolled: 1-line block ×3, first 2 shown]
	v_mad_u32_u24 v5, v22, s7, v5
	v_cmp_gt_i32_e64 s7, 0, v25
	v_dual_mov_b32 v1, 0 :: v_dual_and_b32 v24, 16, v4
	v_cmp_eq_u32_e64 s0, 0, v23
	v_cmp_lt_u32_e64 s1, 1, v23
	s_delay_alu instid0(VALU_DEP_4)
	v_cndmask_b32_e64 v4, v25, v4, s7
	s_and_b32 s7, s8, 0xffff
	v_cmp_eq_u32_e64 s4, 0, v24
	v_or_b32_e32 v24, 31, v3
	v_cmp_lt_u32_e64 s8, 1, v26
	v_mad_u64_u32 v[22:23], null, v5, s7, v[3:4]
	v_lshrrev_b32_e32 v5, 3, v3
	s_delay_alu instid0(VALU_DEP_4)
	v_cmp_eq_u32_e64 s10, v24, v3
	v_lshlrev_b32_e32 v3, 2, v4
	v_cmp_eq_u32_e64 s7, 0, v26
	v_cmp_lt_u32_e64 s9, 3, v26
	v_and_b32_e32 v4, 28, v5
	v_lshrrev_b32_e32 v5, 5, v22
	s_delay_alu instid0(VALU_DEP_2)
	v_add_nc_u32_e32 v22, -4, v4
	s_waitcnt vmcnt(3)
	v_xor_b32_e32 v6, 0x80000000, v6
	v_xor_b32_e32 v7, 0x80000000, v7
	v_xor_b32_e32 v8, 0x80000000, v8
	v_xor_b32_e32 v9, 0x80000000, v9
	s_waitcnt vmcnt(2)
	v_xor_b32_e32 v10, 0x80000000, v10
	v_xor_b32_e32 v11, 0x80000000, v11
	v_xor_b32_e32 v12, 0x80000000, v12
	v_xor_b32_e32 v13, 0x80000000, v13
	;; [unrolled: 5-line block ×4, first 2 shown]
	s_branch .LBB26_2
.LBB26_1:                               ;   in Loop: Header=BB26_2 Depth=1
	s_add_i32 s13, s13, 1
	s_delay_alu instid0(SALU_CYCLE_1)
	s_cmp_eq_u32 s13, 10
	s_cbranch_scc1 .LBB26_42
.LBB26_2:                               ; =>This Loop Header: Depth=1
                                        ;     Child Loop BB26_4 Depth 2
	s_mov_b32 s16, -4
	s_mov_b32 s17, 28
	s_branch .LBB26_4
.LBB26_3:                               ;   in Loop: Header=BB26_4 Depth=2
	s_or_b32 exec_lo, exec_lo, s11
	s_waitcnt lgkmcnt(0)
	v_add_nc_u32_e32 v70, v71, v70
	s_add_i32 s16, s16, 4
	s_add_i32 s17, s17, -4
	s_cmp_lt_u32 s16, 28
	ds_bpermute_b32 v70, v3, v70
	s_waitcnt lgkmcnt(0)
	v_cndmask_b32_e32 v70, v70, v71, vcc_lo
	ds_store_b32 v2, v70 offset:32
	s_waitcnt lgkmcnt(0)
	s_barrier
	buffer_gl0_inv
	s_cbranch_scc0 .LBB26_1
.LBB26_4:                               ;   Parent Loop BB26_2 Depth=1
                                        ; =>  This Inner Loop Header: Depth=2
	v_lshlrev_b32_e32 v23, s17, v6
	ds_store_b32 v2, v1 offset:32
	s_waitcnt lgkmcnt(0)
	s_barrier
	buffer_gl0_inv
	v_bfe_u32 v24, v23, 28, 1
	v_lshrrev_b32_e32 v26, 28, v23
	v_not_b32_e32 v29, v23
	; wave barrier
	s_delay_alu instid0(VALU_DEP_3) | instskip(NEXT) | instid1(VALU_DEP_1)
	v_add_co_u32 v24, s11, v24, -1
	v_cndmask_b32_e64 v25, 0, 1, s11
	s_delay_alu instid0(VALU_DEP_4) | instskip(SKIP_1) | instid1(VALU_DEP_3)
	v_lshlrev_b32_e32 v27, 30, v26
	v_lshlrev_b32_e32 v28, 29, v26
	v_cmp_ne_u32_e64 s11, 0, v25
	s_delay_alu instid0(VALU_DEP_3) | instskip(SKIP_1) | instid1(VALU_DEP_4)
	v_not_b32_e32 v25, v27
	v_cmp_gt_i32_e64 s12, 0, v27
	v_not_b32_e32 v27, v28
	s_delay_alu instid0(VALU_DEP_4) | instskip(NEXT) | instid1(VALU_DEP_4)
	v_xor_b32_e32 v24, s11, v24
	v_ashrrev_i32_e32 v25, 31, v25
	v_cmp_gt_i32_e64 s11, 0, v28
	s_delay_alu instid0(VALU_DEP_4) | instskip(NEXT) | instid1(VALU_DEP_4)
	v_ashrrev_i32_e32 v27, 31, v27
	v_and_b32_e32 v24, exec_lo, v24
	s_delay_alu instid0(VALU_DEP_4) | instskip(SKIP_3) | instid1(VALU_DEP_4)
	v_xor_b32_e32 v25, s12, v25
	v_cmp_gt_i32_e64 s12, 0, v23
	v_ashrrev_i32_e32 v23, 31, v29
	v_xor_b32_e32 v27, s11, v27
	v_and_b32_e32 v24, v24, v25
	s_delay_alu instid0(VALU_DEP_3) | instskip(NEXT) | instid1(VALU_DEP_2)
	v_xor_b32_e32 v23, s12, v23
	v_and_b32_e32 v24, v24, v27
	s_delay_alu instid0(VALU_DEP_1) | instskip(SKIP_1) | instid1(VALU_DEP_2)
	v_and_b32_e32 v25, v24, v23
	v_mad_u32_u24 v24, v26, 9, v5
	v_mbcnt_lo_u32_b32 v23, v25, 0
	v_cmp_ne_u32_e64 s12, 0, v25
	s_delay_alu instid0(VALU_DEP_3) | instskip(NEXT) | instid1(VALU_DEP_3)
	v_lshl_add_u32 v24, v24, 2, 32
	v_cmp_eq_u32_e64 s11, 0, v23
	s_delay_alu instid0(VALU_DEP_1) | instskip(NEXT) | instid1(SALU_CYCLE_1)
	s_and_b32 s12, s12, s11
	s_and_saveexec_b32 s11, s12
	s_cbranch_execz .LBB26_6
; %bb.5:                                ;   in Loop: Header=BB26_4 Depth=2
	v_bcnt_u32_b32 v25, v25, 0
	ds_store_b32 v24, v25
.LBB26_6:                               ;   in Loop: Header=BB26_4 Depth=2
	s_or_b32 exec_lo, exec_lo, s11
	v_lshlrev_b32_e32 v25, s17, v7
	; wave barrier
	s_delay_alu instid0(VALU_DEP_1) | instskip(SKIP_2) | instid1(VALU_DEP_3)
	v_bfe_u32 v26, v25, 28, 1
	v_lshrrev_b32_e32 v27, 28, v25
	v_not_b32_e32 v31, v25
	v_add_co_u32 v26, s11, v26, -1
	s_delay_alu instid0(VALU_DEP_1) | instskip(NEXT) | instid1(VALU_DEP_4)
	v_cndmask_b32_e64 v28, 0, 1, s11
	v_lshlrev_b32_e32 v29, 30, v27
	v_lshlrev_b32_e32 v30, 29, v27
	s_delay_alu instid0(VALU_DEP_3) | instskip(NEXT) | instid1(VALU_DEP_3)
	v_cmp_ne_u32_e64 s11, 0, v28
	v_not_b32_e32 v28, v29
	v_cmp_gt_i32_e64 s12, 0, v29
	s_delay_alu instid0(VALU_DEP_4) | instskip(NEXT) | instid1(VALU_DEP_4)
	v_not_b32_e32 v29, v30
	v_xor_b32_e32 v26, s11, v26
	s_delay_alu instid0(VALU_DEP_4) | instskip(SKIP_1) | instid1(VALU_DEP_4)
	v_ashrrev_i32_e32 v28, 31, v28
	v_cmp_gt_i32_e64 s11, 0, v30
	v_ashrrev_i32_e32 v29, 31, v29
	s_delay_alu instid0(VALU_DEP_4) | instskip(NEXT) | instid1(VALU_DEP_4)
	v_and_b32_e32 v26, exec_lo, v26
	v_xor_b32_e32 v28, s12, v28
	v_cmp_gt_i32_e64 s12, 0, v25
	v_mul_u32_u24_e32 v25, 9, v27
	v_ashrrev_i32_e32 v27, 31, v31
	v_xor_b32_e32 v29, s11, v29
	v_and_b32_e32 v26, v26, v28
	s_delay_alu instid0(VALU_DEP_4) | instskip(NEXT) | instid1(VALU_DEP_4)
	v_add_lshl_u32 v30, v5, v25, 2
	v_xor_b32_e32 v27, s12, v27
	s_delay_alu instid0(VALU_DEP_3) | instskip(SKIP_3) | instid1(VALU_DEP_2)
	v_and_b32_e32 v26, v26, v29
	ds_load_b32 v25, v30 offset:32
	; wave barrier
	v_and_b32_e32 v28, v26, v27
	v_add_nc_u32_e32 v27, 32, v30
	v_mbcnt_lo_u32_b32 v26, v28, 0
	v_cmp_ne_u32_e64 s12, 0, v28
	s_delay_alu instid0(VALU_DEP_2) | instskip(NEXT) | instid1(VALU_DEP_1)
	v_cmp_eq_u32_e64 s11, 0, v26
	s_and_b32 s12, s12, s11
	s_delay_alu instid0(SALU_CYCLE_1)
	s_and_saveexec_b32 s11, s12
	s_cbranch_execz .LBB26_8
; %bb.7:                                ;   in Loop: Header=BB26_4 Depth=2
	s_waitcnt lgkmcnt(0)
	v_bcnt_u32_b32 v28, v28, v25
	ds_store_b32 v27, v28
.LBB26_8:                               ;   in Loop: Header=BB26_4 Depth=2
	s_or_b32 exec_lo, exec_lo, s11
	v_lshlrev_b32_e32 v28, s17, v8
	; wave barrier
	s_delay_alu instid0(VALU_DEP_1) | instskip(SKIP_2) | instid1(VALU_DEP_3)
	v_bfe_u32 v29, v28, 28, 1
	v_lshrrev_b32_e32 v30, 28, v28
	v_not_b32_e32 v34, v28
	v_add_co_u32 v29, s11, v29, -1
	s_delay_alu instid0(VALU_DEP_1) | instskip(NEXT) | instid1(VALU_DEP_4)
	v_cndmask_b32_e64 v31, 0, 1, s11
	v_lshlrev_b32_e32 v32, 30, v30
	v_lshlrev_b32_e32 v33, 29, v30
	s_delay_alu instid0(VALU_DEP_3) | instskip(NEXT) | instid1(VALU_DEP_3)
	v_cmp_ne_u32_e64 s11, 0, v31
	v_not_b32_e32 v31, v32
	v_cmp_gt_i32_e64 s12, 0, v32
	s_delay_alu instid0(VALU_DEP_4) | instskip(NEXT) | instid1(VALU_DEP_4)
	v_not_b32_e32 v32, v33
	v_xor_b32_e32 v29, s11, v29
	s_delay_alu instid0(VALU_DEP_4) | instskip(SKIP_1) | instid1(VALU_DEP_4)
	v_ashrrev_i32_e32 v31, 31, v31
	v_cmp_gt_i32_e64 s11, 0, v33
	v_ashrrev_i32_e32 v32, 31, v32
	s_delay_alu instid0(VALU_DEP_4) | instskip(NEXT) | instid1(VALU_DEP_4)
	v_and_b32_e32 v29, exec_lo, v29
	v_xor_b32_e32 v31, s12, v31
	v_cmp_gt_i32_e64 s12, 0, v28
	v_mul_u32_u24_e32 v28, 9, v30
	v_ashrrev_i32_e32 v30, 31, v34
	v_xor_b32_e32 v32, s11, v32
	v_and_b32_e32 v29, v29, v31
	s_delay_alu instid0(VALU_DEP_4) | instskip(NEXT) | instid1(VALU_DEP_4)
	v_add_lshl_u32 v33, v5, v28, 2
	v_xor_b32_e32 v30, s12, v30
	s_delay_alu instid0(VALU_DEP_3) | instskip(SKIP_3) | instid1(VALU_DEP_2)
	v_and_b32_e32 v29, v29, v32
	ds_load_b32 v28, v33 offset:32
	; wave barrier
	v_and_b32_e32 v31, v29, v30
	v_add_nc_u32_e32 v30, 32, v33
	v_mbcnt_lo_u32_b32 v29, v31, 0
	v_cmp_ne_u32_e64 s12, 0, v31
	s_delay_alu instid0(VALU_DEP_2) | instskip(NEXT) | instid1(VALU_DEP_1)
	v_cmp_eq_u32_e64 s11, 0, v29
	s_and_b32 s12, s12, s11
	s_delay_alu instid0(SALU_CYCLE_1)
	s_and_saveexec_b32 s11, s12
	s_cbranch_execz .LBB26_10
; %bb.9:                                ;   in Loop: Header=BB26_4 Depth=2
	s_waitcnt lgkmcnt(0)
	v_bcnt_u32_b32 v31, v31, v28
	ds_store_b32 v30, v31
.LBB26_10:                              ;   in Loop: Header=BB26_4 Depth=2
	s_or_b32 exec_lo, exec_lo, s11
	v_lshlrev_b32_e32 v31, s17, v9
	; wave barrier
	s_delay_alu instid0(VALU_DEP_1) | instskip(SKIP_2) | instid1(VALU_DEP_3)
	v_bfe_u32 v32, v31, 28, 1
	v_lshrrev_b32_e32 v33, 28, v31
	v_not_b32_e32 v37, v31
	v_add_co_u32 v32, s11, v32, -1
	s_delay_alu instid0(VALU_DEP_1) | instskip(NEXT) | instid1(VALU_DEP_4)
	v_cndmask_b32_e64 v34, 0, 1, s11
	v_lshlrev_b32_e32 v35, 30, v33
	v_lshlrev_b32_e32 v36, 29, v33
	s_delay_alu instid0(VALU_DEP_3) | instskip(NEXT) | instid1(VALU_DEP_3)
	v_cmp_ne_u32_e64 s11, 0, v34
	v_not_b32_e32 v34, v35
	v_cmp_gt_i32_e64 s12, 0, v35
	s_delay_alu instid0(VALU_DEP_4) | instskip(NEXT) | instid1(VALU_DEP_4)
	v_not_b32_e32 v35, v36
	v_xor_b32_e32 v32, s11, v32
	s_delay_alu instid0(VALU_DEP_4) | instskip(SKIP_1) | instid1(VALU_DEP_4)
	v_ashrrev_i32_e32 v34, 31, v34
	v_cmp_gt_i32_e64 s11, 0, v36
	v_ashrrev_i32_e32 v35, 31, v35
	s_delay_alu instid0(VALU_DEP_4) | instskip(NEXT) | instid1(VALU_DEP_4)
	v_and_b32_e32 v32, exec_lo, v32
	v_xor_b32_e32 v34, s12, v34
	v_cmp_gt_i32_e64 s12, 0, v31
	v_mul_u32_u24_e32 v31, 9, v33
	v_ashrrev_i32_e32 v33, 31, v37
	v_xor_b32_e32 v35, s11, v35
	v_and_b32_e32 v32, v32, v34
	s_delay_alu instid0(VALU_DEP_4) | instskip(NEXT) | instid1(VALU_DEP_4)
	v_add_lshl_u32 v36, v5, v31, 2
	v_xor_b32_e32 v33, s12, v33
	s_delay_alu instid0(VALU_DEP_3) | instskip(SKIP_3) | instid1(VALU_DEP_2)
	v_and_b32_e32 v32, v32, v35
	ds_load_b32 v31, v36 offset:32
	; wave barrier
	v_and_b32_e32 v34, v32, v33
	v_add_nc_u32_e32 v33, 32, v36
	v_mbcnt_lo_u32_b32 v32, v34, 0
	v_cmp_ne_u32_e64 s12, 0, v34
	s_delay_alu instid0(VALU_DEP_2) | instskip(NEXT) | instid1(VALU_DEP_1)
	v_cmp_eq_u32_e64 s11, 0, v32
	s_and_b32 s12, s12, s11
	s_delay_alu instid0(SALU_CYCLE_1)
	s_and_saveexec_b32 s11, s12
	s_cbranch_execz .LBB26_12
; %bb.11:                               ;   in Loop: Header=BB26_4 Depth=2
	s_waitcnt lgkmcnt(0)
	v_bcnt_u32_b32 v34, v34, v31
	ds_store_b32 v33, v34
.LBB26_12:                              ;   in Loop: Header=BB26_4 Depth=2
	s_or_b32 exec_lo, exec_lo, s11
	v_lshlrev_b32_e32 v34, s17, v10
	; wave barrier
	s_delay_alu instid0(VALU_DEP_1) | instskip(SKIP_2) | instid1(VALU_DEP_3)
	v_bfe_u32 v35, v34, 28, 1
	v_lshrrev_b32_e32 v36, 28, v34
	v_not_b32_e32 v40, v34
	v_add_co_u32 v35, s11, v35, -1
	s_delay_alu instid0(VALU_DEP_1) | instskip(NEXT) | instid1(VALU_DEP_4)
	v_cndmask_b32_e64 v37, 0, 1, s11
	v_lshlrev_b32_e32 v38, 30, v36
	v_lshlrev_b32_e32 v39, 29, v36
	s_delay_alu instid0(VALU_DEP_3) | instskip(NEXT) | instid1(VALU_DEP_3)
	v_cmp_ne_u32_e64 s11, 0, v37
	v_not_b32_e32 v37, v38
	v_cmp_gt_i32_e64 s12, 0, v38
	s_delay_alu instid0(VALU_DEP_4) | instskip(NEXT) | instid1(VALU_DEP_4)
	v_not_b32_e32 v38, v39
	v_xor_b32_e32 v35, s11, v35
	s_delay_alu instid0(VALU_DEP_4) | instskip(SKIP_1) | instid1(VALU_DEP_4)
	v_ashrrev_i32_e32 v37, 31, v37
	v_cmp_gt_i32_e64 s11, 0, v39
	v_ashrrev_i32_e32 v38, 31, v38
	s_delay_alu instid0(VALU_DEP_4) | instskip(NEXT) | instid1(VALU_DEP_4)
	v_and_b32_e32 v35, exec_lo, v35
	v_xor_b32_e32 v37, s12, v37
	v_cmp_gt_i32_e64 s12, 0, v34
	v_mul_u32_u24_e32 v34, 9, v36
	v_ashrrev_i32_e32 v36, 31, v40
	v_xor_b32_e32 v38, s11, v38
	v_and_b32_e32 v35, v35, v37
	s_delay_alu instid0(VALU_DEP_4) | instskip(NEXT) | instid1(VALU_DEP_4)
	v_add_lshl_u32 v39, v5, v34, 2
	v_xor_b32_e32 v36, s12, v36
	s_delay_alu instid0(VALU_DEP_3) | instskip(SKIP_3) | instid1(VALU_DEP_2)
	v_and_b32_e32 v35, v35, v38
	ds_load_b32 v34, v39 offset:32
	; wave barrier
	v_and_b32_e32 v37, v35, v36
	v_add_nc_u32_e32 v36, 32, v39
	v_mbcnt_lo_u32_b32 v35, v37, 0
	v_cmp_ne_u32_e64 s12, 0, v37
	s_delay_alu instid0(VALU_DEP_2) | instskip(NEXT) | instid1(VALU_DEP_1)
	v_cmp_eq_u32_e64 s11, 0, v35
	s_and_b32 s12, s12, s11
	s_delay_alu instid0(SALU_CYCLE_1)
	s_and_saveexec_b32 s11, s12
	s_cbranch_execz .LBB26_14
; %bb.13:                               ;   in Loop: Header=BB26_4 Depth=2
	s_waitcnt lgkmcnt(0)
	v_bcnt_u32_b32 v37, v37, v34
	ds_store_b32 v36, v37
.LBB26_14:                              ;   in Loop: Header=BB26_4 Depth=2
	;; [unrolled: 53-line block ×13, first 2 shown]
	s_or_b32 exec_lo, exec_lo, s11
	; wave barrier
	s_waitcnt lgkmcnt(0)
	s_barrier
	buffer_gl0_inv
	ds_load_b32 v70, v2 offset:32
	s_waitcnt lgkmcnt(0)
	v_mov_b32_dpp v71, v70 row_shr:1 row_mask:0xf bank_mask:0xf
	s_delay_alu instid0(VALU_DEP_1) | instskip(NEXT) | instid1(VALU_DEP_1)
	v_cndmask_b32_e64 v71, v71, 0, s0
	v_add_nc_u32_e32 v70, v71, v70
	s_delay_alu instid0(VALU_DEP_1) | instskip(NEXT) | instid1(VALU_DEP_1)
	v_mov_b32_dpp v71, v70 row_shr:2 row_mask:0xf bank_mask:0xf
	v_cndmask_b32_e64 v71, 0, v71, s1
	s_delay_alu instid0(VALU_DEP_1) | instskip(NEXT) | instid1(VALU_DEP_1)
	v_add_nc_u32_e32 v70, v70, v71
	v_mov_b32_dpp v71, v70 row_shr:4 row_mask:0xf bank_mask:0xf
	s_delay_alu instid0(VALU_DEP_1) | instskip(NEXT) | instid1(VALU_DEP_1)
	v_cndmask_b32_e64 v71, 0, v71, s2
	v_add_nc_u32_e32 v70, v70, v71
	s_delay_alu instid0(VALU_DEP_1) | instskip(NEXT) | instid1(VALU_DEP_1)
	v_mov_b32_dpp v71, v70 row_shr:8 row_mask:0xf bank_mask:0xf
	v_cndmask_b32_e64 v71, 0, v71, s3
	s_delay_alu instid0(VALU_DEP_1) | instskip(SKIP_3) | instid1(VALU_DEP_1)
	v_add_nc_u32_e32 v70, v70, v71
	ds_swizzle_b32 v71, v70 offset:swizzle(BROADCAST,32,15)
	s_waitcnt lgkmcnt(0)
	v_cndmask_b32_e64 v71, v71, 0, s4
	v_add_nc_u32_e32 v70, v70, v71
	s_and_saveexec_b32 s11, s10
	s_delay_alu instid0(SALU_CYCLE_1)
	s_xor_b32 s11, exec_lo, s11
	s_cbranch_execz .LBB26_38
; %bb.37:                               ;   in Loop: Header=BB26_4 Depth=2
	ds_store_b32 v4, v70
.LBB26_38:                              ;   in Loop: Header=BB26_4 Depth=2
	s_or_b32 exec_lo, exec_lo, s11
	s_waitcnt lgkmcnt(0)
	s_barrier
	buffer_gl0_inv
	s_and_saveexec_b32 s11, s5
	s_cbranch_execz .LBB26_40
; %bb.39:                               ;   in Loop: Header=BB26_4 Depth=2
	ds_load_b32 v71, v2
	s_waitcnt lgkmcnt(0)
	v_mov_b32_dpp v72, v71 row_shr:1 row_mask:0xf bank_mask:0xf
	s_delay_alu instid0(VALU_DEP_1) | instskip(NEXT) | instid1(VALU_DEP_1)
	v_cndmask_b32_e64 v72, v72, 0, s7
	v_add_nc_u32_e32 v71, v72, v71
	s_delay_alu instid0(VALU_DEP_1) | instskip(NEXT) | instid1(VALU_DEP_1)
	v_mov_b32_dpp v72, v71 row_shr:2 row_mask:0xf bank_mask:0xf
	v_cndmask_b32_e64 v72, 0, v72, s8
	s_delay_alu instid0(VALU_DEP_1) | instskip(NEXT) | instid1(VALU_DEP_1)
	v_add_nc_u32_e32 v71, v71, v72
	v_mov_b32_dpp v72, v71 row_shr:4 row_mask:0xf bank_mask:0xf
	s_delay_alu instid0(VALU_DEP_1) | instskip(NEXT) | instid1(VALU_DEP_1)
	v_cndmask_b32_e64 v72, 0, v72, s9
	v_add_nc_u32_e32 v71, v71, v72
	ds_store_b32 v2, v71
.LBB26_40:                              ;   in Loop: Header=BB26_4 Depth=2
	s_or_b32 exec_lo, exec_lo, s11
	v_mov_b32_e32 v71, 0
	s_waitcnt lgkmcnt(0)
	s_barrier
	buffer_gl0_inv
	s_and_saveexec_b32 s11, s6
	s_cbranch_execz .LBB26_3
; %bb.41:                               ;   in Loop: Header=BB26_4 Depth=2
	ds_load_b32 v71, v22
	s_branch .LBB26_3
.LBB26_42:
	ds_load_b32 v1, v69
	ds_load_b32 v2, v66
	;; [unrolled: 1-line block ×16, first 2 shown]
	v_lshlrev_b32_e32 v0, 2, v0
	s_add_u32 s0, s18, s14
	s_addc_u32 s1, s19, s15
	s_waitcnt lgkmcnt(15)
	v_add3_u32 v4, v68, v67, v1
	s_waitcnt lgkmcnt(14)
	v_add3_u32 v3, v65, v64, v2
	;; [unrolled: 2-line block ×14, first 2 shown]
	s_waitcnt lgkmcnt(1)
	v_add_nc_u32_e32 v13, v19, v23
	s_waitcnt lgkmcnt(0)
	v_add3_u32 v9, v35, v34, v20
	s_clause 0x3
	global_store_b128 v0, v[13:16], s[0:1]
	global_store_b128 v0, v[9:12], s[0:1] offset:16
	global_store_b128 v0, v[5:8], s[0:1] offset:32
	;; [unrolled: 1-line block ×3, first 2 shown]
	s_nop 0
	s_sendmsg sendmsg(MSG_DEALLOC_VGPRS)
	s_endpgm
	.section	.rodata,"a",@progbits
	.p2align	6, 0x0
	.amdhsa_kernel _Z11rank_kernelIiLj4ELb0EL18RadixRankAlgorithm2ELj256ELj16ELj10EEvPKT_Pi
		.amdhsa_group_segment_fixed_size 1056
		.amdhsa_private_segment_fixed_size 0
		.amdhsa_kernarg_size 272
		.amdhsa_user_sgpr_count 15
		.amdhsa_user_sgpr_dispatch_ptr 0
		.amdhsa_user_sgpr_queue_ptr 0
		.amdhsa_user_sgpr_kernarg_segment_ptr 1
		.amdhsa_user_sgpr_dispatch_id 0
		.amdhsa_user_sgpr_private_segment_size 0
		.amdhsa_wavefront_size32 1
		.amdhsa_uses_dynamic_stack 0
		.amdhsa_enable_private_segment 0
		.amdhsa_system_sgpr_workgroup_id_x 1
		.amdhsa_system_sgpr_workgroup_id_y 0
		.amdhsa_system_sgpr_workgroup_id_z 0
		.amdhsa_system_sgpr_workgroup_info 0
		.amdhsa_system_vgpr_workitem_id 2
		.amdhsa_next_free_vgpr 74
		.amdhsa_next_free_sgpr 20
		.amdhsa_reserve_vcc 1
		.amdhsa_float_round_mode_32 0
		.amdhsa_float_round_mode_16_64 0
		.amdhsa_float_denorm_mode_32 3
		.amdhsa_float_denorm_mode_16_64 3
		.amdhsa_dx10_clamp 1
		.amdhsa_ieee_mode 1
		.amdhsa_fp16_overflow 0
		.amdhsa_workgroup_processor_mode 1
		.amdhsa_memory_ordered 1
		.amdhsa_forward_progress 0
		.amdhsa_shared_vgpr_count 0
		.amdhsa_exception_fp_ieee_invalid_op 0
		.amdhsa_exception_fp_denorm_src 0
		.amdhsa_exception_fp_ieee_div_zero 0
		.amdhsa_exception_fp_ieee_overflow 0
		.amdhsa_exception_fp_ieee_underflow 0
		.amdhsa_exception_fp_ieee_inexact 0
		.amdhsa_exception_int_div_zero 0
	.end_amdhsa_kernel
	.section	.text._Z11rank_kernelIiLj4ELb0EL18RadixRankAlgorithm2ELj256ELj16ELj10EEvPKT_Pi,"axG",@progbits,_Z11rank_kernelIiLj4ELb0EL18RadixRankAlgorithm2ELj256ELj16ELj10EEvPKT_Pi,comdat
.Lfunc_end26:
	.size	_Z11rank_kernelIiLj4ELb0EL18RadixRankAlgorithm2ELj256ELj16ELj10EEvPKT_Pi, .Lfunc_end26-_Z11rank_kernelIiLj4ELb0EL18RadixRankAlgorithm2ELj256ELj16ELj10EEvPKT_Pi
                                        ; -- End function
	.section	.AMDGPU.csdata,"",@progbits
; Kernel info:
; codeLenInByte = 5328
; NumSgprs: 22
; NumVgprs: 74
; ScratchSize: 0
; MemoryBound: 0
; FloatMode: 240
; IeeeMode: 1
; LDSByteSize: 1056 bytes/workgroup (compile time only)
; SGPRBlocks: 2
; VGPRBlocks: 9
; NumSGPRsForWavesPerEU: 22
; NumVGPRsForWavesPerEU: 74
; Occupancy: 16
; WaveLimiterHint : 0
; COMPUTE_PGM_RSRC2:SCRATCH_EN: 0
; COMPUTE_PGM_RSRC2:USER_SGPR: 15
; COMPUTE_PGM_RSRC2:TRAP_HANDLER: 0
; COMPUTE_PGM_RSRC2:TGID_X_EN: 1
; COMPUTE_PGM_RSRC2:TGID_Y_EN: 0
; COMPUTE_PGM_RSRC2:TGID_Z_EN: 0
; COMPUTE_PGM_RSRC2:TIDIG_COMP_CNT: 2
	.section	.text._Z11rank_kernelIiLj4ELb0EL18RadixRankAlgorithm0ELj256ELj32ELj10EEvPKT_Pi,"axG",@progbits,_Z11rank_kernelIiLj4ELb0EL18RadixRankAlgorithm0ELj256ELj32ELj10EEvPKT_Pi,comdat
	.protected	_Z11rank_kernelIiLj4ELb0EL18RadixRankAlgorithm0ELj256ELj32ELj10EEvPKT_Pi ; -- Begin function _Z11rank_kernelIiLj4ELb0EL18RadixRankAlgorithm0ELj256ELj32ELj10EEvPKT_Pi
	.globl	_Z11rank_kernelIiLj4ELb0EL18RadixRankAlgorithm0ELj256ELj32ELj10EEvPKT_Pi
	.p2align	8
	.type	_Z11rank_kernelIiLj4ELb0EL18RadixRankAlgorithm0ELj256ELj32ELj10EEvPKT_Pi,@function
_Z11rank_kernelIiLj4ELb0EL18RadixRankAlgorithm0ELj256ELj32ELj10EEvPKT_Pi: ; @_Z11rank_kernelIiLj4ELb0EL18RadixRankAlgorithm0ELj256ELj32ELj10EEvPKT_Pi
; %bb.0:
	s_load_b128 s[16:19], s[0:1], 0x0
	s_mov_b32 s21, 0
	s_lshl_b32 s20, s15, 13
	v_dual_mov_b32 v2, 0 :: v_dual_lshlrev_b32 v1, 7, v0
	s_lshl_b64 s[12:13], s[20:21], 2
	v_mbcnt_lo_u32_b32 v4, -1, 0
	v_or_b32_e32 v23, 31, v0
	v_lshrrev_b32_e32 v41, 3, v0
	v_cmp_gt_u32_e32 vcc_lo, 8, v0
	v_lshlrev_b32_e32 v3, 2, v0
	v_add_nc_u32_e32 v36, -1, v4
	v_and_b32_e32 v5, 15, v4
	v_and_b32_e32 v10, 16, v4
	;; [unrolled: 1-line block ×3, first 2 shown]
	v_cmp_eq_u32_e64 s7, v23, v0
	v_cmp_gt_i32_e64 s8, 0, v36
	v_cmp_eq_u32_e64 s2, 0, v5
	v_cmp_lt_u32_e64 s3, 1, v5
	v_cmp_lt_u32_e64 s4, 3, v5
	s_waitcnt lgkmcnt(0)
	s_add_u32 s0, s16, s12
	s_addc_u32 s1, s17, s13
	v_cmp_lt_u32_e64 s5, 7, v5
	s_clause 0x7
	global_load_b128 v[6:9], v1, s[0:1]
	global_load_b128 v[11:14], v1, s[0:1] offset:16
	global_load_b128 v[15:18], v1, s[0:1] offset:32
	;; [unrolled: 1-line block ×7, first 2 shown]
	v_cndmask_b32_e64 v5, v36, v4, s8
	v_lshlrev_b32_e32 v1, 5, v0
	v_cmp_lt_u32_e64 s0, 31, v0
	v_cmp_eq_u32_e64 s1, 0, v4
	v_cmp_eq_u32_e64 s6, 0, v10
	v_and_b32_e32 v4, 28, v41
	v_cmp_eq_u32_e64 s8, 0, v42
	v_cmp_lt_u32_e64 s9, 1, v42
	v_cmp_lt_u32_e64 s10, 3, v42
	v_lshlrev_b32_e32 v5, 2, v5
	v_or_b32_e32 v41, 0xffffff00, v0
	s_waitcnt vmcnt(7)
	v_xor_b32_e32 v6, 0x80000000, v6
	v_xor_b32_e32 v7, 0x80000000, v7
	v_xor_b32_e32 v8, 0x80000000, v8
	v_xor_b32_e32 v9, 0x80000000, v9
	s_waitcnt vmcnt(6)
	v_xor_b32_e32 v10, 0x80000000, v11
	v_xor_b32_e32 v11, 0x80000000, v12
	v_xor_b32_e32 v13, 0x80000000, v13
	v_xor_b32_e32 v14, 0x80000000, v14
	;; [unrolled: 5-line block ×8, first 2 shown]
	s_branch .LBB27_2
.LBB27_1:                               ;   in Loop: Header=BB27_2 Depth=1
	s_add_i32 s21, s21, 1
	s_delay_alu instid0(SALU_CYCLE_1)
	s_cmp_eq_u32 s21, 10
	s_cbranch_scc1 .LBB27_12
.LBB27_2:                               ; =>This Loop Header: Depth=1
                                        ;     Child Loop BB27_4 Depth 2
                                        ;       Child Loop BB27_5 Depth 3
	s_mov_b32 s14, 0
	s_branch .LBB27_4
.LBB27_3:                               ;   in Loop: Header=BB27_4 Depth=2
	s_or_b32 exec_lo, exec_lo, s11
	s_waitcnt lgkmcnt(0)
	v_add_nc_u32_e32 v103, v104, v103
	ds_load_b32 v109, v2 offset:8220
	ds_load_2addr_b32 v[105:106], v1 offset1:1
	s_add_i32 s11, s14, 4
	s_cmp_lt_u32 s14, 28
	s_mov_b32 s14, s11
	ds_bpermute_b32 v103, v5, v103
	s_waitcnt lgkmcnt(0)
	v_cndmask_b32_e64 v110, v103, v104, s1
	ds_load_2addr_b32 v[103:104], v1 offset0:2 offset1:3
	ds_load_2addr_b32 v[107:108], v1 offset0:4 offset1:5
	v_lshl_add_u32 v109, v109, 16, v110
	ds_load_b32 v110, v1 offset:24
	v_add_nc_u32_e32 v105, v109, v105
	s_delay_alu instid0(VALU_DEP_1) | instskip(SKIP_1) | instid1(VALU_DEP_1)
	v_add_nc_u32_e32 v106, v106, v105
	s_waitcnt lgkmcnt(2)
	v_add_nc_u32_e32 v103, v103, v106
	s_delay_alu instid0(VALU_DEP_1) | instskip(SKIP_1) | instid1(VALU_DEP_1)
	v_add_nc_u32_e32 v104, v104, v103
	s_waitcnt lgkmcnt(1)
	v_add_nc_u32_e32 v107, v107, v104
	s_delay_alu instid0(VALU_DEP_1) | instskip(SKIP_1) | instid1(VALU_DEP_1)
	v_add_nc_u32_e32 v108, v108, v107
	s_waitcnt lgkmcnt(0)
	v_add_nc_u32_e32 v110, v110, v108
	ds_store_2addr_b32 v1, v109, v105 offset1:1
	ds_store_2addr_b32 v1, v106, v103 offset0:2 offset1:3
	ds_store_2addr_b32 v1, v104, v107 offset0:4 offset1:5
	;; [unrolled: 1-line block ×3, first 2 shown]
	s_waitcnt lgkmcnt(0)
	s_barrier
	buffer_gl0_inv
	s_cbranch_scc0 .LBB27_1
.LBB27_4:                               ;   Parent Loop BB27_2 Depth=1
                                        ; =>  This Loop Header: Depth=2
                                        ;       Child Loop BB27_5 Depth 3
	v_dual_mov_b32 v12, v41 :: v_dual_mov_b32 v23, v3
	s_mov_b32 s15, 0
.LBB27_5:                               ;   Parent Loop BB27_2 Depth=1
                                        ;     Parent Loop BB27_4 Depth=2
                                        ; =>    This Inner Loop Header: Depth=3
	s_delay_alu instid0(VALU_DEP_1) | instskip(SKIP_3) | instid1(VALU_DEP_1)
	v_add_nc_u32_e32 v12, 0x100, v12
	ds_store_b32 v23, v2
	v_add_nc_u32_e32 v23, 0x400, v23
	v_cmp_lt_u32_e64 s11, 0x6ff, v12
	s_or_b32 s15, s11, s15
	s_delay_alu instid0(SALU_CYCLE_1)
	s_and_not1_b32 exec_lo, exec_lo, s15
	s_cbranch_execnz .LBB27_5
; %bb.6:                                ;   in Loop: Header=BB27_4 Depth=2
	s_or_b32 exec_lo, exec_lo, s15
	s_sub_i32 s11, 28, s14
	s_delay_alu instid0(SALU_CYCLE_1) | instskip(SKIP_1) | instid1(VALU_DEP_2)
	v_lshlrev_b32_e32 v12, s11, v6
	v_lshlrev_b32_e32 v69, s11, v22
	v_lshrrev_b32_e32 v23, 20, v12
	s_delay_alu instid0(VALU_DEP_2) | instskip(NEXT) | instid1(VALU_DEP_2)
	v_lshrrev_b32_e32 v70, 20, v69
	v_and_or_b32 v23, 0x700, v23, v0
	s_delay_alu instid0(VALU_DEP_2) | instskip(NEXT) | instid1(VALU_DEP_2)
	v_and_or_b32 v70, 0x700, v70, v0
	v_alignbit_b32 v12, v23, v12, 31
	v_lshlrev_b32_e32 v23, s11, v7
	s_delay_alu instid0(VALU_DEP_3) | instskip(NEXT) | instid1(VALU_DEP_3)
	v_alignbit_b32 v69, v70, v69, 31
	v_lshlrev_b32_e32 v12, 1, v12
	s_delay_alu instid0(VALU_DEP_3) | instskip(NEXT) | instid1(VALU_DEP_3)
	v_lshrrev_b32_e32 v35, 20, v23
	v_lshlrev_b32_e32 v69, 1, v69
	ds_load_u16 v45, v12
	v_and_or_b32 v35, 0x700, v35, v0
	s_delay_alu instid0(VALU_DEP_1) | instskip(NEXT) | instid1(VALU_DEP_1)
	v_alignbit_b32 v23, v35, v23, 31
	v_lshlrev_b32_e32 v23, 1, v23
	s_waitcnt lgkmcnt(0)
	v_add_nc_u16 v35, v45, 1
	ds_store_b16 v12, v35
	ds_load_u16 v48, v23
	v_lshlrev_b32_e32 v35, s11, v8
	s_delay_alu instid0(VALU_DEP_1) | instskip(NEXT) | instid1(VALU_DEP_1)
	v_lshrrev_b32_e32 v42, 20, v35
	v_and_or_b32 v42, 0x700, v42, v0
	s_delay_alu instid0(VALU_DEP_1) | instskip(SKIP_2) | instid1(VALU_DEP_2)
	v_alignbit_b32 v35, v42, v35, 31
	s_waitcnt lgkmcnt(0)
	v_add_nc_u16 v42, v48, 1
	v_lshlrev_b32_e32 v35, 1, v35
	ds_store_b16 v23, v42
	ds_load_u16 v50, v35
	v_lshlrev_b32_e32 v42, s11, v9
	s_delay_alu instid0(VALU_DEP_1) | instskip(NEXT) | instid1(VALU_DEP_1)
	v_lshrrev_b32_e32 v43, 20, v42
	v_and_or_b32 v43, 0x700, v43, v0
	s_delay_alu instid0(VALU_DEP_1) | instskip(SKIP_2) | instid1(VALU_DEP_2)
	v_alignbit_b32 v42, v43, v42, 31
	s_waitcnt lgkmcnt(0)
	v_add_nc_u16 v43, v50, 1
	v_lshlrev_b32_e32 v42, 1, v42
	ds_store_b16 v35, v43
	ds_load_u16 v52, v42
	v_lshlrev_b32_e32 v43, s11, v10
	s_delay_alu instid0(VALU_DEP_1) | instskip(NEXT) | instid1(VALU_DEP_1)
	v_lshrrev_b32_e32 v44, 20, v43
	v_and_or_b32 v44, 0x700, v44, v0
	s_delay_alu instid0(VALU_DEP_1) | instskip(SKIP_2) | instid1(VALU_DEP_2)
	v_alignbit_b32 v43, v44, v43, 31
	s_waitcnt lgkmcnt(0)
	v_add_nc_u16 v44, v52, 1
	v_lshlrev_b32_e32 v43, 1, v43
	ds_store_b16 v42, v44
	ds_load_u16 v54, v43
	v_lshlrev_b32_e32 v44, s11, v11
	s_delay_alu instid0(VALU_DEP_1) | instskip(NEXT) | instid1(VALU_DEP_1)
	v_lshrrev_b32_e32 v46, 20, v44
	v_and_or_b32 v46, 0x700, v46, v0
	s_delay_alu instid0(VALU_DEP_1) | instskip(SKIP_2) | instid1(VALU_DEP_2)
	v_alignbit_b32 v44, v46, v44, 31
	s_waitcnt lgkmcnt(0)
	v_add_nc_u16 v46, v54, 1
	v_lshlrev_b32_e32 v44, 1, v44
	ds_store_b16 v43, v46
	ds_load_u16 v56, v44
	v_lshlrev_b32_e32 v46, s11, v13
	s_delay_alu instid0(VALU_DEP_1) | instskip(NEXT) | instid1(VALU_DEP_1)
	v_lshrrev_b32_e32 v47, 20, v46
	v_and_or_b32 v47, 0x700, v47, v0
	s_delay_alu instid0(VALU_DEP_1) | instskip(SKIP_2) | instid1(VALU_DEP_2)
	v_alignbit_b32 v46, v47, v46, 31
	s_waitcnt lgkmcnt(0)
	v_add_nc_u16 v47, v56, 1
	v_lshlrev_b32_e32 v46, 1, v46
	ds_store_b16 v44, v47
	ds_load_u16 v58, v46
	v_lshlrev_b32_e32 v47, s11, v14
	s_delay_alu instid0(VALU_DEP_1) | instskip(NEXT) | instid1(VALU_DEP_1)
	v_lshrrev_b32_e32 v49, 20, v47
	v_and_or_b32 v49, 0x700, v49, v0
	s_delay_alu instid0(VALU_DEP_1) | instskip(SKIP_2) | instid1(VALU_DEP_2)
	v_alignbit_b32 v47, v49, v47, 31
	s_waitcnt lgkmcnt(0)
	v_add_nc_u16 v51, v58, 1
	v_lshlrev_b32_e32 v49, 1, v47
	v_lshlrev_b32_e32 v47, s11, v15
	ds_store_b16 v46, v51
	ds_load_u16 v60, v49
	v_lshrrev_b32_e32 v51, 20, v47
	s_delay_alu instid0(VALU_DEP_1) | instskip(NEXT) | instid1(VALU_DEP_1)
	v_and_or_b32 v51, 0x700, v51, v0
	v_alignbit_b32 v47, v51, v47, 31
	s_delay_alu instid0(VALU_DEP_1)
	v_lshlrev_b32_e32 v47, 1, v47
	s_waitcnt lgkmcnt(0)
	v_add_nc_u16 v51, v60, 1
	ds_store_b16 v49, v51
	ds_load_u16 v61, v47
	v_lshlrev_b32_e32 v51, s11, v16
	s_delay_alu instid0(VALU_DEP_1) | instskip(NEXT) | instid1(VALU_DEP_1)
	v_lshrrev_b32_e32 v53, 20, v51
	v_and_or_b32 v53, 0x700, v53, v0
	s_delay_alu instid0(VALU_DEP_1) | instskip(SKIP_2) | instid1(VALU_DEP_2)
	v_alignbit_b32 v51, v53, v51, 31
	s_waitcnt lgkmcnt(0)
	v_add_nc_u16 v53, v61, 1
	v_lshlrev_b32_e32 v51, 1, v51
	ds_store_b16 v47, v53
	ds_load_u16 v63, v51
	v_lshlrev_b32_e32 v53, s11, v17
	s_delay_alu instid0(VALU_DEP_1) | instskip(NEXT) | instid1(VALU_DEP_1)
	v_lshrrev_b32_e32 v55, 20, v53
	v_and_or_b32 v55, 0x700, v55, v0
	s_delay_alu instid0(VALU_DEP_1) | instskip(SKIP_2) | instid1(VALU_DEP_2)
	v_alignbit_b32 v53, v55, v53, 31
	s_waitcnt lgkmcnt(0)
	v_add_nc_u16 v55, v63, 1
	v_lshlrev_b32_e32 v53, 1, v53
	;; [unrolled: 11-line block ×6, first 2 shown]
	ds_store_b16 v59, v68
	ds_load_u16 v68, v62
	s_waitcnt lgkmcnt(0)
	v_add_nc_u16 v70, v68, 1
	ds_store_b16 v62, v70
	ds_load_u16 v71, v69
	v_lshlrev_b32_e32 v70, s11, v24
	s_delay_alu instid0(VALU_DEP_1) | instskip(NEXT) | instid1(VALU_DEP_1)
	v_lshrrev_b32_e32 v72, 20, v70
	v_and_or_b32 v72, 0x700, v72, v0
	s_delay_alu instid0(VALU_DEP_1) | instskip(SKIP_2) | instid1(VALU_DEP_2)
	v_alignbit_b32 v70, v72, v70, 31
	s_waitcnt lgkmcnt(0)
	v_add_nc_u16 v72, v71, 1
	v_lshlrev_b32_e32 v70, 1, v70
	ds_store_b16 v69, v72
	ds_load_u16 v74, v70
	v_lshlrev_b32_e32 v72, s11, v25
	s_delay_alu instid0(VALU_DEP_1) | instskip(NEXT) | instid1(VALU_DEP_1)
	v_lshrrev_b32_e32 v73, 20, v72
	v_and_or_b32 v73, 0x700, v73, v0
	s_delay_alu instid0(VALU_DEP_1) | instskip(SKIP_2) | instid1(VALU_DEP_2)
	v_alignbit_b32 v72, v73, v72, 31
	s_waitcnt lgkmcnt(0)
	v_add_nc_u16 v73, v74, 1
	v_lshlrev_b32_e32 v72, 1, v72
	;; [unrolled: 11-line block ×8, first 2 shown]
	v_lshlrev_b32_e32 v80, s11, v32
	ds_store_b16 v79, v82
	ds_load_u16 v92, v81
	v_lshrrev_b32_e32 v82, 20, v80
	s_delay_alu instid0(VALU_DEP_1) | instskip(NEXT) | instid1(VALU_DEP_1)
	v_and_or_b32 v82, 0x700, v82, v0
	v_alignbit_b32 v80, v82, v80, 31
	s_delay_alu instid0(VALU_DEP_1)
	v_lshlrev_b32_e32 v80, 1, v80
	s_waitcnt lgkmcnt(0)
	v_add_nc_u16 v82, v92, 1
	ds_store_b16 v81, v82
	ds_load_u16 v94, v80
	v_lshlrev_b32_e32 v82, s11, v33
	s_delay_alu instid0(VALU_DEP_1) | instskip(NEXT) | instid1(VALU_DEP_1)
	v_lshrrev_b32_e32 v84, 20, v82
	v_and_or_b32 v84, 0x700, v84, v0
	s_delay_alu instid0(VALU_DEP_1) | instskip(SKIP_2) | instid1(VALU_DEP_2)
	v_alignbit_b32 v82, v84, v82, 31
	s_waitcnt lgkmcnt(0)
	v_add_nc_u16 v84, v94, 1
	v_lshlrev_b32_e32 v82, 1, v82
	ds_store_b16 v80, v84
	ds_load_u16 v96, v82
	v_lshlrev_b32_e32 v84, s11, v34
	s_delay_alu instid0(VALU_DEP_1) | instskip(NEXT) | instid1(VALU_DEP_1)
	v_lshrrev_b32_e32 v86, 20, v84
	v_and_or_b32 v86, 0x700, v86, v0
	s_delay_alu instid0(VALU_DEP_1) | instskip(SKIP_2) | instid1(VALU_DEP_2)
	v_alignbit_b32 v84, v86, v84, 31
	s_waitcnt lgkmcnt(0)
	v_add_nc_u16 v86, v96, 1
	v_lshlrev_b32_e32 v84, 1, v84
	;; [unrolled: 11-line block ×7, first 2 shown]
	ds_store_b16 v93, v102
	ds_load_u16 v102, v95
	s_waitcnt lgkmcnt(0)
	v_add_nc_u16 v103, v102, 1
	ds_store_b16 v95, v103
	s_waitcnt lgkmcnt(0)
	s_barrier
	buffer_gl0_inv
	ds_load_2addr_b32 v[103:104], v1 offset1:1
	ds_load_2addr_b32 v[105:106], v1 offset0:2 offset1:3
	ds_load_2addr_b32 v[107:108], v1 offset0:4 offset1:5
	;; [unrolled: 1-line block ×3, first 2 shown]
	s_waitcnt lgkmcnt(3)
	v_add_nc_u32_e32 v103, v104, v103
	s_waitcnt lgkmcnt(2)
	s_delay_alu instid0(VALU_DEP_1) | instskip(SKIP_1) | instid1(VALU_DEP_1)
	v_add3_u32 v103, v103, v105, v106
	s_waitcnt lgkmcnt(1)
	v_add3_u32 v103, v103, v107, v108
	s_waitcnt lgkmcnt(0)
	s_delay_alu instid0(VALU_DEP_1) | instskip(NEXT) | instid1(VALU_DEP_1)
	v_add3_u32 v103, v103, v109, v110
	v_mov_b32_dpp v104, v103 row_shr:1 row_mask:0xf bank_mask:0xf
	s_delay_alu instid0(VALU_DEP_1) | instskip(NEXT) | instid1(VALU_DEP_1)
	v_cndmask_b32_e64 v104, v104, 0, s2
	v_add_nc_u32_e32 v103, v104, v103
	s_delay_alu instid0(VALU_DEP_1) | instskip(NEXT) | instid1(VALU_DEP_1)
	v_mov_b32_dpp v104, v103 row_shr:2 row_mask:0xf bank_mask:0xf
	v_cndmask_b32_e64 v104, 0, v104, s3
	s_delay_alu instid0(VALU_DEP_1) | instskip(NEXT) | instid1(VALU_DEP_1)
	v_add_nc_u32_e32 v103, v103, v104
	v_mov_b32_dpp v104, v103 row_shr:4 row_mask:0xf bank_mask:0xf
	s_delay_alu instid0(VALU_DEP_1) | instskip(NEXT) | instid1(VALU_DEP_1)
	v_cndmask_b32_e64 v104, 0, v104, s4
	v_add_nc_u32_e32 v103, v103, v104
	s_delay_alu instid0(VALU_DEP_1) | instskip(NEXT) | instid1(VALU_DEP_1)
	v_mov_b32_dpp v104, v103 row_shr:8 row_mask:0xf bank_mask:0xf
	v_cndmask_b32_e64 v104, 0, v104, s5
	s_delay_alu instid0(VALU_DEP_1) | instskip(SKIP_3) | instid1(VALU_DEP_1)
	v_add_nc_u32_e32 v103, v103, v104
	ds_swizzle_b32 v104, v103 offset:swizzle(BROADCAST,32,15)
	s_waitcnt lgkmcnt(0)
	v_cndmask_b32_e64 v104, v104, 0, s6
	v_add_nc_u32_e32 v103, v103, v104
	s_and_saveexec_b32 s11, s7
	s_cbranch_execz .LBB27_8
; %bb.7:                                ;   in Loop: Header=BB27_4 Depth=2
	ds_store_b32 v4, v103 offset:8192
.LBB27_8:                               ;   in Loop: Header=BB27_4 Depth=2
	s_or_b32 exec_lo, exec_lo, s11
	s_waitcnt lgkmcnt(0)
	s_barrier
	buffer_gl0_inv
	s_and_saveexec_b32 s11, vcc_lo
	s_cbranch_execz .LBB27_10
; %bb.9:                                ;   in Loop: Header=BB27_4 Depth=2
	ds_load_b32 v104, v3 offset:8192
	s_waitcnt lgkmcnt(0)
	v_mov_b32_dpp v105, v104 row_shr:1 row_mask:0xf bank_mask:0xf
	s_delay_alu instid0(VALU_DEP_1) | instskip(NEXT) | instid1(VALU_DEP_1)
	v_cndmask_b32_e64 v105, v105, 0, s8
	v_add_nc_u32_e32 v104, v105, v104
	s_delay_alu instid0(VALU_DEP_1) | instskip(NEXT) | instid1(VALU_DEP_1)
	v_mov_b32_dpp v105, v104 row_shr:2 row_mask:0xf bank_mask:0xf
	v_cndmask_b32_e64 v105, 0, v105, s9
	s_delay_alu instid0(VALU_DEP_1) | instskip(NEXT) | instid1(VALU_DEP_1)
	v_add_nc_u32_e32 v104, v104, v105
	v_mov_b32_dpp v105, v104 row_shr:4 row_mask:0xf bank_mask:0xf
	s_delay_alu instid0(VALU_DEP_1) | instskip(NEXT) | instid1(VALU_DEP_1)
	v_cndmask_b32_e64 v105, 0, v105, s10
	v_add_nc_u32_e32 v104, v104, v105
	ds_store_b32 v3, v104 offset:8192
.LBB27_10:                              ;   in Loop: Header=BB27_4 Depth=2
	s_or_b32 exec_lo, exec_lo, s11
	v_mov_b32_e32 v104, 0
	s_waitcnt lgkmcnt(0)
	s_barrier
	buffer_gl0_inv
	s_and_saveexec_b32 s11, s0
	s_cbranch_execz .LBB27_3
; %bb.11:                               ;   in Loop: Header=BB27_4 Depth=2
	ds_load_b32 v104, v4 offset:8188
	s_branch .LBB27_3
.LBB27_12:
	v_and_b32_e32 v0, 0xffff, v45
	v_and_b32_e32 v3, 0xffff, v48
	v_and_b32_e32 v4, 0xffff, v50
	v_and_b32_e32 v5, 0xffff, v52
	v_and_b32_e32 v6, 0xffff, v54
	v_and_b32_e32 v7, 0xffff, v56
	v_and_b32_e32 v8, 0xffff, v58
	v_and_b32_e32 v9, 0xffff, v60
	v_and_b32_e32 v10, 0xffff, v61
	v_and_b32_e32 v11, 0xffff, v63
	v_and_b32_e32 v13, 0xffff, v64
	ds_load_u16 v37, v49
	ds_load_u16 v38, v46
	ds_load_u16 v39, v44
	ds_load_u16 v40, v43
	ds_load_u16 v41, v42
	ds_load_u16 v35, v35
	ds_load_u16 v23, v23
	ds_load_u16 v2, v12
	ds_load_u16 v42, v69
	ds_load_u16 v43, v62
	ds_load_u16 v44, v59
	ds_load_u16 v45, v57
	ds_load_u16 v46, v55
	ds_load_u16 v12, v53
	ds_load_u16 v48, v51
	ds_load_u16 v47, v47
	ds_load_u16 v49, v81
	ds_load_u16 v50, v79
	ds_load_u16 v51, v77
	ds_load_u16 v52, v76
	ds_load_u16 v53, v75
	ds_load_u16 v54, v73
	ds_load_u16 v55, v72
	ds_load_u16 v56, v70
	ds_load_u16 v57, v95
	ds_load_u16 v58, v93
	ds_load_u16 v59, v91
	ds_load_u16 v60, v89
	ds_load_u16 v61, v86
	ds_load_u16 v62, v84
	ds_load_u16 v63, v82
	ds_load_u16 v64, v80
	v_and_b32_e32 v14, 0xffff, v65
	v_and_b32_e32 v15, 0xffff, v66
	;; [unrolled: 1-line block ×21, first 2 shown]
	s_waitcnt lgkmcnt(24)
	v_add_nc_u32_e32 v2, v2, v0
	v_add_nc_u32_e32 v3, v23, v3
	;; [unrolled: 1-line block ×4, first 2 shown]
	v_lshlrev_b32_e32 v0, 2, v1
	v_add_nc_u32_e32 v6, v40, v6
	v_add_nc_u32_e32 v7, v39, v7
	;; [unrolled: 1-line block ×4, first 2 shown]
	s_waitcnt lgkmcnt(16)
	v_add_nc_u32_e32 v10, v47, v10
	v_add_nc_u32_e32 v11, v48, v11
	v_add_nc_u32_e32 v12, v12, v13
	v_add_nc_u32_e32 v13, v46, v14
	s_add_u32 s0, s18, s12
	v_add_nc_u32_e32 v14, v45, v15
	v_add_nc_u32_e32 v15, v44, v16
	v_add_nc_u32_e32 v16, v43, v17
	v_add_nc_u32_e32 v17, v42, v18
	s_addc_u32 s1, s19, s13
	s_waitcnt lgkmcnt(8)
	v_add_nc_u32_e32 v18, v56, v19
	v_add_nc_u32_e32 v19, v55, v20
	;; [unrolled: 1-line block ×8, first 2 shown]
	s_waitcnt lgkmcnt(0)
	v_add_nc_u32_e32 v26, v64, v28
	v_add_nc_u32_e32 v27, v63, v29
	v_add_nc_u32_e32 v28, v62, v30
	v_add_nc_u32_e32 v29, v61, v31
	v_add_nc_u32_e32 v30, v60, v32
	v_add_nc_u32_e32 v31, v59, v33
	v_add_nc_u32_e32 v32, v58, v34
	v_add_nc_u32_e32 v33, v57, v36
	s_clause 0x7
	global_store_b128 v0, v[2:5], s[0:1]
	global_store_b128 v0, v[6:9], s[0:1] offset:16
	global_store_b128 v0, v[10:13], s[0:1] offset:32
	global_store_b128 v0, v[14:17], s[0:1] offset:48
	global_store_b128 v0, v[18:21], s[0:1] offset:64
	global_store_b128 v0, v[22:25], s[0:1] offset:80
	global_store_b128 v0, v[26:29], s[0:1] offset:96
	global_store_b128 v0, v[30:33], s[0:1] offset:112
	s_nop 0
	s_sendmsg sendmsg(MSG_DEALLOC_VGPRS)
	s_endpgm
	.section	.rodata,"a",@progbits
	.p2align	6, 0x0
	.amdhsa_kernel _Z11rank_kernelIiLj4ELb0EL18RadixRankAlgorithm0ELj256ELj32ELj10EEvPKT_Pi
		.amdhsa_group_segment_fixed_size 8224
		.amdhsa_private_segment_fixed_size 0
		.amdhsa_kernarg_size 16
		.amdhsa_user_sgpr_count 15
		.amdhsa_user_sgpr_dispatch_ptr 0
		.amdhsa_user_sgpr_queue_ptr 0
		.amdhsa_user_sgpr_kernarg_segment_ptr 1
		.amdhsa_user_sgpr_dispatch_id 0
		.amdhsa_user_sgpr_private_segment_size 0
		.amdhsa_wavefront_size32 1
		.amdhsa_uses_dynamic_stack 0
		.amdhsa_enable_private_segment 0
		.amdhsa_system_sgpr_workgroup_id_x 1
		.amdhsa_system_sgpr_workgroup_id_y 0
		.amdhsa_system_sgpr_workgroup_id_z 0
		.amdhsa_system_sgpr_workgroup_info 0
		.amdhsa_system_vgpr_workitem_id 0
		.amdhsa_next_free_vgpr 111
		.amdhsa_next_free_sgpr 22
		.amdhsa_reserve_vcc 1
		.amdhsa_float_round_mode_32 0
		.amdhsa_float_round_mode_16_64 0
		.amdhsa_float_denorm_mode_32 3
		.amdhsa_float_denorm_mode_16_64 3
		.amdhsa_dx10_clamp 1
		.amdhsa_ieee_mode 1
		.amdhsa_fp16_overflow 0
		.amdhsa_workgroup_processor_mode 1
		.amdhsa_memory_ordered 1
		.amdhsa_forward_progress 0
		.amdhsa_shared_vgpr_count 0
		.amdhsa_exception_fp_ieee_invalid_op 0
		.amdhsa_exception_fp_denorm_src 0
		.amdhsa_exception_fp_ieee_div_zero 0
		.amdhsa_exception_fp_ieee_overflow 0
		.amdhsa_exception_fp_ieee_underflow 0
		.amdhsa_exception_fp_ieee_inexact 0
		.amdhsa_exception_int_div_zero 0
	.end_amdhsa_kernel
	.section	.text._Z11rank_kernelIiLj4ELb0EL18RadixRankAlgorithm0ELj256ELj32ELj10EEvPKT_Pi,"axG",@progbits,_Z11rank_kernelIiLj4ELb0EL18RadixRankAlgorithm0ELj256ELj32ELj10EEvPKT_Pi,comdat
.Lfunc_end27:
	.size	_Z11rank_kernelIiLj4ELb0EL18RadixRankAlgorithm0ELj256ELj32ELj10EEvPKT_Pi, .Lfunc_end27-_Z11rank_kernelIiLj4ELb0EL18RadixRankAlgorithm0ELj256ELj32ELj10EEvPKT_Pi
                                        ; -- End function
	.section	.AMDGPU.csdata,"",@progbits
; Kernel info:
; codeLenInByte = 4196
; NumSgprs: 24
; NumVgprs: 111
; ScratchSize: 0
; MemoryBound: 0
; FloatMode: 240
; IeeeMode: 1
; LDSByteSize: 8224 bytes/workgroup (compile time only)
; SGPRBlocks: 2
; VGPRBlocks: 13
; NumSGPRsForWavesPerEU: 24
; NumVGPRsForWavesPerEU: 111
; Occupancy: 12
; WaveLimiterHint : 0
; COMPUTE_PGM_RSRC2:SCRATCH_EN: 0
; COMPUTE_PGM_RSRC2:USER_SGPR: 15
; COMPUTE_PGM_RSRC2:TRAP_HANDLER: 0
; COMPUTE_PGM_RSRC2:TGID_X_EN: 1
; COMPUTE_PGM_RSRC2:TGID_Y_EN: 0
; COMPUTE_PGM_RSRC2:TGID_Z_EN: 0
; COMPUTE_PGM_RSRC2:TIDIG_COMP_CNT: 0
	.section	.text._Z11rank_kernelIiLj4ELb0EL18RadixRankAlgorithm1ELj256ELj32ELj10EEvPKT_Pi,"axG",@progbits,_Z11rank_kernelIiLj4ELb0EL18RadixRankAlgorithm1ELj256ELj32ELj10EEvPKT_Pi,comdat
	.protected	_Z11rank_kernelIiLj4ELb0EL18RadixRankAlgorithm1ELj256ELj32ELj10EEvPKT_Pi ; -- Begin function _Z11rank_kernelIiLj4ELb0EL18RadixRankAlgorithm1ELj256ELj32ELj10EEvPKT_Pi
	.globl	_Z11rank_kernelIiLj4ELb0EL18RadixRankAlgorithm1ELj256ELj32ELj10EEvPKT_Pi
	.p2align	8
	.type	_Z11rank_kernelIiLj4ELb0EL18RadixRankAlgorithm1ELj256ELj32ELj10EEvPKT_Pi,@function
_Z11rank_kernelIiLj4ELb0EL18RadixRankAlgorithm1ELj256ELj32ELj10EEvPKT_Pi: ; @_Z11rank_kernelIiLj4ELb0EL18RadixRankAlgorithm1ELj256ELj32ELj10EEvPKT_Pi
; %bb.0:
	s_load_b128 s[16:19], s[0:1], 0x0
	s_mov_b32 s21, 0
	s_lshl_b32 s20, s15, 13
	v_dual_mov_b32 v10, 0 :: v_dual_lshlrev_b32 v9, 7, v0
	s_lshl_b64 s[12:13], s[20:21], 2
	v_mbcnt_lo_u32_b32 v12, -1, 0
	v_or_b32_e32 v15, 31, v0
	v_lshrrev_b32_e32 v17, 3, v0
	v_cmp_gt_u32_e32 vcc_lo, 8, v0
	v_lshlrev_b32_e32 v11, 2, v0
	v_add_nc_u32_e32 v16, -1, v12
	v_and_b32_e32 v13, 15, v12
	v_and_b32_e32 v14, 16, v12
	;; [unrolled: 1-line block ×3, first 2 shown]
	v_cmp_eq_u32_e64 s7, v15, v0
	v_cmp_gt_i32_e64 s8, 0, v16
	v_cmp_eq_u32_e64 s2, 0, v13
	v_cmp_lt_u32_e64 s3, 1, v13
	v_cmp_lt_u32_e64 s4, 3, v13
	s_waitcnt lgkmcnt(0)
	s_add_u32 s0, s16, s12
	s_addc_u32 s1, s17, s13
	v_cmp_lt_u32_e64 s5, 7, v13
	s_clause 0x7
	global_load_b128 v[1:4], v9, s[0:1]
	global_load_b128 v[5:8], v9, s[0:1] offset:16
	global_load_b128 v[23:26], v9, s[0:1] offset:32
	;; [unrolled: 1-line block ×7, first 2 shown]
	v_cndmask_b32_e64 v13, v16, v12, s8
	v_lshlrev_b32_e32 v9, 5, v0
	v_cmp_lt_u32_e64 s0, 31, v0
	v_cmp_eq_u32_e64 s1, 0, v12
	v_cmp_eq_u32_e64 s6, 0, v14
	v_and_b32_e32 v12, 28, v17
	v_cmp_eq_u32_e64 s8, 0, v18
	v_cmp_lt_u32_e64 s9, 1, v18
	v_cmp_lt_u32_e64 s10, 3, v18
	v_lshlrev_b32_e32 v13, 2, v13
	v_or_b32_e32 v49, 0xffffff00, v0
	s_waitcnt vmcnt(7)
	v_xor_b32_e32 v14, 0x80000000, v1
	v_xor_b32_e32 v15, 0x80000000, v2
	v_xor_b32_e32 v16, 0x80000000, v3
	v_xor_b32_e32 v17, 0x80000000, v4
	s_waitcnt vmcnt(6)
	v_xor_b32_e32 v18, 0x80000000, v5
	v_xor_b32_e32 v19, 0x80000000, v6
	v_xor_b32_e32 v21, 0x80000000, v7
	v_xor_b32_e32 v22, 0x80000000, v8
	;; [unrolled: 5-line block ×8, first 2 shown]
	s_branch .LBB28_2
.LBB28_1:                               ;   in Loop: Header=BB28_2 Depth=1
	s_add_i32 s21, s21, 1
	s_delay_alu instid0(SALU_CYCLE_1)
	s_cmp_eq_u32 s21, 10
	s_cbranch_scc1 .LBB28_12
.LBB28_2:                               ; =>This Loop Header: Depth=1
                                        ;     Child Loop BB28_4 Depth 2
                                        ;       Child Loop BB28_5 Depth 3
	s_mov_b32 s14, 0
	s_branch .LBB28_4
.LBB28_3:                               ;   in Loop: Header=BB28_4 Depth=2
	s_or_b32 exec_lo, exec_lo, s11
	s_waitcnt lgkmcnt(0)
	v_add_nc_u32_e32 v2, v111, v2
	ds_load_b32 v112, v10 offset:8220
	s_add_i32 s11, s14, 4
	s_cmp_lt_u32 s14, 28
	s_mov_b32 s14, s11
	ds_bpermute_b32 v2, v13, v2
	s_waitcnt lgkmcnt(0)
	v_cndmask_b32_e64 v2, v2, v111, s1
	s_delay_alu instid0(VALU_DEP_1) | instskip(NEXT) | instid1(VALU_DEP_1)
	v_lshl_add_u32 v2, v112, 16, v2
	v_add_nc_u32_e32 v3, v2, v3
	s_delay_alu instid0(VALU_DEP_1) | instskip(NEXT) | instid1(VALU_DEP_1)
	v_add_nc_u32_e32 v4, v3, v4
	v_add_nc_u32_e32 v5, v4, v5
	s_delay_alu instid0(VALU_DEP_1) | instskip(NEXT) | instid1(VALU_DEP_1)
	v_add_nc_u32_e32 v6, v5, v6
	;; [unrolled: 3-line block ×3, first 2 shown]
	v_add_nc_u32_e32 v1, v8, v1
	ds_store_2addr_b32 v9, v2, v3 offset1:1
	ds_store_2addr_b32 v9, v4, v5 offset0:2 offset1:3
	ds_store_2addr_b32 v9, v6, v7 offset0:4 offset1:5
	;; [unrolled: 1-line block ×3, first 2 shown]
	s_waitcnt lgkmcnt(0)
	s_barrier
	buffer_gl0_inv
	s_cbranch_scc0 .LBB28_1
.LBB28_4:                               ;   Parent Loop BB28_2 Depth=1
                                        ; =>  This Loop Header: Depth=2
                                        ;       Child Loop BB28_5 Depth 3
	v_dual_mov_b32 v1, v49 :: v_dual_mov_b32 v2, v11
	s_mov_b32 s15, 0
.LBB28_5:                               ;   Parent Loop BB28_2 Depth=1
                                        ;     Parent Loop BB28_4 Depth=2
                                        ; =>    This Inner Loop Header: Depth=3
	s_delay_alu instid0(VALU_DEP_1) | instskip(SKIP_3) | instid1(VALU_DEP_1)
	v_add_nc_u32_e32 v1, 0x100, v1
	ds_store_b32 v2, v10
	v_add_nc_u32_e32 v2, 0x400, v2
	v_cmp_lt_u32_e64 s11, 0x6ff, v1
	s_or_b32 s15, s11, s15
	s_delay_alu instid0(SALU_CYCLE_1)
	s_and_not1_b32 exec_lo, exec_lo, s15
	s_cbranch_execnz .LBB28_5
; %bb.6:                                ;   in Loop: Header=BB28_4 Depth=2
	s_or_b32 exec_lo, exec_lo, s15
	s_sub_i32 s11, 28, s14
	s_delay_alu instid0(SALU_CYCLE_1) | instskip(NEXT) | instid1(VALU_DEP_1)
	v_lshlrev_b32_e32 v1, s11, v14
	v_lshrrev_b32_e32 v2, 20, v1
	s_delay_alu instid0(VALU_DEP_1) | instskip(NEXT) | instid1(VALU_DEP_1)
	v_and_or_b32 v2, 0x700, v2, v0
	v_alignbit_b32 v1, v2, v1, 31
	s_delay_alu instid0(VALU_DEP_1) | instskip(SKIP_3) | instid1(VALU_DEP_1)
	v_lshlrev_b32_e32 v20, 1, v1
	v_lshlrev_b32_e32 v1, s11, v15
	ds_load_u16 v53, v20
	v_lshrrev_b32_e32 v2, 20, v1
	v_and_or_b32 v2, 0x700, v2, v0
	s_delay_alu instid0(VALU_DEP_1) | instskip(NEXT) | instid1(VALU_DEP_1)
	v_alignbit_b32 v1, v2, v1, 31
	v_lshlrev_b32_e32 v31, 1, v1
	v_lshlrev_b32_e32 v1, s11, v16
	s_waitcnt lgkmcnt(0)
	v_add_nc_u16 v2, v53, 1
	ds_store_b16 v20, v2
	ds_load_u16 v56, v31
	v_lshrrev_b32_e32 v2, 20, v1
	s_delay_alu instid0(VALU_DEP_1) | instskip(NEXT) | instid1(VALU_DEP_1)
	v_and_or_b32 v2, 0x700, v2, v0
	v_alignbit_b32 v1, v2, v1, 31
	s_delay_alu instid0(VALU_DEP_1)
	v_lshlrev_b32_e32 v43, 1, v1
	v_lshlrev_b32_e32 v1, s11, v17
	s_waitcnt lgkmcnt(0)
	v_add_nc_u16 v2, v56, 1
	ds_store_b16 v31, v2
	ds_load_u16 v58, v43
	v_lshrrev_b32_e32 v2, 20, v1
	s_delay_alu instid0(VALU_DEP_1) | instskip(NEXT) | instid1(VALU_DEP_1)
	v_and_or_b32 v2, 0x700, v2, v0
	v_alignbit_b32 v1, v2, v1, 31
	s_delay_alu instid0(VALU_DEP_1)
	;; [unrolled: 11-line block ×30, first 2 shown]
	v_lshlrev_b32_e32 v103, 1, v1
	s_waitcnt lgkmcnt(0)
	v_add_nc_u16 v2, v109, 1
	ds_store_b16 v101, v2
	ds_load_u16 v110, v103
	s_waitcnt lgkmcnt(0)
	v_add_nc_u16 v1, v110, 1
	ds_store_b16 v103, v1
	s_waitcnt lgkmcnt(0)
	s_barrier
	buffer_gl0_inv
	ds_load_2addr_b32 v[3:4], v9 offset1:1
	ds_load_2addr_b32 v[5:6], v9 offset0:2 offset1:3
	ds_load_2addr_b32 v[7:8], v9 offset0:4 offset1:5
	;; [unrolled: 1-line block ×3, first 2 shown]
	s_waitcnt lgkmcnt(3)
	v_add_nc_u32_e32 v111, v4, v3
	s_waitcnt lgkmcnt(2)
	s_delay_alu instid0(VALU_DEP_1) | instskip(SKIP_1) | instid1(VALU_DEP_1)
	v_add3_u32 v111, v111, v5, v6
	s_waitcnt lgkmcnt(1)
	v_add3_u32 v111, v111, v7, v8
	s_waitcnt lgkmcnt(0)
	s_delay_alu instid0(VALU_DEP_1) | instskip(NEXT) | instid1(VALU_DEP_1)
	v_add3_u32 v2, v111, v1, v2
	v_mov_b32_dpp v111, v2 row_shr:1 row_mask:0xf bank_mask:0xf
	s_delay_alu instid0(VALU_DEP_1) | instskip(NEXT) | instid1(VALU_DEP_1)
	v_cndmask_b32_e64 v111, v111, 0, s2
	v_add_nc_u32_e32 v2, v111, v2
	s_delay_alu instid0(VALU_DEP_1) | instskip(NEXT) | instid1(VALU_DEP_1)
	v_mov_b32_dpp v111, v2 row_shr:2 row_mask:0xf bank_mask:0xf
	v_cndmask_b32_e64 v111, 0, v111, s3
	s_delay_alu instid0(VALU_DEP_1) | instskip(NEXT) | instid1(VALU_DEP_1)
	v_add_nc_u32_e32 v2, v2, v111
	v_mov_b32_dpp v111, v2 row_shr:4 row_mask:0xf bank_mask:0xf
	s_delay_alu instid0(VALU_DEP_1) | instskip(NEXT) | instid1(VALU_DEP_1)
	v_cndmask_b32_e64 v111, 0, v111, s4
	v_add_nc_u32_e32 v2, v2, v111
	s_delay_alu instid0(VALU_DEP_1) | instskip(NEXT) | instid1(VALU_DEP_1)
	v_mov_b32_dpp v111, v2 row_shr:8 row_mask:0xf bank_mask:0xf
	v_cndmask_b32_e64 v111, 0, v111, s5
	s_delay_alu instid0(VALU_DEP_1) | instskip(SKIP_3) | instid1(VALU_DEP_1)
	v_add_nc_u32_e32 v2, v2, v111
	ds_swizzle_b32 v111, v2 offset:swizzle(BROADCAST,32,15)
	s_waitcnt lgkmcnt(0)
	v_cndmask_b32_e64 v111, v111, 0, s6
	v_add_nc_u32_e32 v2, v2, v111
	s_and_saveexec_b32 s11, s7
	s_cbranch_execz .LBB28_8
; %bb.7:                                ;   in Loop: Header=BB28_4 Depth=2
	ds_store_b32 v12, v2 offset:8192
.LBB28_8:                               ;   in Loop: Header=BB28_4 Depth=2
	s_or_b32 exec_lo, exec_lo, s11
	s_waitcnt lgkmcnt(0)
	s_barrier
	buffer_gl0_inv
	s_and_saveexec_b32 s11, vcc_lo
	s_cbranch_execz .LBB28_10
; %bb.9:                                ;   in Loop: Header=BB28_4 Depth=2
	ds_load_b32 v111, v11 offset:8192
	s_waitcnt lgkmcnt(0)
	v_mov_b32_dpp v112, v111 row_shr:1 row_mask:0xf bank_mask:0xf
	s_delay_alu instid0(VALU_DEP_1) | instskip(NEXT) | instid1(VALU_DEP_1)
	v_cndmask_b32_e64 v112, v112, 0, s8
	v_add_nc_u32_e32 v111, v112, v111
	s_delay_alu instid0(VALU_DEP_1) | instskip(NEXT) | instid1(VALU_DEP_1)
	v_mov_b32_dpp v112, v111 row_shr:2 row_mask:0xf bank_mask:0xf
	v_cndmask_b32_e64 v112, 0, v112, s9
	s_delay_alu instid0(VALU_DEP_1) | instskip(NEXT) | instid1(VALU_DEP_1)
	v_add_nc_u32_e32 v111, v111, v112
	v_mov_b32_dpp v112, v111 row_shr:4 row_mask:0xf bank_mask:0xf
	s_delay_alu instid0(VALU_DEP_1) | instskip(NEXT) | instid1(VALU_DEP_1)
	v_cndmask_b32_e64 v112, 0, v112, s10
	v_add_nc_u32_e32 v111, v111, v112
	ds_store_b32 v11, v111 offset:8192
.LBB28_10:                              ;   in Loop: Header=BB28_4 Depth=2
	s_or_b32 exec_lo, exec_lo, s11
	v_mov_b32_e32 v111, 0
	s_waitcnt lgkmcnt(0)
	s_barrier
	buffer_gl0_inv
	s_and_saveexec_b32 s11, s0
	s_cbranch_execz .LBB28_3
; %bb.11:                               ;   in Loop: Header=BB28_4 Depth=2
	ds_load_b32 v111, v12 offset:8188
	s_branch .LBB28_3
.LBB28_12:
	v_and_b32_e32 v0, 0xffff, v53
	v_and_b32_e32 v1, 0xffff, v56
	;; [unrolled: 1-line block ×6, first 2 shown]
	ds_load_u16 v10, v57
	ds_load_u16 v36, v54
	ds_load_u16 v37, v52
	ds_load_u16 v38, v51
	ds_load_u16 v39, v50
	ds_load_u16 v40, v43
	ds_load_u16 v31, v31
	ds_load_u16 v20, v20
	ds_load_u16 v41, v77
	ds_load_u16 v42, v70
	ds_load_u16 v43, v67
	ds_load_u16 v44, v65
	ds_load_u16 v45, v63
	ds_load_u16 v46, v61
	ds_load_u16 v47, v59
	ds_load_u16 v48, v55
	ds_load_u16 v49, v89
	ds_load_u16 v50, v87
	ds_load_u16 v51, v85
	ds_load_u16 v52, v84
	ds_load_u16 v53, v83
	ds_load_u16 v54, v81
	ds_load_u16 v55, v80
	ds_load_u16 v56, v78
	ds_load_u16 v57, v103
	ds_load_u16 v58, v101
	ds_load_u16 v59, v99
	ds_load_u16 v60, v97
	ds_load_u16 v61, v94
	ds_load_u16 v62, v92
	ds_load_u16 v63, v90
	ds_load_u16 v64, v88
	v_and_b32_e32 v7, 0xffff, v68
	v_and_b32_e32 v8, 0xffff, v69
	;; [unrolled: 1-line block ×26, first 2 shown]
	s_waitcnt lgkmcnt(24)
	v_add_nc_u32_e32 v0, v20, v0
	v_add_nc_u32_e32 v1, v31, v1
	;; [unrolled: 1-line block ×5, first 2 shown]
	s_waitcnt lgkmcnt(16)
	v_add_nc_u32_e32 v10, v48, v8
	v_lshlrev_b32_e32 v8, 2, v9
	v_add_nc_u32_e32 v4, v38, v4
	v_add_nc_u32_e32 v5, v37, v5
	;; [unrolled: 1-line block ×6, first 2 shown]
	s_add_u32 s0, s18, s12
	v_add_nc_u32_e32 v14, v44, v14
	v_add_nc_u32_e32 v15, v43, v15
	v_add_nc_u32_e32 v16, v42, v16
	v_add_nc_u32_e32 v17, v41, v17
	s_addc_u32 s1, s19, s13
	s_waitcnt lgkmcnt(8)
	v_add_nc_u32_e32 v18, v56, v18
	v_add_nc_u32_e32 v19, v55, v19
	;; [unrolled: 1-line block ×8, first 2 shown]
	s_waitcnt lgkmcnt(0)
	v_add_nc_u32_e32 v26, v64, v27
	v_add_nc_u32_e32 v27, v63, v28
	;; [unrolled: 1-line block ×8, first 2 shown]
	s_clause 0x7
	global_store_b128 v8, v[0:3], s[0:1]
	global_store_b128 v8, v[4:7], s[0:1] offset:16
	global_store_b128 v8, v[10:13], s[0:1] offset:32
	;; [unrolled: 1-line block ×7, first 2 shown]
	s_nop 0
	s_sendmsg sendmsg(MSG_DEALLOC_VGPRS)
	s_endpgm
	.section	.rodata,"a",@progbits
	.p2align	6, 0x0
	.amdhsa_kernel _Z11rank_kernelIiLj4ELb0EL18RadixRankAlgorithm1ELj256ELj32ELj10EEvPKT_Pi
		.amdhsa_group_segment_fixed_size 8224
		.amdhsa_private_segment_fixed_size 0
		.amdhsa_kernarg_size 16
		.amdhsa_user_sgpr_count 15
		.amdhsa_user_sgpr_dispatch_ptr 0
		.amdhsa_user_sgpr_queue_ptr 0
		.amdhsa_user_sgpr_kernarg_segment_ptr 1
		.amdhsa_user_sgpr_dispatch_id 0
		.amdhsa_user_sgpr_private_segment_size 0
		.amdhsa_wavefront_size32 1
		.amdhsa_uses_dynamic_stack 0
		.amdhsa_enable_private_segment 0
		.amdhsa_system_sgpr_workgroup_id_x 1
		.amdhsa_system_sgpr_workgroup_id_y 0
		.amdhsa_system_sgpr_workgroup_id_z 0
		.amdhsa_system_sgpr_workgroup_info 0
		.amdhsa_system_vgpr_workitem_id 0
		.amdhsa_next_free_vgpr 113
		.amdhsa_next_free_sgpr 22
		.amdhsa_reserve_vcc 1
		.amdhsa_float_round_mode_32 0
		.amdhsa_float_round_mode_16_64 0
		.amdhsa_float_denorm_mode_32 3
		.amdhsa_float_denorm_mode_16_64 3
		.amdhsa_dx10_clamp 1
		.amdhsa_ieee_mode 1
		.amdhsa_fp16_overflow 0
		.amdhsa_workgroup_processor_mode 1
		.amdhsa_memory_ordered 1
		.amdhsa_forward_progress 0
		.amdhsa_shared_vgpr_count 0
		.amdhsa_exception_fp_ieee_invalid_op 0
		.amdhsa_exception_fp_denorm_src 0
		.amdhsa_exception_fp_ieee_div_zero 0
		.amdhsa_exception_fp_ieee_overflow 0
		.amdhsa_exception_fp_ieee_underflow 0
		.amdhsa_exception_fp_ieee_inexact 0
		.amdhsa_exception_int_div_zero 0
	.end_amdhsa_kernel
	.section	.text._Z11rank_kernelIiLj4ELb0EL18RadixRankAlgorithm1ELj256ELj32ELj10EEvPKT_Pi,"axG",@progbits,_Z11rank_kernelIiLj4ELb0EL18RadixRankAlgorithm1ELj256ELj32ELj10EEvPKT_Pi,comdat
.Lfunc_end28:
	.size	_Z11rank_kernelIiLj4ELb0EL18RadixRankAlgorithm1ELj256ELj32ELj10EEvPKT_Pi, .Lfunc_end28-_Z11rank_kernelIiLj4ELb0EL18RadixRankAlgorithm1ELj256ELj32ELj10EEvPKT_Pi
                                        ; -- End function
	.section	.AMDGPU.csdata,"",@progbits
; Kernel info:
; codeLenInByte = 4156
; NumSgprs: 24
; NumVgprs: 113
; ScratchSize: 0
; MemoryBound: 0
; FloatMode: 240
; IeeeMode: 1
; LDSByteSize: 8224 bytes/workgroup (compile time only)
; SGPRBlocks: 2
; VGPRBlocks: 14
; NumSGPRsForWavesPerEU: 24
; NumVGPRsForWavesPerEU: 113
; Occupancy: 12
; WaveLimiterHint : 0
; COMPUTE_PGM_RSRC2:SCRATCH_EN: 0
; COMPUTE_PGM_RSRC2:USER_SGPR: 15
; COMPUTE_PGM_RSRC2:TRAP_HANDLER: 0
; COMPUTE_PGM_RSRC2:TGID_X_EN: 1
; COMPUTE_PGM_RSRC2:TGID_Y_EN: 0
; COMPUTE_PGM_RSRC2:TGID_Z_EN: 0
; COMPUTE_PGM_RSRC2:TIDIG_COMP_CNT: 0
	.section	.text._Z11rank_kernelIiLj4ELb0EL18RadixRankAlgorithm2ELj256ELj32ELj10EEvPKT_Pi,"axG",@progbits,_Z11rank_kernelIiLj4ELb0EL18RadixRankAlgorithm2ELj256ELj32ELj10EEvPKT_Pi,comdat
	.protected	_Z11rank_kernelIiLj4ELb0EL18RadixRankAlgorithm2ELj256ELj32ELj10EEvPKT_Pi ; -- Begin function _Z11rank_kernelIiLj4ELb0EL18RadixRankAlgorithm2ELj256ELj32ELj10EEvPKT_Pi
	.globl	_Z11rank_kernelIiLj4ELb0EL18RadixRankAlgorithm2ELj256ELj32ELj10EEvPKT_Pi
	.p2align	8
	.type	_Z11rank_kernelIiLj4ELb0EL18RadixRankAlgorithm2ELj256ELj32ELj10EEvPKT_Pi,@function
_Z11rank_kernelIiLj4ELb0EL18RadixRankAlgorithm2ELj256ELj32ELj10EEvPKT_Pi: ; @_Z11rank_kernelIiLj4ELb0EL18RadixRankAlgorithm2ELj256ELj32ELj10EEvPKT_Pi
; %bb.0:
	s_clause 0x1
	s_load_b128 s[16:19], s[0:1], 0x0
	s_load_b32 s8, s[0:1], 0x1c
	v_and_b32_e32 v3, 0x3ff, v0
	s_mov_b32 s13, 0
	s_lshl_b32 s12, s15, 13
	v_mbcnt_lo_u32_b32 v4, -1, 0
	s_lshl_b64 s[14:15], s[12:13], 2
	v_lshlrev_b32_e32 v1, 7, v3
	v_bfe_u32 v5, v0, 10, 10
	v_bfe_u32 v38, v0, 20, 10
	v_add_nc_u32_e32 v41, -1, v4
	v_and_b32_e32 v39, 15, v4
	v_cmp_eq_u32_e32 vcc_lo, 0, v4
	v_and_b32_e32 v42, 7, v4
	v_lshlrev_b32_e32 v0, 5, v3
	v_lshlrev_b32_e32 v2, 2, v3
	v_cmp_lt_u32_e64 s2, 3, v39
	v_cmp_lt_u32_e64 s3, 7, v39
	v_cmp_gt_u32_e64 s5, 8, v3
	v_cmp_lt_u32_e64 s6, 31, v3
	s_waitcnt lgkmcnt(0)
	s_add_u32 s0, s16, s14
	s_addc_u32 s1, s17, s15
	s_lshr_b32 s7, s8, 16
	s_clause 0x7
	global_load_b128 v[6:9], v1, s[0:1]
	global_load_b128 v[10:13], v1, s[0:1] offset:16
	global_load_b128 v[14:17], v1, s[0:1] offset:32
	;; [unrolled: 1-line block ×7, first 2 shown]
	v_mad_u32_u24 v5, v38, s7, v5
	v_cmp_gt_i32_e64 s7, 0, v41
	v_dual_mov_b32 v1, 0 :: v_dual_and_b32 v40, 16, v4
	v_cmp_eq_u32_e64 s0, 0, v39
	v_cmp_lt_u32_e64 s1, 1, v39
	s_delay_alu instid0(VALU_DEP_4)
	v_cndmask_b32_e64 v4, v41, v4, s7
	s_and_b32 s7, s8, 0xffff
	v_cmp_eq_u32_e64 s4, 0, v40
	v_or_b32_e32 v40, 31, v3
	v_cmp_lt_u32_e64 s8, 1, v42
	v_mad_u64_u32 v[38:39], null, v5, s7, v[3:4]
	v_lshrrev_b32_e32 v5, 3, v3
	s_delay_alu instid0(VALU_DEP_4)
	v_cmp_eq_u32_e64 s10, v40, v3
	v_lshlrev_b32_e32 v3, 2, v4
	v_cmp_eq_u32_e64 s7, 0, v42
	v_cmp_lt_u32_e64 s9, 3, v42
	v_and_b32_e32 v4, 28, v5
	v_lshrrev_b32_e32 v5, 5, v38
	s_delay_alu instid0(VALU_DEP_2)
	v_add_nc_u32_e32 v38, -4, v4
	s_waitcnt vmcnt(7)
	v_xor_b32_e32 v6, 0x80000000, v6
	v_xor_b32_e32 v7, 0x80000000, v7
	v_xor_b32_e32 v8, 0x80000000, v8
	v_xor_b32_e32 v9, 0x80000000, v9
	s_waitcnt vmcnt(6)
	v_xor_b32_e32 v10, 0x80000000, v10
	v_xor_b32_e32 v11, 0x80000000, v11
	v_xor_b32_e32 v12, 0x80000000, v12
	v_xor_b32_e32 v13, 0x80000000, v13
	;; [unrolled: 5-line block ×8, first 2 shown]
	s_branch .LBB29_2
.LBB29_1:                               ;   in Loop: Header=BB29_2 Depth=1
	s_add_i32 s13, s13, 1
	s_delay_alu instid0(SALU_CYCLE_1)
	s_cmp_eq_u32 s13, 10
	s_cbranch_scc1 .LBB29_74
.LBB29_2:                               ; =>This Loop Header: Depth=1
                                        ;     Child Loop BB29_4 Depth 2
	s_mov_b32 s16, -4
	s_mov_b32 s17, 28
	s_branch .LBB29_4
.LBB29_3:                               ;   in Loop: Header=BB29_4 Depth=2
	s_or_b32 exec_lo, exec_lo, s11
	s_waitcnt lgkmcnt(0)
	v_add_nc_u32_e32 v134, v135, v134
	s_add_i32 s16, s16, 4
	s_add_i32 s17, s17, -4
	s_cmp_lt_u32 s16, 28
	ds_bpermute_b32 v134, v3, v134
	s_waitcnt lgkmcnt(0)
	v_cndmask_b32_e32 v134, v134, v135, vcc_lo
	ds_store_b32 v2, v134 offset:32
	s_waitcnt lgkmcnt(0)
	s_barrier
	buffer_gl0_inv
	s_cbranch_scc0 .LBB29_1
.LBB29_4:                               ;   Parent Loop BB29_2 Depth=1
                                        ; =>  This Inner Loop Header: Depth=2
	v_lshlrev_b32_e32 v39, s17, v6
	ds_store_b32 v2, v1 offset:32
	s_waitcnt lgkmcnt(0)
	s_barrier
	buffer_gl0_inv
	v_bfe_u32 v40, v39, 28, 1
	v_lshrrev_b32_e32 v42, 28, v39
	v_not_b32_e32 v45, v39
	; wave barrier
	s_delay_alu instid0(VALU_DEP_3) | instskip(NEXT) | instid1(VALU_DEP_1)
	v_add_co_u32 v40, s11, v40, -1
	v_cndmask_b32_e64 v41, 0, 1, s11
	s_delay_alu instid0(VALU_DEP_4) | instskip(SKIP_1) | instid1(VALU_DEP_3)
	v_lshlrev_b32_e32 v43, 30, v42
	v_lshlrev_b32_e32 v44, 29, v42
	v_cmp_ne_u32_e64 s11, 0, v41
	s_delay_alu instid0(VALU_DEP_3) | instskip(SKIP_1) | instid1(VALU_DEP_4)
	v_not_b32_e32 v41, v43
	v_cmp_gt_i32_e64 s12, 0, v43
	v_not_b32_e32 v43, v44
	s_delay_alu instid0(VALU_DEP_4) | instskip(NEXT) | instid1(VALU_DEP_4)
	v_xor_b32_e32 v40, s11, v40
	v_ashrrev_i32_e32 v41, 31, v41
	v_cmp_gt_i32_e64 s11, 0, v44
	s_delay_alu instid0(VALU_DEP_4) | instskip(NEXT) | instid1(VALU_DEP_4)
	v_ashrrev_i32_e32 v43, 31, v43
	v_and_b32_e32 v40, exec_lo, v40
	s_delay_alu instid0(VALU_DEP_4) | instskip(SKIP_3) | instid1(VALU_DEP_4)
	v_xor_b32_e32 v41, s12, v41
	v_cmp_gt_i32_e64 s12, 0, v39
	v_ashrrev_i32_e32 v39, 31, v45
	v_xor_b32_e32 v43, s11, v43
	v_and_b32_e32 v40, v40, v41
	s_delay_alu instid0(VALU_DEP_3) | instskip(NEXT) | instid1(VALU_DEP_2)
	v_xor_b32_e32 v39, s12, v39
	v_and_b32_e32 v40, v40, v43
	s_delay_alu instid0(VALU_DEP_1) | instskip(SKIP_1) | instid1(VALU_DEP_2)
	v_and_b32_e32 v41, v40, v39
	v_mad_u32_u24 v40, v42, 9, v5
	v_mbcnt_lo_u32_b32 v39, v41, 0
	v_cmp_ne_u32_e64 s12, 0, v41
	s_delay_alu instid0(VALU_DEP_3) | instskip(NEXT) | instid1(VALU_DEP_3)
	v_lshl_add_u32 v40, v40, 2, 32
	v_cmp_eq_u32_e64 s11, 0, v39
	s_delay_alu instid0(VALU_DEP_1) | instskip(NEXT) | instid1(SALU_CYCLE_1)
	s_and_b32 s12, s11, s12
	s_and_saveexec_b32 s11, s12
	s_cbranch_execz .LBB29_6
; %bb.5:                                ;   in Loop: Header=BB29_4 Depth=2
	v_bcnt_u32_b32 v41, v41, 0
	ds_store_b32 v40, v41
.LBB29_6:                               ;   in Loop: Header=BB29_4 Depth=2
	s_or_b32 exec_lo, exec_lo, s11
	v_lshlrev_b32_e32 v41, s17, v7
	; wave barrier
	s_delay_alu instid0(VALU_DEP_1) | instskip(SKIP_2) | instid1(VALU_DEP_3)
	v_bfe_u32 v42, v41, 28, 1
	v_lshrrev_b32_e32 v43, 28, v41
	v_not_b32_e32 v47, v41
	v_add_co_u32 v42, s11, v42, -1
	s_delay_alu instid0(VALU_DEP_1) | instskip(NEXT) | instid1(VALU_DEP_4)
	v_cndmask_b32_e64 v44, 0, 1, s11
	v_lshlrev_b32_e32 v45, 30, v43
	v_lshlrev_b32_e32 v46, 29, v43
	s_delay_alu instid0(VALU_DEP_3) | instskip(NEXT) | instid1(VALU_DEP_3)
	v_cmp_ne_u32_e64 s11, 0, v44
	v_not_b32_e32 v44, v45
	v_cmp_gt_i32_e64 s12, 0, v45
	s_delay_alu instid0(VALU_DEP_4) | instskip(NEXT) | instid1(VALU_DEP_4)
	v_not_b32_e32 v45, v46
	v_xor_b32_e32 v42, s11, v42
	s_delay_alu instid0(VALU_DEP_4) | instskip(SKIP_1) | instid1(VALU_DEP_4)
	v_ashrrev_i32_e32 v44, 31, v44
	v_cmp_gt_i32_e64 s11, 0, v46
	v_ashrrev_i32_e32 v45, 31, v45
	s_delay_alu instid0(VALU_DEP_4) | instskip(NEXT) | instid1(VALU_DEP_4)
	v_and_b32_e32 v42, exec_lo, v42
	v_xor_b32_e32 v44, s12, v44
	v_cmp_gt_i32_e64 s12, 0, v41
	v_mul_u32_u24_e32 v41, 9, v43
	v_ashrrev_i32_e32 v43, 31, v47
	v_xor_b32_e32 v45, s11, v45
	v_and_b32_e32 v42, v42, v44
	s_delay_alu instid0(VALU_DEP_4) | instskip(NEXT) | instid1(VALU_DEP_4)
	v_add_lshl_u32 v46, v41, v5, 2
	v_xor_b32_e32 v43, s12, v43
	s_delay_alu instid0(VALU_DEP_3) | instskip(SKIP_3) | instid1(VALU_DEP_2)
	v_and_b32_e32 v42, v42, v45
	ds_load_b32 v41, v46 offset:32
	; wave barrier
	v_and_b32_e32 v44, v42, v43
	v_add_nc_u32_e32 v43, 32, v46
	v_mbcnt_lo_u32_b32 v42, v44, 0
	v_cmp_ne_u32_e64 s12, 0, v44
	s_delay_alu instid0(VALU_DEP_2) | instskip(NEXT) | instid1(VALU_DEP_1)
	v_cmp_eq_u32_e64 s11, 0, v42
	s_and_b32 s12, s12, s11
	s_delay_alu instid0(SALU_CYCLE_1)
	s_and_saveexec_b32 s11, s12
	s_cbranch_execz .LBB29_8
; %bb.7:                                ;   in Loop: Header=BB29_4 Depth=2
	s_waitcnt lgkmcnt(0)
	v_bcnt_u32_b32 v44, v44, v41
	ds_store_b32 v43, v44
.LBB29_8:                               ;   in Loop: Header=BB29_4 Depth=2
	s_or_b32 exec_lo, exec_lo, s11
	v_lshlrev_b32_e32 v44, s17, v8
	; wave barrier
	s_delay_alu instid0(VALU_DEP_1) | instskip(SKIP_2) | instid1(VALU_DEP_3)
	v_bfe_u32 v45, v44, 28, 1
	v_lshrrev_b32_e32 v46, 28, v44
	v_not_b32_e32 v50, v44
	v_add_co_u32 v45, s11, v45, -1
	s_delay_alu instid0(VALU_DEP_1) | instskip(NEXT) | instid1(VALU_DEP_4)
	v_cndmask_b32_e64 v47, 0, 1, s11
	v_lshlrev_b32_e32 v48, 30, v46
	v_lshlrev_b32_e32 v49, 29, v46
	s_delay_alu instid0(VALU_DEP_3) | instskip(NEXT) | instid1(VALU_DEP_3)
	v_cmp_ne_u32_e64 s11, 0, v47
	v_not_b32_e32 v47, v48
	v_cmp_gt_i32_e64 s12, 0, v48
	s_delay_alu instid0(VALU_DEP_4) | instskip(NEXT) | instid1(VALU_DEP_4)
	v_not_b32_e32 v48, v49
	v_xor_b32_e32 v45, s11, v45
	s_delay_alu instid0(VALU_DEP_4) | instskip(SKIP_1) | instid1(VALU_DEP_4)
	v_ashrrev_i32_e32 v47, 31, v47
	v_cmp_gt_i32_e64 s11, 0, v49
	v_ashrrev_i32_e32 v48, 31, v48
	s_delay_alu instid0(VALU_DEP_4) | instskip(NEXT) | instid1(VALU_DEP_4)
	v_and_b32_e32 v45, exec_lo, v45
	v_xor_b32_e32 v47, s12, v47
	v_cmp_gt_i32_e64 s12, 0, v44
	v_mul_u32_u24_e32 v44, 9, v46
	v_ashrrev_i32_e32 v46, 31, v50
	v_xor_b32_e32 v48, s11, v48
	v_and_b32_e32 v45, v45, v47
	s_delay_alu instid0(VALU_DEP_4) | instskip(NEXT) | instid1(VALU_DEP_4)
	v_add_lshl_u32 v49, v44, v5, 2
	v_xor_b32_e32 v46, s12, v46
	s_delay_alu instid0(VALU_DEP_3) | instskip(SKIP_3) | instid1(VALU_DEP_2)
	v_and_b32_e32 v45, v45, v48
	ds_load_b32 v44, v49 offset:32
	; wave barrier
	v_and_b32_e32 v47, v45, v46
	v_add_nc_u32_e32 v46, 32, v49
	v_mbcnt_lo_u32_b32 v45, v47, 0
	v_cmp_ne_u32_e64 s12, 0, v47
	s_delay_alu instid0(VALU_DEP_2) | instskip(NEXT) | instid1(VALU_DEP_1)
	v_cmp_eq_u32_e64 s11, 0, v45
	s_and_b32 s12, s12, s11
	s_delay_alu instid0(SALU_CYCLE_1)
	s_and_saveexec_b32 s11, s12
	s_cbranch_execz .LBB29_10
; %bb.9:                                ;   in Loop: Header=BB29_4 Depth=2
	s_waitcnt lgkmcnt(0)
	v_bcnt_u32_b32 v47, v47, v44
	ds_store_b32 v46, v47
.LBB29_10:                              ;   in Loop: Header=BB29_4 Depth=2
	s_or_b32 exec_lo, exec_lo, s11
	v_lshlrev_b32_e32 v47, s17, v9
	; wave barrier
	s_delay_alu instid0(VALU_DEP_1) | instskip(SKIP_2) | instid1(VALU_DEP_3)
	v_bfe_u32 v48, v47, 28, 1
	v_lshrrev_b32_e32 v49, 28, v47
	v_not_b32_e32 v53, v47
	v_add_co_u32 v48, s11, v48, -1
	s_delay_alu instid0(VALU_DEP_1) | instskip(NEXT) | instid1(VALU_DEP_4)
	v_cndmask_b32_e64 v50, 0, 1, s11
	v_lshlrev_b32_e32 v51, 30, v49
	v_lshlrev_b32_e32 v52, 29, v49
	s_delay_alu instid0(VALU_DEP_3) | instskip(NEXT) | instid1(VALU_DEP_3)
	v_cmp_ne_u32_e64 s11, 0, v50
	v_not_b32_e32 v50, v51
	v_cmp_gt_i32_e64 s12, 0, v51
	s_delay_alu instid0(VALU_DEP_4) | instskip(NEXT) | instid1(VALU_DEP_4)
	v_not_b32_e32 v51, v52
	v_xor_b32_e32 v48, s11, v48
	s_delay_alu instid0(VALU_DEP_4) | instskip(SKIP_1) | instid1(VALU_DEP_4)
	v_ashrrev_i32_e32 v50, 31, v50
	v_cmp_gt_i32_e64 s11, 0, v52
	v_ashrrev_i32_e32 v51, 31, v51
	s_delay_alu instid0(VALU_DEP_4) | instskip(NEXT) | instid1(VALU_DEP_4)
	v_and_b32_e32 v48, exec_lo, v48
	v_xor_b32_e32 v50, s12, v50
	v_cmp_gt_i32_e64 s12, 0, v47
	v_mul_u32_u24_e32 v47, 9, v49
	v_ashrrev_i32_e32 v49, 31, v53
	v_xor_b32_e32 v51, s11, v51
	v_and_b32_e32 v48, v48, v50
	s_delay_alu instid0(VALU_DEP_4) | instskip(NEXT) | instid1(VALU_DEP_4)
	v_add_lshl_u32 v52, v47, v5, 2
	v_xor_b32_e32 v49, s12, v49
	s_delay_alu instid0(VALU_DEP_3) | instskip(SKIP_3) | instid1(VALU_DEP_2)
	v_and_b32_e32 v48, v48, v51
	ds_load_b32 v47, v52 offset:32
	; wave barrier
	v_and_b32_e32 v50, v48, v49
	v_add_nc_u32_e32 v49, 32, v52
	v_mbcnt_lo_u32_b32 v48, v50, 0
	v_cmp_ne_u32_e64 s12, 0, v50
	s_delay_alu instid0(VALU_DEP_2) | instskip(NEXT) | instid1(VALU_DEP_1)
	v_cmp_eq_u32_e64 s11, 0, v48
	s_and_b32 s12, s12, s11
	s_delay_alu instid0(SALU_CYCLE_1)
	s_and_saveexec_b32 s11, s12
	s_cbranch_execz .LBB29_12
; %bb.11:                               ;   in Loop: Header=BB29_4 Depth=2
	s_waitcnt lgkmcnt(0)
	v_bcnt_u32_b32 v50, v50, v47
	ds_store_b32 v49, v50
.LBB29_12:                              ;   in Loop: Header=BB29_4 Depth=2
	s_or_b32 exec_lo, exec_lo, s11
	v_lshlrev_b32_e32 v50, s17, v10
	; wave barrier
	s_delay_alu instid0(VALU_DEP_1) | instskip(SKIP_2) | instid1(VALU_DEP_3)
	v_bfe_u32 v51, v50, 28, 1
	v_lshrrev_b32_e32 v52, 28, v50
	v_not_b32_e32 v56, v50
	v_add_co_u32 v51, s11, v51, -1
	s_delay_alu instid0(VALU_DEP_1) | instskip(NEXT) | instid1(VALU_DEP_4)
	v_cndmask_b32_e64 v53, 0, 1, s11
	v_lshlrev_b32_e32 v54, 30, v52
	v_lshlrev_b32_e32 v55, 29, v52
	s_delay_alu instid0(VALU_DEP_3) | instskip(NEXT) | instid1(VALU_DEP_3)
	v_cmp_ne_u32_e64 s11, 0, v53
	v_not_b32_e32 v53, v54
	v_cmp_gt_i32_e64 s12, 0, v54
	s_delay_alu instid0(VALU_DEP_4) | instskip(NEXT) | instid1(VALU_DEP_4)
	v_not_b32_e32 v54, v55
	v_xor_b32_e32 v51, s11, v51
	s_delay_alu instid0(VALU_DEP_4) | instskip(SKIP_1) | instid1(VALU_DEP_4)
	v_ashrrev_i32_e32 v53, 31, v53
	v_cmp_gt_i32_e64 s11, 0, v55
	v_ashrrev_i32_e32 v54, 31, v54
	s_delay_alu instid0(VALU_DEP_4) | instskip(NEXT) | instid1(VALU_DEP_4)
	v_and_b32_e32 v51, exec_lo, v51
	v_xor_b32_e32 v53, s12, v53
	v_cmp_gt_i32_e64 s12, 0, v50
	v_mul_u32_u24_e32 v50, 9, v52
	v_ashrrev_i32_e32 v52, 31, v56
	v_xor_b32_e32 v54, s11, v54
	v_and_b32_e32 v51, v51, v53
	s_delay_alu instid0(VALU_DEP_4) | instskip(NEXT) | instid1(VALU_DEP_4)
	v_add_lshl_u32 v55, v50, v5, 2
	v_xor_b32_e32 v52, s12, v52
	s_delay_alu instid0(VALU_DEP_3) | instskip(SKIP_3) | instid1(VALU_DEP_2)
	v_and_b32_e32 v51, v51, v54
	ds_load_b32 v50, v55 offset:32
	; wave barrier
	v_and_b32_e32 v53, v51, v52
	v_add_nc_u32_e32 v52, 32, v55
	v_mbcnt_lo_u32_b32 v51, v53, 0
	v_cmp_ne_u32_e64 s12, 0, v53
	s_delay_alu instid0(VALU_DEP_2) | instskip(NEXT) | instid1(VALU_DEP_1)
	v_cmp_eq_u32_e64 s11, 0, v51
	s_and_b32 s12, s12, s11
	s_delay_alu instid0(SALU_CYCLE_1)
	s_and_saveexec_b32 s11, s12
	s_cbranch_execz .LBB29_14
; %bb.13:                               ;   in Loop: Header=BB29_4 Depth=2
	s_waitcnt lgkmcnt(0)
	v_bcnt_u32_b32 v53, v53, v50
	ds_store_b32 v52, v53
.LBB29_14:                              ;   in Loop: Header=BB29_4 Depth=2
	s_or_b32 exec_lo, exec_lo, s11
	v_lshlrev_b32_e32 v53, s17, v11
	; wave barrier
	s_delay_alu instid0(VALU_DEP_1) | instskip(SKIP_2) | instid1(VALU_DEP_3)
	v_bfe_u32 v54, v53, 28, 1
	v_lshrrev_b32_e32 v55, 28, v53
	v_not_b32_e32 v59, v53
	v_add_co_u32 v54, s11, v54, -1
	s_delay_alu instid0(VALU_DEP_1) | instskip(NEXT) | instid1(VALU_DEP_4)
	v_cndmask_b32_e64 v56, 0, 1, s11
	v_lshlrev_b32_e32 v57, 30, v55
	v_lshlrev_b32_e32 v58, 29, v55
	s_delay_alu instid0(VALU_DEP_3) | instskip(NEXT) | instid1(VALU_DEP_3)
	v_cmp_ne_u32_e64 s11, 0, v56
	v_not_b32_e32 v56, v57
	v_cmp_gt_i32_e64 s12, 0, v57
	s_delay_alu instid0(VALU_DEP_4) | instskip(NEXT) | instid1(VALU_DEP_4)
	v_not_b32_e32 v57, v58
	v_xor_b32_e32 v54, s11, v54
	s_delay_alu instid0(VALU_DEP_4) | instskip(SKIP_1) | instid1(VALU_DEP_4)
	v_ashrrev_i32_e32 v56, 31, v56
	v_cmp_gt_i32_e64 s11, 0, v58
	v_ashrrev_i32_e32 v57, 31, v57
	s_delay_alu instid0(VALU_DEP_4) | instskip(NEXT) | instid1(VALU_DEP_4)
	v_and_b32_e32 v54, exec_lo, v54
	v_xor_b32_e32 v56, s12, v56
	v_cmp_gt_i32_e64 s12, 0, v53
	v_mul_u32_u24_e32 v53, 9, v55
	v_ashrrev_i32_e32 v55, 31, v59
	v_xor_b32_e32 v57, s11, v57
	v_and_b32_e32 v54, v54, v56
	s_delay_alu instid0(VALU_DEP_4) | instskip(NEXT) | instid1(VALU_DEP_4)
	v_add_lshl_u32 v58, v53, v5, 2
	v_xor_b32_e32 v55, s12, v55
	s_delay_alu instid0(VALU_DEP_3) | instskip(SKIP_3) | instid1(VALU_DEP_2)
	v_and_b32_e32 v54, v54, v57
	ds_load_b32 v53, v58 offset:32
	; wave barrier
	v_and_b32_e32 v56, v54, v55
	v_add_nc_u32_e32 v55, 32, v58
	v_mbcnt_lo_u32_b32 v54, v56, 0
	v_cmp_ne_u32_e64 s12, 0, v56
	s_delay_alu instid0(VALU_DEP_2) | instskip(NEXT) | instid1(VALU_DEP_1)
	v_cmp_eq_u32_e64 s11, 0, v54
	s_and_b32 s12, s12, s11
	s_delay_alu instid0(SALU_CYCLE_1)
	s_and_saveexec_b32 s11, s12
	s_cbranch_execz .LBB29_16
; %bb.15:                               ;   in Loop: Header=BB29_4 Depth=2
	s_waitcnt lgkmcnt(0)
	v_bcnt_u32_b32 v56, v56, v53
	ds_store_b32 v55, v56
.LBB29_16:                              ;   in Loop: Header=BB29_4 Depth=2
	s_or_b32 exec_lo, exec_lo, s11
	v_lshlrev_b32_e32 v56, s17, v12
	; wave barrier
	s_delay_alu instid0(VALU_DEP_1) | instskip(SKIP_2) | instid1(VALU_DEP_3)
	v_bfe_u32 v57, v56, 28, 1
	v_lshrrev_b32_e32 v58, 28, v56
	v_not_b32_e32 v62, v56
	v_add_co_u32 v57, s11, v57, -1
	s_delay_alu instid0(VALU_DEP_1) | instskip(NEXT) | instid1(VALU_DEP_4)
	v_cndmask_b32_e64 v59, 0, 1, s11
	v_lshlrev_b32_e32 v60, 30, v58
	v_lshlrev_b32_e32 v61, 29, v58
	s_delay_alu instid0(VALU_DEP_3) | instskip(NEXT) | instid1(VALU_DEP_3)
	v_cmp_ne_u32_e64 s11, 0, v59
	v_not_b32_e32 v59, v60
	v_cmp_gt_i32_e64 s12, 0, v60
	s_delay_alu instid0(VALU_DEP_4) | instskip(NEXT) | instid1(VALU_DEP_4)
	v_not_b32_e32 v60, v61
	v_xor_b32_e32 v57, s11, v57
	s_delay_alu instid0(VALU_DEP_4) | instskip(SKIP_1) | instid1(VALU_DEP_4)
	v_ashrrev_i32_e32 v59, 31, v59
	v_cmp_gt_i32_e64 s11, 0, v61
	v_ashrrev_i32_e32 v60, 31, v60
	s_delay_alu instid0(VALU_DEP_4) | instskip(NEXT) | instid1(VALU_DEP_4)
	v_and_b32_e32 v57, exec_lo, v57
	v_xor_b32_e32 v59, s12, v59
	v_cmp_gt_i32_e64 s12, 0, v56
	v_mul_u32_u24_e32 v56, 9, v58
	v_ashrrev_i32_e32 v58, 31, v62
	v_xor_b32_e32 v60, s11, v60
	v_and_b32_e32 v57, v57, v59
	s_delay_alu instid0(VALU_DEP_4) | instskip(NEXT) | instid1(VALU_DEP_4)
	v_add_lshl_u32 v61, v56, v5, 2
	v_xor_b32_e32 v58, s12, v58
	s_delay_alu instid0(VALU_DEP_3) | instskip(SKIP_3) | instid1(VALU_DEP_2)
	v_and_b32_e32 v57, v57, v60
	ds_load_b32 v56, v61 offset:32
	; wave barrier
	v_and_b32_e32 v59, v57, v58
	v_add_nc_u32_e32 v58, 32, v61
	v_mbcnt_lo_u32_b32 v57, v59, 0
	v_cmp_ne_u32_e64 s12, 0, v59
	s_delay_alu instid0(VALU_DEP_2) | instskip(NEXT) | instid1(VALU_DEP_1)
	v_cmp_eq_u32_e64 s11, 0, v57
	s_and_b32 s12, s12, s11
	s_delay_alu instid0(SALU_CYCLE_1)
	s_and_saveexec_b32 s11, s12
	s_cbranch_execz .LBB29_18
; %bb.17:                               ;   in Loop: Header=BB29_4 Depth=2
	s_waitcnt lgkmcnt(0)
	v_bcnt_u32_b32 v59, v59, v56
	ds_store_b32 v58, v59
.LBB29_18:                              ;   in Loop: Header=BB29_4 Depth=2
	s_or_b32 exec_lo, exec_lo, s11
	v_lshlrev_b32_e32 v59, s17, v13
	; wave barrier
	s_delay_alu instid0(VALU_DEP_1) | instskip(SKIP_2) | instid1(VALU_DEP_3)
	v_bfe_u32 v60, v59, 28, 1
	v_lshrrev_b32_e32 v61, 28, v59
	v_not_b32_e32 v65, v59
	v_add_co_u32 v60, s11, v60, -1
	s_delay_alu instid0(VALU_DEP_1) | instskip(NEXT) | instid1(VALU_DEP_4)
	v_cndmask_b32_e64 v62, 0, 1, s11
	v_lshlrev_b32_e32 v63, 30, v61
	v_lshlrev_b32_e32 v64, 29, v61
	s_delay_alu instid0(VALU_DEP_3) | instskip(NEXT) | instid1(VALU_DEP_3)
	v_cmp_ne_u32_e64 s11, 0, v62
	v_not_b32_e32 v62, v63
	v_cmp_gt_i32_e64 s12, 0, v63
	s_delay_alu instid0(VALU_DEP_4) | instskip(NEXT) | instid1(VALU_DEP_4)
	v_not_b32_e32 v63, v64
	v_xor_b32_e32 v60, s11, v60
	s_delay_alu instid0(VALU_DEP_4) | instskip(SKIP_1) | instid1(VALU_DEP_4)
	v_ashrrev_i32_e32 v62, 31, v62
	v_cmp_gt_i32_e64 s11, 0, v64
	v_ashrrev_i32_e32 v63, 31, v63
	s_delay_alu instid0(VALU_DEP_4) | instskip(NEXT) | instid1(VALU_DEP_4)
	v_and_b32_e32 v60, exec_lo, v60
	v_xor_b32_e32 v62, s12, v62
	v_cmp_gt_i32_e64 s12, 0, v59
	v_mul_u32_u24_e32 v59, 9, v61
	v_ashrrev_i32_e32 v61, 31, v65
	v_xor_b32_e32 v63, s11, v63
	v_and_b32_e32 v60, v60, v62
	s_delay_alu instid0(VALU_DEP_4) | instskip(NEXT) | instid1(VALU_DEP_4)
	v_add_lshl_u32 v64, v59, v5, 2
	v_xor_b32_e32 v61, s12, v61
	s_delay_alu instid0(VALU_DEP_3) | instskip(SKIP_3) | instid1(VALU_DEP_2)
	v_and_b32_e32 v60, v60, v63
	ds_load_b32 v59, v64 offset:32
	; wave barrier
	v_and_b32_e32 v62, v60, v61
	v_add_nc_u32_e32 v61, 32, v64
	v_mbcnt_lo_u32_b32 v60, v62, 0
	v_cmp_ne_u32_e64 s12, 0, v62
	s_delay_alu instid0(VALU_DEP_2) | instskip(NEXT) | instid1(VALU_DEP_1)
	v_cmp_eq_u32_e64 s11, 0, v60
	s_and_b32 s12, s12, s11
	s_delay_alu instid0(SALU_CYCLE_1)
	s_and_saveexec_b32 s11, s12
	s_cbranch_execz .LBB29_20
; %bb.19:                               ;   in Loop: Header=BB29_4 Depth=2
	s_waitcnt lgkmcnt(0)
	v_bcnt_u32_b32 v62, v62, v59
	ds_store_b32 v61, v62
.LBB29_20:                              ;   in Loop: Header=BB29_4 Depth=2
	s_or_b32 exec_lo, exec_lo, s11
	v_lshlrev_b32_e32 v62, s17, v14
	; wave barrier
	s_delay_alu instid0(VALU_DEP_1) | instskip(SKIP_2) | instid1(VALU_DEP_3)
	v_bfe_u32 v63, v62, 28, 1
	v_lshrrev_b32_e32 v64, 28, v62
	v_not_b32_e32 v68, v62
	v_add_co_u32 v63, s11, v63, -1
	s_delay_alu instid0(VALU_DEP_1) | instskip(NEXT) | instid1(VALU_DEP_4)
	v_cndmask_b32_e64 v65, 0, 1, s11
	v_lshlrev_b32_e32 v66, 30, v64
	v_lshlrev_b32_e32 v67, 29, v64
	s_delay_alu instid0(VALU_DEP_3) | instskip(NEXT) | instid1(VALU_DEP_3)
	v_cmp_ne_u32_e64 s11, 0, v65
	v_not_b32_e32 v65, v66
	v_cmp_gt_i32_e64 s12, 0, v66
	s_delay_alu instid0(VALU_DEP_4) | instskip(NEXT) | instid1(VALU_DEP_4)
	v_not_b32_e32 v66, v67
	v_xor_b32_e32 v63, s11, v63
	s_delay_alu instid0(VALU_DEP_4) | instskip(SKIP_1) | instid1(VALU_DEP_4)
	v_ashrrev_i32_e32 v65, 31, v65
	v_cmp_gt_i32_e64 s11, 0, v67
	v_ashrrev_i32_e32 v66, 31, v66
	s_delay_alu instid0(VALU_DEP_4) | instskip(NEXT) | instid1(VALU_DEP_4)
	v_and_b32_e32 v63, exec_lo, v63
	v_xor_b32_e32 v65, s12, v65
	v_cmp_gt_i32_e64 s12, 0, v62
	v_mul_u32_u24_e32 v62, 9, v64
	v_ashrrev_i32_e32 v64, 31, v68
	v_xor_b32_e32 v66, s11, v66
	v_and_b32_e32 v63, v63, v65
	s_delay_alu instid0(VALU_DEP_4) | instskip(NEXT) | instid1(VALU_DEP_4)
	v_add_lshl_u32 v67, v62, v5, 2
	v_xor_b32_e32 v64, s12, v64
	s_delay_alu instid0(VALU_DEP_3) | instskip(SKIP_3) | instid1(VALU_DEP_2)
	v_and_b32_e32 v63, v63, v66
	ds_load_b32 v62, v67 offset:32
	; wave barrier
	v_and_b32_e32 v65, v63, v64
	v_add_nc_u32_e32 v64, 32, v67
	v_mbcnt_lo_u32_b32 v63, v65, 0
	v_cmp_ne_u32_e64 s12, 0, v65
	s_delay_alu instid0(VALU_DEP_2) | instskip(NEXT) | instid1(VALU_DEP_1)
	v_cmp_eq_u32_e64 s11, 0, v63
	s_and_b32 s12, s12, s11
	s_delay_alu instid0(SALU_CYCLE_1)
	s_and_saveexec_b32 s11, s12
	s_cbranch_execz .LBB29_22
; %bb.21:                               ;   in Loop: Header=BB29_4 Depth=2
	s_waitcnt lgkmcnt(0)
	v_bcnt_u32_b32 v65, v65, v62
	ds_store_b32 v64, v65
.LBB29_22:                              ;   in Loop: Header=BB29_4 Depth=2
	s_or_b32 exec_lo, exec_lo, s11
	v_lshlrev_b32_e32 v65, s17, v15
	; wave barrier
	s_delay_alu instid0(VALU_DEP_1) | instskip(SKIP_2) | instid1(VALU_DEP_3)
	v_bfe_u32 v66, v65, 28, 1
	v_lshrrev_b32_e32 v67, 28, v65
	v_not_b32_e32 v71, v65
	v_add_co_u32 v66, s11, v66, -1
	s_delay_alu instid0(VALU_DEP_1) | instskip(NEXT) | instid1(VALU_DEP_4)
	v_cndmask_b32_e64 v68, 0, 1, s11
	v_lshlrev_b32_e32 v69, 30, v67
	v_lshlrev_b32_e32 v70, 29, v67
	s_delay_alu instid0(VALU_DEP_3) | instskip(NEXT) | instid1(VALU_DEP_3)
	v_cmp_ne_u32_e64 s11, 0, v68
	v_not_b32_e32 v68, v69
	v_cmp_gt_i32_e64 s12, 0, v69
	s_delay_alu instid0(VALU_DEP_4) | instskip(NEXT) | instid1(VALU_DEP_4)
	v_not_b32_e32 v69, v70
	v_xor_b32_e32 v66, s11, v66
	s_delay_alu instid0(VALU_DEP_4) | instskip(SKIP_1) | instid1(VALU_DEP_4)
	v_ashrrev_i32_e32 v68, 31, v68
	v_cmp_gt_i32_e64 s11, 0, v70
	v_ashrrev_i32_e32 v69, 31, v69
	s_delay_alu instid0(VALU_DEP_4) | instskip(NEXT) | instid1(VALU_DEP_4)
	v_and_b32_e32 v66, exec_lo, v66
	v_xor_b32_e32 v68, s12, v68
	v_cmp_gt_i32_e64 s12, 0, v65
	v_mul_u32_u24_e32 v65, 9, v67
	v_ashrrev_i32_e32 v67, 31, v71
	v_xor_b32_e32 v69, s11, v69
	v_and_b32_e32 v66, v66, v68
	s_delay_alu instid0(VALU_DEP_4) | instskip(NEXT) | instid1(VALU_DEP_4)
	v_add_lshl_u32 v70, v65, v5, 2
	v_xor_b32_e32 v67, s12, v67
	s_delay_alu instid0(VALU_DEP_3) | instskip(SKIP_3) | instid1(VALU_DEP_2)
	v_and_b32_e32 v66, v66, v69
	ds_load_b32 v65, v70 offset:32
	; wave barrier
	v_and_b32_e32 v68, v66, v67
	v_add_nc_u32_e32 v67, 32, v70
	v_mbcnt_lo_u32_b32 v66, v68, 0
	v_cmp_ne_u32_e64 s12, 0, v68
	s_delay_alu instid0(VALU_DEP_2) | instskip(NEXT) | instid1(VALU_DEP_1)
	v_cmp_eq_u32_e64 s11, 0, v66
	s_and_b32 s12, s12, s11
	s_delay_alu instid0(SALU_CYCLE_1)
	s_and_saveexec_b32 s11, s12
	s_cbranch_execz .LBB29_24
; %bb.23:                               ;   in Loop: Header=BB29_4 Depth=2
	s_waitcnt lgkmcnt(0)
	v_bcnt_u32_b32 v68, v68, v65
	ds_store_b32 v67, v68
.LBB29_24:                              ;   in Loop: Header=BB29_4 Depth=2
	s_or_b32 exec_lo, exec_lo, s11
	v_lshlrev_b32_e32 v68, s17, v16
	; wave barrier
	s_delay_alu instid0(VALU_DEP_1) | instskip(SKIP_2) | instid1(VALU_DEP_3)
	v_bfe_u32 v69, v68, 28, 1
	v_lshrrev_b32_e32 v70, 28, v68
	v_not_b32_e32 v74, v68
	v_add_co_u32 v69, s11, v69, -1
	s_delay_alu instid0(VALU_DEP_1) | instskip(NEXT) | instid1(VALU_DEP_4)
	v_cndmask_b32_e64 v71, 0, 1, s11
	v_lshlrev_b32_e32 v72, 30, v70
	v_lshlrev_b32_e32 v73, 29, v70
	s_delay_alu instid0(VALU_DEP_3) | instskip(NEXT) | instid1(VALU_DEP_3)
	v_cmp_ne_u32_e64 s11, 0, v71
	v_not_b32_e32 v71, v72
	v_cmp_gt_i32_e64 s12, 0, v72
	s_delay_alu instid0(VALU_DEP_4) | instskip(NEXT) | instid1(VALU_DEP_4)
	v_not_b32_e32 v72, v73
	v_xor_b32_e32 v69, s11, v69
	s_delay_alu instid0(VALU_DEP_4) | instskip(SKIP_1) | instid1(VALU_DEP_4)
	v_ashrrev_i32_e32 v71, 31, v71
	v_cmp_gt_i32_e64 s11, 0, v73
	v_ashrrev_i32_e32 v72, 31, v72
	s_delay_alu instid0(VALU_DEP_4) | instskip(NEXT) | instid1(VALU_DEP_4)
	v_and_b32_e32 v69, exec_lo, v69
	v_xor_b32_e32 v71, s12, v71
	v_cmp_gt_i32_e64 s12, 0, v68
	v_mul_u32_u24_e32 v68, 9, v70
	v_ashrrev_i32_e32 v70, 31, v74
	v_xor_b32_e32 v72, s11, v72
	v_and_b32_e32 v69, v69, v71
	s_delay_alu instid0(VALU_DEP_4) | instskip(NEXT) | instid1(VALU_DEP_4)
	v_add_lshl_u32 v73, v68, v5, 2
	v_xor_b32_e32 v70, s12, v70
	s_delay_alu instid0(VALU_DEP_3) | instskip(SKIP_3) | instid1(VALU_DEP_2)
	v_and_b32_e32 v69, v69, v72
	ds_load_b32 v68, v73 offset:32
	; wave barrier
	v_and_b32_e32 v71, v69, v70
	v_add_nc_u32_e32 v70, 32, v73
	v_mbcnt_lo_u32_b32 v69, v71, 0
	v_cmp_ne_u32_e64 s12, 0, v71
	s_delay_alu instid0(VALU_DEP_2) | instskip(NEXT) | instid1(VALU_DEP_1)
	v_cmp_eq_u32_e64 s11, 0, v69
	s_and_b32 s12, s12, s11
	s_delay_alu instid0(SALU_CYCLE_1)
	s_and_saveexec_b32 s11, s12
	s_cbranch_execz .LBB29_26
; %bb.25:                               ;   in Loop: Header=BB29_4 Depth=2
	s_waitcnt lgkmcnt(0)
	v_bcnt_u32_b32 v71, v71, v68
	ds_store_b32 v70, v71
.LBB29_26:                              ;   in Loop: Header=BB29_4 Depth=2
	s_or_b32 exec_lo, exec_lo, s11
	v_lshlrev_b32_e32 v71, s17, v17
	; wave barrier
	s_delay_alu instid0(VALU_DEP_1) | instskip(SKIP_2) | instid1(VALU_DEP_3)
	v_bfe_u32 v72, v71, 28, 1
	v_lshrrev_b32_e32 v73, 28, v71
	v_not_b32_e32 v77, v71
	v_add_co_u32 v72, s11, v72, -1
	s_delay_alu instid0(VALU_DEP_1) | instskip(NEXT) | instid1(VALU_DEP_4)
	v_cndmask_b32_e64 v74, 0, 1, s11
	v_lshlrev_b32_e32 v75, 30, v73
	v_lshlrev_b32_e32 v76, 29, v73
	s_delay_alu instid0(VALU_DEP_3) | instskip(NEXT) | instid1(VALU_DEP_3)
	v_cmp_ne_u32_e64 s11, 0, v74
	v_not_b32_e32 v74, v75
	v_cmp_gt_i32_e64 s12, 0, v75
	s_delay_alu instid0(VALU_DEP_4) | instskip(NEXT) | instid1(VALU_DEP_4)
	v_not_b32_e32 v75, v76
	v_xor_b32_e32 v72, s11, v72
	s_delay_alu instid0(VALU_DEP_4) | instskip(SKIP_1) | instid1(VALU_DEP_4)
	v_ashrrev_i32_e32 v74, 31, v74
	v_cmp_gt_i32_e64 s11, 0, v76
	v_ashrrev_i32_e32 v75, 31, v75
	s_delay_alu instid0(VALU_DEP_4) | instskip(NEXT) | instid1(VALU_DEP_4)
	v_and_b32_e32 v72, exec_lo, v72
	v_xor_b32_e32 v74, s12, v74
	v_cmp_gt_i32_e64 s12, 0, v71
	v_mul_u32_u24_e32 v71, 9, v73
	v_ashrrev_i32_e32 v73, 31, v77
	v_xor_b32_e32 v75, s11, v75
	v_and_b32_e32 v72, v72, v74
	s_delay_alu instid0(VALU_DEP_4) | instskip(NEXT) | instid1(VALU_DEP_4)
	v_add_lshl_u32 v76, v71, v5, 2
	v_xor_b32_e32 v73, s12, v73
	s_delay_alu instid0(VALU_DEP_3) | instskip(SKIP_3) | instid1(VALU_DEP_2)
	v_and_b32_e32 v72, v72, v75
	ds_load_b32 v71, v76 offset:32
	; wave barrier
	v_and_b32_e32 v74, v72, v73
	v_add_nc_u32_e32 v73, 32, v76
	v_mbcnt_lo_u32_b32 v72, v74, 0
	v_cmp_ne_u32_e64 s12, 0, v74
	s_delay_alu instid0(VALU_DEP_2) | instskip(NEXT) | instid1(VALU_DEP_1)
	v_cmp_eq_u32_e64 s11, 0, v72
	s_and_b32 s12, s12, s11
	s_delay_alu instid0(SALU_CYCLE_1)
	s_and_saveexec_b32 s11, s12
	s_cbranch_execz .LBB29_28
; %bb.27:                               ;   in Loop: Header=BB29_4 Depth=2
	s_waitcnt lgkmcnt(0)
	v_bcnt_u32_b32 v74, v74, v71
	ds_store_b32 v73, v74
.LBB29_28:                              ;   in Loop: Header=BB29_4 Depth=2
	s_or_b32 exec_lo, exec_lo, s11
	v_lshlrev_b32_e32 v74, s17, v18
	; wave barrier
	s_delay_alu instid0(VALU_DEP_1) | instskip(SKIP_2) | instid1(VALU_DEP_3)
	v_bfe_u32 v75, v74, 28, 1
	v_lshrrev_b32_e32 v76, 28, v74
	v_not_b32_e32 v80, v74
	v_add_co_u32 v75, s11, v75, -1
	s_delay_alu instid0(VALU_DEP_1) | instskip(NEXT) | instid1(VALU_DEP_4)
	v_cndmask_b32_e64 v77, 0, 1, s11
	v_lshlrev_b32_e32 v78, 30, v76
	v_lshlrev_b32_e32 v79, 29, v76
	s_delay_alu instid0(VALU_DEP_3) | instskip(NEXT) | instid1(VALU_DEP_3)
	v_cmp_ne_u32_e64 s11, 0, v77
	v_not_b32_e32 v77, v78
	v_cmp_gt_i32_e64 s12, 0, v78
	s_delay_alu instid0(VALU_DEP_4) | instskip(NEXT) | instid1(VALU_DEP_4)
	v_not_b32_e32 v78, v79
	v_xor_b32_e32 v75, s11, v75
	s_delay_alu instid0(VALU_DEP_4) | instskip(SKIP_1) | instid1(VALU_DEP_4)
	v_ashrrev_i32_e32 v77, 31, v77
	v_cmp_gt_i32_e64 s11, 0, v79
	v_ashrrev_i32_e32 v78, 31, v78
	s_delay_alu instid0(VALU_DEP_4) | instskip(NEXT) | instid1(VALU_DEP_4)
	v_and_b32_e32 v75, exec_lo, v75
	v_xor_b32_e32 v77, s12, v77
	v_cmp_gt_i32_e64 s12, 0, v74
	v_mul_u32_u24_e32 v74, 9, v76
	v_ashrrev_i32_e32 v76, 31, v80
	v_xor_b32_e32 v78, s11, v78
	v_and_b32_e32 v75, v75, v77
	s_delay_alu instid0(VALU_DEP_4) | instskip(NEXT) | instid1(VALU_DEP_4)
	v_add_lshl_u32 v79, v74, v5, 2
	v_xor_b32_e32 v76, s12, v76
	s_delay_alu instid0(VALU_DEP_3) | instskip(SKIP_3) | instid1(VALU_DEP_2)
	v_and_b32_e32 v75, v75, v78
	ds_load_b32 v74, v79 offset:32
	; wave barrier
	v_and_b32_e32 v77, v75, v76
	v_add_nc_u32_e32 v76, 32, v79
	v_mbcnt_lo_u32_b32 v75, v77, 0
	v_cmp_ne_u32_e64 s12, 0, v77
	s_delay_alu instid0(VALU_DEP_2) | instskip(NEXT) | instid1(VALU_DEP_1)
	v_cmp_eq_u32_e64 s11, 0, v75
	s_and_b32 s12, s12, s11
	s_delay_alu instid0(SALU_CYCLE_1)
	s_and_saveexec_b32 s11, s12
	s_cbranch_execz .LBB29_30
; %bb.29:                               ;   in Loop: Header=BB29_4 Depth=2
	s_waitcnt lgkmcnt(0)
	v_bcnt_u32_b32 v77, v77, v74
	ds_store_b32 v76, v77
.LBB29_30:                              ;   in Loop: Header=BB29_4 Depth=2
	s_or_b32 exec_lo, exec_lo, s11
	v_lshlrev_b32_e32 v77, s17, v19
	; wave barrier
	s_delay_alu instid0(VALU_DEP_1) | instskip(SKIP_2) | instid1(VALU_DEP_3)
	v_bfe_u32 v78, v77, 28, 1
	v_lshrrev_b32_e32 v79, 28, v77
	v_not_b32_e32 v83, v77
	v_add_co_u32 v78, s11, v78, -1
	s_delay_alu instid0(VALU_DEP_1) | instskip(NEXT) | instid1(VALU_DEP_4)
	v_cndmask_b32_e64 v80, 0, 1, s11
	v_lshlrev_b32_e32 v81, 30, v79
	v_lshlrev_b32_e32 v82, 29, v79
	s_delay_alu instid0(VALU_DEP_3) | instskip(NEXT) | instid1(VALU_DEP_3)
	v_cmp_ne_u32_e64 s11, 0, v80
	v_not_b32_e32 v80, v81
	v_cmp_gt_i32_e64 s12, 0, v81
	s_delay_alu instid0(VALU_DEP_4) | instskip(NEXT) | instid1(VALU_DEP_4)
	v_not_b32_e32 v81, v82
	v_xor_b32_e32 v78, s11, v78
	s_delay_alu instid0(VALU_DEP_4) | instskip(SKIP_1) | instid1(VALU_DEP_4)
	v_ashrrev_i32_e32 v80, 31, v80
	v_cmp_gt_i32_e64 s11, 0, v82
	v_ashrrev_i32_e32 v81, 31, v81
	s_delay_alu instid0(VALU_DEP_4) | instskip(NEXT) | instid1(VALU_DEP_4)
	v_and_b32_e32 v78, exec_lo, v78
	v_xor_b32_e32 v80, s12, v80
	v_cmp_gt_i32_e64 s12, 0, v77
	v_mul_u32_u24_e32 v77, 9, v79
	v_ashrrev_i32_e32 v79, 31, v83
	v_xor_b32_e32 v81, s11, v81
	v_and_b32_e32 v78, v78, v80
	s_delay_alu instid0(VALU_DEP_4) | instskip(NEXT) | instid1(VALU_DEP_4)
	v_add_lshl_u32 v82, v77, v5, 2
	v_xor_b32_e32 v79, s12, v79
	s_delay_alu instid0(VALU_DEP_3) | instskip(SKIP_3) | instid1(VALU_DEP_2)
	v_and_b32_e32 v78, v78, v81
	ds_load_b32 v77, v82 offset:32
	; wave barrier
	v_and_b32_e32 v80, v78, v79
	v_add_nc_u32_e32 v79, 32, v82
	v_mbcnt_lo_u32_b32 v78, v80, 0
	v_cmp_ne_u32_e64 s12, 0, v80
	s_delay_alu instid0(VALU_DEP_2) | instskip(NEXT) | instid1(VALU_DEP_1)
	v_cmp_eq_u32_e64 s11, 0, v78
	s_and_b32 s12, s12, s11
	s_delay_alu instid0(SALU_CYCLE_1)
	s_and_saveexec_b32 s11, s12
	s_cbranch_execz .LBB29_32
; %bb.31:                               ;   in Loop: Header=BB29_4 Depth=2
	s_waitcnt lgkmcnt(0)
	v_bcnt_u32_b32 v80, v80, v77
	ds_store_b32 v79, v80
.LBB29_32:                              ;   in Loop: Header=BB29_4 Depth=2
	s_or_b32 exec_lo, exec_lo, s11
	v_lshlrev_b32_e32 v80, s17, v20
	; wave barrier
	s_delay_alu instid0(VALU_DEP_1) | instskip(SKIP_2) | instid1(VALU_DEP_3)
	v_bfe_u32 v81, v80, 28, 1
	v_lshrrev_b32_e32 v82, 28, v80
	v_not_b32_e32 v86, v80
	v_add_co_u32 v81, s11, v81, -1
	s_delay_alu instid0(VALU_DEP_1) | instskip(NEXT) | instid1(VALU_DEP_4)
	v_cndmask_b32_e64 v83, 0, 1, s11
	v_lshlrev_b32_e32 v84, 30, v82
	v_lshlrev_b32_e32 v85, 29, v82
	s_delay_alu instid0(VALU_DEP_3) | instskip(NEXT) | instid1(VALU_DEP_3)
	v_cmp_ne_u32_e64 s11, 0, v83
	v_not_b32_e32 v83, v84
	v_cmp_gt_i32_e64 s12, 0, v84
	s_delay_alu instid0(VALU_DEP_4) | instskip(NEXT) | instid1(VALU_DEP_4)
	v_not_b32_e32 v84, v85
	v_xor_b32_e32 v81, s11, v81
	s_delay_alu instid0(VALU_DEP_4) | instskip(SKIP_1) | instid1(VALU_DEP_4)
	v_ashrrev_i32_e32 v83, 31, v83
	v_cmp_gt_i32_e64 s11, 0, v85
	v_ashrrev_i32_e32 v84, 31, v84
	s_delay_alu instid0(VALU_DEP_4) | instskip(NEXT) | instid1(VALU_DEP_4)
	v_and_b32_e32 v81, exec_lo, v81
	v_xor_b32_e32 v83, s12, v83
	v_cmp_gt_i32_e64 s12, 0, v80
	v_mul_u32_u24_e32 v80, 9, v82
	v_ashrrev_i32_e32 v82, 31, v86
	v_xor_b32_e32 v84, s11, v84
	v_and_b32_e32 v81, v81, v83
	s_delay_alu instid0(VALU_DEP_4) | instskip(NEXT) | instid1(VALU_DEP_4)
	v_add_lshl_u32 v85, v80, v5, 2
	v_xor_b32_e32 v82, s12, v82
	s_delay_alu instid0(VALU_DEP_3) | instskip(SKIP_3) | instid1(VALU_DEP_2)
	v_and_b32_e32 v81, v81, v84
	ds_load_b32 v80, v85 offset:32
	; wave barrier
	v_and_b32_e32 v83, v81, v82
	v_add_nc_u32_e32 v82, 32, v85
	v_mbcnt_lo_u32_b32 v81, v83, 0
	v_cmp_ne_u32_e64 s12, 0, v83
	s_delay_alu instid0(VALU_DEP_2) | instskip(NEXT) | instid1(VALU_DEP_1)
	v_cmp_eq_u32_e64 s11, 0, v81
	s_and_b32 s12, s12, s11
	s_delay_alu instid0(SALU_CYCLE_1)
	s_and_saveexec_b32 s11, s12
	s_cbranch_execz .LBB29_34
; %bb.33:                               ;   in Loop: Header=BB29_4 Depth=2
	s_waitcnt lgkmcnt(0)
	v_bcnt_u32_b32 v83, v83, v80
	ds_store_b32 v82, v83
.LBB29_34:                              ;   in Loop: Header=BB29_4 Depth=2
	s_or_b32 exec_lo, exec_lo, s11
	v_lshlrev_b32_e32 v83, s17, v21
	; wave barrier
	s_delay_alu instid0(VALU_DEP_1) | instskip(SKIP_2) | instid1(VALU_DEP_3)
	v_bfe_u32 v84, v83, 28, 1
	v_lshrrev_b32_e32 v85, 28, v83
	v_not_b32_e32 v89, v83
	v_add_co_u32 v84, s11, v84, -1
	s_delay_alu instid0(VALU_DEP_1) | instskip(NEXT) | instid1(VALU_DEP_4)
	v_cndmask_b32_e64 v86, 0, 1, s11
	v_lshlrev_b32_e32 v87, 30, v85
	v_lshlrev_b32_e32 v88, 29, v85
	s_delay_alu instid0(VALU_DEP_3) | instskip(NEXT) | instid1(VALU_DEP_3)
	v_cmp_ne_u32_e64 s11, 0, v86
	v_not_b32_e32 v86, v87
	v_cmp_gt_i32_e64 s12, 0, v87
	s_delay_alu instid0(VALU_DEP_4) | instskip(NEXT) | instid1(VALU_DEP_4)
	v_not_b32_e32 v87, v88
	v_xor_b32_e32 v84, s11, v84
	s_delay_alu instid0(VALU_DEP_4) | instskip(SKIP_1) | instid1(VALU_DEP_4)
	v_ashrrev_i32_e32 v86, 31, v86
	v_cmp_gt_i32_e64 s11, 0, v88
	v_ashrrev_i32_e32 v87, 31, v87
	s_delay_alu instid0(VALU_DEP_4) | instskip(NEXT) | instid1(VALU_DEP_4)
	v_and_b32_e32 v84, exec_lo, v84
	v_xor_b32_e32 v86, s12, v86
	v_cmp_gt_i32_e64 s12, 0, v83
	v_mul_u32_u24_e32 v83, 9, v85
	v_ashrrev_i32_e32 v85, 31, v89
	v_xor_b32_e32 v87, s11, v87
	v_and_b32_e32 v84, v84, v86
	s_delay_alu instid0(VALU_DEP_4) | instskip(NEXT) | instid1(VALU_DEP_4)
	v_add_lshl_u32 v88, v83, v5, 2
	v_xor_b32_e32 v85, s12, v85
	s_delay_alu instid0(VALU_DEP_3) | instskip(SKIP_3) | instid1(VALU_DEP_2)
	v_and_b32_e32 v84, v84, v87
	ds_load_b32 v83, v88 offset:32
	; wave barrier
	v_and_b32_e32 v86, v84, v85
	v_add_nc_u32_e32 v85, 32, v88
	v_mbcnt_lo_u32_b32 v84, v86, 0
	v_cmp_ne_u32_e64 s12, 0, v86
	s_delay_alu instid0(VALU_DEP_2) | instskip(NEXT) | instid1(VALU_DEP_1)
	v_cmp_eq_u32_e64 s11, 0, v84
	s_and_b32 s12, s12, s11
	s_delay_alu instid0(SALU_CYCLE_1)
	s_and_saveexec_b32 s11, s12
	s_cbranch_execz .LBB29_36
; %bb.35:                               ;   in Loop: Header=BB29_4 Depth=2
	s_waitcnt lgkmcnt(0)
	v_bcnt_u32_b32 v86, v86, v83
	ds_store_b32 v85, v86
.LBB29_36:                              ;   in Loop: Header=BB29_4 Depth=2
	s_or_b32 exec_lo, exec_lo, s11
	v_lshlrev_b32_e32 v86, s17, v22
	; wave barrier
	s_delay_alu instid0(VALU_DEP_1) | instskip(SKIP_2) | instid1(VALU_DEP_3)
	v_bfe_u32 v87, v86, 28, 1
	v_lshrrev_b32_e32 v88, 28, v86
	v_not_b32_e32 v92, v86
	v_add_co_u32 v87, s11, v87, -1
	s_delay_alu instid0(VALU_DEP_1) | instskip(NEXT) | instid1(VALU_DEP_4)
	v_cndmask_b32_e64 v89, 0, 1, s11
	v_lshlrev_b32_e32 v90, 30, v88
	v_lshlrev_b32_e32 v91, 29, v88
	s_delay_alu instid0(VALU_DEP_3) | instskip(NEXT) | instid1(VALU_DEP_3)
	v_cmp_ne_u32_e64 s11, 0, v89
	v_not_b32_e32 v89, v90
	v_cmp_gt_i32_e64 s12, 0, v90
	s_delay_alu instid0(VALU_DEP_4) | instskip(NEXT) | instid1(VALU_DEP_4)
	v_not_b32_e32 v90, v91
	v_xor_b32_e32 v87, s11, v87
	s_delay_alu instid0(VALU_DEP_4) | instskip(SKIP_1) | instid1(VALU_DEP_4)
	v_ashrrev_i32_e32 v89, 31, v89
	v_cmp_gt_i32_e64 s11, 0, v91
	v_ashrrev_i32_e32 v90, 31, v90
	s_delay_alu instid0(VALU_DEP_4) | instskip(NEXT) | instid1(VALU_DEP_4)
	v_and_b32_e32 v87, exec_lo, v87
	v_xor_b32_e32 v89, s12, v89
	v_cmp_gt_i32_e64 s12, 0, v86
	v_mul_u32_u24_e32 v86, 9, v88
	v_ashrrev_i32_e32 v88, 31, v92
	v_xor_b32_e32 v90, s11, v90
	v_and_b32_e32 v87, v87, v89
	s_delay_alu instid0(VALU_DEP_4) | instskip(NEXT) | instid1(VALU_DEP_4)
	v_add_lshl_u32 v91, v86, v5, 2
	v_xor_b32_e32 v88, s12, v88
	s_delay_alu instid0(VALU_DEP_3) | instskip(SKIP_3) | instid1(VALU_DEP_2)
	v_and_b32_e32 v87, v87, v90
	ds_load_b32 v86, v91 offset:32
	; wave barrier
	v_and_b32_e32 v89, v87, v88
	v_add_nc_u32_e32 v88, 32, v91
	v_mbcnt_lo_u32_b32 v87, v89, 0
	v_cmp_ne_u32_e64 s12, 0, v89
	s_delay_alu instid0(VALU_DEP_2) | instskip(NEXT) | instid1(VALU_DEP_1)
	v_cmp_eq_u32_e64 s11, 0, v87
	s_and_b32 s12, s12, s11
	s_delay_alu instid0(SALU_CYCLE_1)
	s_and_saveexec_b32 s11, s12
	s_cbranch_execz .LBB29_38
; %bb.37:                               ;   in Loop: Header=BB29_4 Depth=2
	s_waitcnt lgkmcnt(0)
	v_bcnt_u32_b32 v89, v89, v86
	ds_store_b32 v88, v89
.LBB29_38:                              ;   in Loop: Header=BB29_4 Depth=2
	s_or_b32 exec_lo, exec_lo, s11
	v_lshlrev_b32_e32 v89, s17, v23
	; wave barrier
	s_delay_alu instid0(VALU_DEP_1) | instskip(SKIP_2) | instid1(VALU_DEP_3)
	v_bfe_u32 v90, v89, 28, 1
	v_lshrrev_b32_e32 v91, 28, v89
	v_not_b32_e32 v95, v89
	v_add_co_u32 v90, s11, v90, -1
	s_delay_alu instid0(VALU_DEP_1) | instskip(NEXT) | instid1(VALU_DEP_4)
	v_cndmask_b32_e64 v92, 0, 1, s11
	v_lshlrev_b32_e32 v93, 30, v91
	v_lshlrev_b32_e32 v94, 29, v91
	s_delay_alu instid0(VALU_DEP_3) | instskip(NEXT) | instid1(VALU_DEP_3)
	v_cmp_ne_u32_e64 s11, 0, v92
	v_not_b32_e32 v92, v93
	v_cmp_gt_i32_e64 s12, 0, v93
	s_delay_alu instid0(VALU_DEP_4) | instskip(NEXT) | instid1(VALU_DEP_4)
	v_not_b32_e32 v93, v94
	v_xor_b32_e32 v90, s11, v90
	s_delay_alu instid0(VALU_DEP_4) | instskip(SKIP_1) | instid1(VALU_DEP_4)
	v_ashrrev_i32_e32 v92, 31, v92
	v_cmp_gt_i32_e64 s11, 0, v94
	v_ashrrev_i32_e32 v93, 31, v93
	s_delay_alu instid0(VALU_DEP_4) | instskip(NEXT) | instid1(VALU_DEP_4)
	v_and_b32_e32 v90, exec_lo, v90
	v_xor_b32_e32 v92, s12, v92
	v_cmp_gt_i32_e64 s12, 0, v89
	v_mul_u32_u24_e32 v89, 9, v91
	v_ashrrev_i32_e32 v91, 31, v95
	v_xor_b32_e32 v93, s11, v93
	v_and_b32_e32 v90, v90, v92
	s_delay_alu instid0(VALU_DEP_4) | instskip(NEXT) | instid1(VALU_DEP_4)
	v_add_lshl_u32 v94, v89, v5, 2
	v_xor_b32_e32 v91, s12, v91
	s_delay_alu instid0(VALU_DEP_3) | instskip(SKIP_3) | instid1(VALU_DEP_2)
	v_and_b32_e32 v90, v90, v93
	ds_load_b32 v89, v94 offset:32
	; wave barrier
	v_and_b32_e32 v92, v90, v91
	v_add_nc_u32_e32 v91, 32, v94
	v_mbcnt_lo_u32_b32 v90, v92, 0
	v_cmp_ne_u32_e64 s12, 0, v92
	s_delay_alu instid0(VALU_DEP_2) | instskip(NEXT) | instid1(VALU_DEP_1)
	v_cmp_eq_u32_e64 s11, 0, v90
	s_and_b32 s12, s12, s11
	s_delay_alu instid0(SALU_CYCLE_1)
	s_and_saveexec_b32 s11, s12
	s_cbranch_execz .LBB29_40
; %bb.39:                               ;   in Loop: Header=BB29_4 Depth=2
	s_waitcnt lgkmcnt(0)
	v_bcnt_u32_b32 v92, v92, v89
	ds_store_b32 v91, v92
.LBB29_40:                              ;   in Loop: Header=BB29_4 Depth=2
	s_or_b32 exec_lo, exec_lo, s11
	v_lshlrev_b32_e32 v92, s17, v24
	; wave barrier
	s_delay_alu instid0(VALU_DEP_1) | instskip(SKIP_2) | instid1(VALU_DEP_3)
	v_bfe_u32 v93, v92, 28, 1
	v_lshrrev_b32_e32 v94, 28, v92
	v_not_b32_e32 v98, v92
	v_add_co_u32 v93, s11, v93, -1
	s_delay_alu instid0(VALU_DEP_1) | instskip(NEXT) | instid1(VALU_DEP_4)
	v_cndmask_b32_e64 v95, 0, 1, s11
	v_lshlrev_b32_e32 v96, 30, v94
	v_lshlrev_b32_e32 v97, 29, v94
	s_delay_alu instid0(VALU_DEP_3) | instskip(NEXT) | instid1(VALU_DEP_3)
	v_cmp_ne_u32_e64 s11, 0, v95
	v_not_b32_e32 v95, v96
	v_cmp_gt_i32_e64 s12, 0, v96
	s_delay_alu instid0(VALU_DEP_4) | instskip(NEXT) | instid1(VALU_DEP_4)
	v_not_b32_e32 v96, v97
	v_xor_b32_e32 v93, s11, v93
	s_delay_alu instid0(VALU_DEP_4) | instskip(SKIP_1) | instid1(VALU_DEP_4)
	v_ashrrev_i32_e32 v95, 31, v95
	v_cmp_gt_i32_e64 s11, 0, v97
	v_ashrrev_i32_e32 v96, 31, v96
	s_delay_alu instid0(VALU_DEP_4) | instskip(NEXT) | instid1(VALU_DEP_4)
	v_and_b32_e32 v93, exec_lo, v93
	v_xor_b32_e32 v95, s12, v95
	v_cmp_gt_i32_e64 s12, 0, v92
	v_mul_u32_u24_e32 v92, 9, v94
	v_ashrrev_i32_e32 v94, 31, v98
	v_xor_b32_e32 v96, s11, v96
	v_and_b32_e32 v93, v93, v95
	s_delay_alu instid0(VALU_DEP_4) | instskip(NEXT) | instid1(VALU_DEP_4)
	v_add_lshl_u32 v97, v92, v5, 2
	v_xor_b32_e32 v94, s12, v94
	s_delay_alu instid0(VALU_DEP_3) | instskip(SKIP_3) | instid1(VALU_DEP_2)
	v_and_b32_e32 v93, v93, v96
	ds_load_b32 v92, v97 offset:32
	; wave barrier
	v_and_b32_e32 v95, v93, v94
	v_add_nc_u32_e32 v94, 32, v97
	v_mbcnt_lo_u32_b32 v93, v95, 0
	v_cmp_ne_u32_e64 s12, 0, v95
	s_delay_alu instid0(VALU_DEP_2) | instskip(NEXT) | instid1(VALU_DEP_1)
	v_cmp_eq_u32_e64 s11, 0, v93
	s_and_b32 s12, s12, s11
	s_delay_alu instid0(SALU_CYCLE_1)
	s_and_saveexec_b32 s11, s12
	s_cbranch_execz .LBB29_42
; %bb.41:                               ;   in Loop: Header=BB29_4 Depth=2
	s_waitcnt lgkmcnt(0)
	v_bcnt_u32_b32 v95, v95, v92
	ds_store_b32 v94, v95
.LBB29_42:                              ;   in Loop: Header=BB29_4 Depth=2
	s_or_b32 exec_lo, exec_lo, s11
	v_lshlrev_b32_e32 v95, s17, v25
	; wave barrier
	s_delay_alu instid0(VALU_DEP_1) | instskip(SKIP_2) | instid1(VALU_DEP_3)
	v_bfe_u32 v96, v95, 28, 1
	v_lshrrev_b32_e32 v97, 28, v95
	v_not_b32_e32 v101, v95
	v_add_co_u32 v96, s11, v96, -1
	s_delay_alu instid0(VALU_DEP_1) | instskip(NEXT) | instid1(VALU_DEP_4)
	v_cndmask_b32_e64 v98, 0, 1, s11
	v_lshlrev_b32_e32 v99, 30, v97
	v_lshlrev_b32_e32 v100, 29, v97
	s_delay_alu instid0(VALU_DEP_3) | instskip(NEXT) | instid1(VALU_DEP_3)
	v_cmp_ne_u32_e64 s11, 0, v98
	v_not_b32_e32 v98, v99
	v_cmp_gt_i32_e64 s12, 0, v99
	s_delay_alu instid0(VALU_DEP_4) | instskip(NEXT) | instid1(VALU_DEP_4)
	v_not_b32_e32 v99, v100
	v_xor_b32_e32 v96, s11, v96
	s_delay_alu instid0(VALU_DEP_4) | instskip(SKIP_1) | instid1(VALU_DEP_4)
	v_ashrrev_i32_e32 v98, 31, v98
	v_cmp_gt_i32_e64 s11, 0, v100
	v_ashrrev_i32_e32 v99, 31, v99
	s_delay_alu instid0(VALU_DEP_4) | instskip(NEXT) | instid1(VALU_DEP_4)
	v_and_b32_e32 v96, exec_lo, v96
	v_xor_b32_e32 v98, s12, v98
	v_cmp_gt_i32_e64 s12, 0, v95
	v_mul_u32_u24_e32 v95, 9, v97
	v_ashrrev_i32_e32 v97, 31, v101
	v_xor_b32_e32 v99, s11, v99
	v_and_b32_e32 v96, v96, v98
	s_delay_alu instid0(VALU_DEP_4) | instskip(NEXT) | instid1(VALU_DEP_4)
	v_add_lshl_u32 v100, v95, v5, 2
	v_xor_b32_e32 v97, s12, v97
	s_delay_alu instid0(VALU_DEP_3) | instskip(SKIP_3) | instid1(VALU_DEP_2)
	v_and_b32_e32 v96, v96, v99
	ds_load_b32 v95, v100 offset:32
	; wave barrier
	v_and_b32_e32 v98, v96, v97
	v_add_nc_u32_e32 v97, 32, v100
	v_mbcnt_lo_u32_b32 v96, v98, 0
	v_cmp_ne_u32_e64 s12, 0, v98
	s_delay_alu instid0(VALU_DEP_2) | instskip(NEXT) | instid1(VALU_DEP_1)
	v_cmp_eq_u32_e64 s11, 0, v96
	s_and_b32 s12, s12, s11
	s_delay_alu instid0(SALU_CYCLE_1)
	s_and_saveexec_b32 s11, s12
	s_cbranch_execz .LBB29_44
; %bb.43:                               ;   in Loop: Header=BB29_4 Depth=2
	s_waitcnt lgkmcnt(0)
	v_bcnt_u32_b32 v98, v98, v95
	ds_store_b32 v97, v98
.LBB29_44:                              ;   in Loop: Header=BB29_4 Depth=2
	s_or_b32 exec_lo, exec_lo, s11
	v_lshlrev_b32_e32 v98, s17, v26
	; wave barrier
	s_delay_alu instid0(VALU_DEP_1) | instskip(SKIP_2) | instid1(VALU_DEP_3)
	v_bfe_u32 v99, v98, 28, 1
	v_lshrrev_b32_e32 v100, 28, v98
	v_not_b32_e32 v104, v98
	v_add_co_u32 v99, s11, v99, -1
	s_delay_alu instid0(VALU_DEP_1) | instskip(NEXT) | instid1(VALU_DEP_4)
	v_cndmask_b32_e64 v101, 0, 1, s11
	v_lshlrev_b32_e32 v102, 30, v100
	v_lshlrev_b32_e32 v103, 29, v100
	s_delay_alu instid0(VALU_DEP_3) | instskip(NEXT) | instid1(VALU_DEP_3)
	v_cmp_ne_u32_e64 s11, 0, v101
	v_not_b32_e32 v101, v102
	v_cmp_gt_i32_e64 s12, 0, v102
	s_delay_alu instid0(VALU_DEP_4) | instskip(NEXT) | instid1(VALU_DEP_4)
	v_not_b32_e32 v102, v103
	v_xor_b32_e32 v99, s11, v99
	s_delay_alu instid0(VALU_DEP_4) | instskip(SKIP_1) | instid1(VALU_DEP_4)
	v_ashrrev_i32_e32 v101, 31, v101
	v_cmp_gt_i32_e64 s11, 0, v103
	v_ashrrev_i32_e32 v102, 31, v102
	s_delay_alu instid0(VALU_DEP_4) | instskip(NEXT) | instid1(VALU_DEP_4)
	v_and_b32_e32 v99, exec_lo, v99
	v_xor_b32_e32 v101, s12, v101
	v_cmp_gt_i32_e64 s12, 0, v98
	v_mul_u32_u24_e32 v98, 9, v100
	v_ashrrev_i32_e32 v100, 31, v104
	v_xor_b32_e32 v102, s11, v102
	v_and_b32_e32 v99, v99, v101
	s_delay_alu instid0(VALU_DEP_4) | instskip(NEXT) | instid1(VALU_DEP_4)
	v_add_lshl_u32 v103, v98, v5, 2
	v_xor_b32_e32 v100, s12, v100
	s_delay_alu instid0(VALU_DEP_3) | instskip(SKIP_3) | instid1(VALU_DEP_2)
	v_and_b32_e32 v99, v99, v102
	ds_load_b32 v98, v103 offset:32
	; wave barrier
	v_and_b32_e32 v101, v99, v100
	v_add_nc_u32_e32 v100, 32, v103
	v_mbcnt_lo_u32_b32 v99, v101, 0
	v_cmp_ne_u32_e64 s12, 0, v101
	s_delay_alu instid0(VALU_DEP_2) | instskip(NEXT) | instid1(VALU_DEP_1)
	v_cmp_eq_u32_e64 s11, 0, v99
	s_and_b32 s12, s12, s11
	s_delay_alu instid0(SALU_CYCLE_1)
	s_and_saveexec_b32 s11, s12
	s_cbranch_execz .LBB29_46
; %bb.45:                               ;   in Loop: Header=BB29_4 Depth=2
	s_waitcnt lgkmcnt(0)
	v_bcnt_u32_b32 v101, v101, v98
	ds_store_b32 v100, v101
.LBB29_46:                              ;   in Loop: Header=BB29_4 Depth=2
	s_or_b32 exec_lo, exec_lo, s11
	v_lshlrev_b32_e32 v101, s17, v27
	; wave barrier
	s_delay_alu instid0(VALU_DEP_1) | instskip(SKIP_2) | instid1(VALU_DEP_3)
	v_bfe_u32 v102, v101, 28, 1
	v_lshrrev_b32_e32 v103, 28, v101
	v_not_b32_e32 v107, v101
	v_add_co_u32 v102, s11, v102, -1
	s_delay_alu instid0(VALU_DEP_1) | instskip(NEXT) | instid1(VALU_DEP_4)
	v_cndmask_b32_e64 v104, 0, 1, s11
	v_lshlrev_b32_e32 v105, 30, v103
	v_lshlrev_b32_e32 v106, 29, v103
	s_delay_alu instid0(VALU_DEP_3) | instskip(NEXT) | instid1(VALU_DEP_3)
	v_cmp_ne_u32_e64 s11, 0, v104
	v_not_b32_e32 v104, v105
	v_cmp_gt_i32_e64 s12, 0, v105
	s_delay_alu instid0(VALU_DEP_4) | instskip(NEXT) | instid1(VALU_DEP_4)
	v_not_b32_e32 v105, v106
	v_xor_b32_e32 v102, s11, v102
	s_delay_alu instid0(VALU_DEP_4) | instskip(SKIP_1) | instid1(VALU_DEP_4)
	v_ashrrev_i32_e32 v104, 31, v104
	v_cmp_gt_i32_e64 s11, 0, v106
	v_ashrrev_i32_e32 v105, 31, v105
	s_delay_alu instid0(VALU_DEP_4) | instskip(NEXT) | instid1(VALU_DEP_4)
	v_and_b32_e32 v102, exec_lo, v102
	v_xor_b32_e32 v104, s12, v104
	v_cmp_gt_i32_e64 s12, 0, v101
	v_mul_u32_u24_e32 v101, 9, v103
	v_ashrrev_i32_e32 v103, 31, v107
	v_xor_b32_e32 v105, s11, v105
	v_and_b32_e32 v102, v102, v104
	s_delay_alu instid0(VALU_DEP_4) | instskip(NEXT) | instid1(VALU_DEP_4)
	v_add_lshl_u32 v106, v101, v5, 2
	v_xor_b32_e32 v103, s12, v103
	s_delay_alu instid0(VALU_DEP_3) | instskip(SKIP_3) | instid1(VALU_DEP_2)
	v_and_b32_e32 v102, v102, v105
	ds_load_b32 v101, v106 offset:32
	; wave barrier
	v_and_b32_e32 v104, v102, v103
	v_add_nc_u32_e32 v103, 32, v106
	v_mbcnt_lo_u32_b32 v102, v104, 0
	v_cmp_ne_u32_e64 s12, 0, v104
	s_delay_alu instid0(VALU_DEP_2) | instskip(NEXT) | instid1(VALU_DEP_1)
	v_cmp_eq_u32_e64 s11, 0, v102
	s_and_b32 s12, s12, s11
	s_delay_alu instid0(SALU_CYCLE_1)
	s_and_saveexec_b32 s11, s12
	s_cbranch_execz .LBB29_48
; %bb.47:                               ;   in Loop: Header=BB29_4 Depth=2
	s_waitcnt lgkmcnt(0)
	v_bcnt_u32_b32 v104, v104, v101
	ds_store_b32 v103, v104
.LBB29_48:                              ;   in Loop: Header=BB29_4 Depth=2
	s_or_b32 exec_lo, exec_lo, s11
	v_lshlrev_b32_e32 v104, s17, v28
	; wave barrier
	s_delay_alu instid0(VALU_DEP_1) | instskip(SKIP_2) | instid1(VALU_DEP_3)
	v_bfe_u32 v105, v104, 28, 1
	v_lshrrev_b32_e32 v106, 28, v104
	v_not_b32_e32 v110, v104
	v_add_co_u32 v105, s11, v105, -1
	s_delay_alu instid0(VALU_DEP_1) | instskip(NEXT) | instid1(VALU_DEP_4)
	v_cndmask_b32_e64 v107, 0, 1, s11
	v_lshlrev_b32_e32 v108, 30, v106
	v_lshlrev_b32_e32 v109, 29, v106
	s_delay_alu instid0(VALU_DEP_3) | instskip(NEXT) | instid1(VALU_DEP_3)
	v_cmp_ne_u32_e64 s11, 0, v107
	v_not_b32_e32 v107, v108
	v_cmp_gt_i32_e64 s12, 0, v108
	s_delay_alu instid0(VALU_DEP_4) | instskip(NEXT) | instid1(VALU_DEP_4)
	v_not_b32_e32 v108, v109
	v_xor_b32_e32 v105, s11, v105
	s_delay_alu instid0(VALU_DEP_4) | instskip(SKIP_1) | instid1(VALU_DEP_4)
	v_ashrrev_i32_e32 v107, 31, v107
	v_cmp_gt_i32_e64 s11, 0, v109
	v_ashrrev_i32_e32 v108, 31, v108
	s_delay_alu instid0(VALU_DEP_4) | instskip(NEXT) | instid1(VALU_DEP_4)
	v_and_b32_e32 v105, exec_lo, v105
	v_xor_b32_e32 v107, s12, v107
	v_cmp_gt_i32_e64 s12, 0, v104
	v_mul_u32_u24_e32 v104, 9, v106
	v_ashrrev_i32_e32 v106, 31, v110
	v_xor_b32_e32 v108, s11, v108
	v_and_b32_e32 v105, v105, v107
	s_delay_alu instid0(VALU_DEP_4) | instskip(NEXT) | instid1(VALU_DEP_4)
	v_add_lshl_u32 v109, v104, v5, 2
	v_xor_b32_e32 v106, s12, v106
	s_delay_alu instid0(VALU_DEP_3) | instskip(SKIP_3) | instid1(VALU_DEP_2)
	v_and_b32_e32 v105, v105, v108
	ds_load_b32 v104, v109 offset:32
	; wave barrier
	v_and_b32_e32 v107, v105, v106
	v_add_nc_u32_e32 v106, 32, v109
	v_mbcnt_lo_u32_b32 v105, v107, 0
	v_cmp_ne_u32_e64 s12, 0, v107
	s_delay_alu instid0(VALU_DEP_2) | instskip(NEXT) | instid1(VALU_DEP_1)
	v_cmp_eq_u32_e64 s11, 0, v105
	s_and_b32 s12, s12, s11
	s_delay_alu instid0(SALU_CYCLE_1)
	s_and_saveexec_b32 s11, s12
	s_cbranch_execz .LBB29_50
; %bb.49:                               ;   in Loop: Header=BB29_4 Depth=2
	s_waitcnt lgkmcnt(0)
	v_bcnt_u32_b32 v107, v107, v104
	ds_store_b32 v106, v107
.LBB29_50:                              ;   in Loop: Header=BB29_4 Depth=2
	s_or_b32 exec_lo, exec_lo, s11
	v_lshlrev_b32_e32 v107, s17, v29
	; wave barrier
	s_delay_alu instid0(VALU_DEP_1) | instskip(SKIP_2) | instid1(VALU_DEP_3)
	v_bfe_u32 v108, v107, 28, 1
	v_lshrrev_b32_e32 v109, 28, v107
	v_not_b32_e32 v113, v107
	v_add_co_u32 v108, s11, v108, -1
	s_delay_alu instid0(VALU_DEP_1) | instskip(NEXT) | instid1(VALU_DEP_4)
	v_cndmask_b32_e64 v110, 0, 1, s11
	v_lshlrev_b32_e32 v111, 30, v109
	v_lshlrev_b32_e32 v112, 29, v109
	s_delay_alu instid0(VALU_DEP_3) | instskip(NEXT) | instid1(VALU_DEP_3)
	v_cmp_ne_u32_e64 s11, 0, v110
	v_not_b32_e32 v110, v111
	v_cmp_gt_i32_e64 s12, 0, v111
	s_delay_alu instid0(VALU_DEP_4) | instskip(NEXT) | instid1(VALU_DEP_4)
	v_not_b32_e32 v111, v112
	v_xor_b32_e32 v108, s11, v108
	s_delay_alu instid0(VALU_DEP_4) | instskip(SKIP_1) | instid1(VALU_DEP_4)
	v_ashrrev_i32_e32 v110, 31, v110
	v_cmp_gt_i32_e64 s11, 0, v112
	v_ashrrev_i32_e32 v111, 31, v111
	s_delay_alu instid0(VALU_DEP_4) | instskip(NEXT) | instid1(VALU_DEP_4)
	v_and_b32_e32 v108, exec_lo, v108
	v_xor_b32_e32 v110, s12, v110
	v_cmp_gt_i32_e64 s12, 0, v107
	v_mul_u32_u24_e32 v107, 9, v109
	v_ashrrev_i32_e32 v109, 31, v113
	v_xor_b32_e32 v111, s11, v111
	v_and_b32_e32 v108, v108, v110
	s_delay_alu instid0(VALU_DEP_4) | instskip(NEXT) | instid1(VALU_DEP_4)
	v_add_lshl_u32 v112, v107, v5, 2
	v_xor_b32_e32 v109, s12, v109
	s_delay_alu instid0(VALU_DEP_3) | instskip(SKIP_3) | instid1(VALU_DEP_2)
	v_and_b32_e32 v108, v108, v111
	ds_load_b32 v107, v112 offset:32
	; wave barrier
	v_and_b32_e32 v110, v108, v109
	v_add_nc_u32_e32 v109, 32, v112
	v_mbcnt_lo_u32_b32 v108, v110, 0
	v_cmp_ne_u32_e64 s12, 0, v110
	s_delay_alu instid0(VALU_DEP_2) | instskip(NEXT) | instid1(VALU_DEP_1)
	v_cmp_eq_u32_e64 s11, 0, v108
	s_and_b32 s12, s12, s11
	s_delay_alu instid0(SALU_CYCLE_1)
	s_and_saveexec_b32 s11, s12
	s_cbranch_execz .LBB29_52
; %bb.51:                               ;   in Loop: Header=BB29_4 Depth=2
	s_waitcnt lgkmcnt(0)
	v_bcnt_u32_b32 v110, v110, v107
	ds_store_b32 v109, v110
.LBB29_52:                              ;   in Loop: Header=BB29_4 Depth=2
	s_or_b32 exec_lo, exec_lo, s11
	v_lshlrev_b32_e32 v110, s17, v30
	; wave barrier
	s_delay_alu instid0(VALU_DEP_1) | instskip(SKIP_2) | instid1(VALU_DEP_3)
	v_bfe_u32 v111, v110, 28, 1
	v_lshrrev_b32_e32 v112, 28, v110
	v_not_b32_e32 v116, v110
	v_add_co_u32 v111, s11, v111, -1
	s_delay_alu instid0(VALU_DEP_1) | instskip(NEXT) | instid1(VALU_DEP_4)
	v_cndmask_b32_e64 v113, 0, 1, s11
	v_lshlrev_b32_e32 v114, 30, v112
	v_lshlrev_b32_e32 v115, 29, v112
	s_delay_alu instid0(VALU_DEP_3) | instskip(NEXT) | instid1(VALU_DEP_3)
	v_cmp_ne_u32_e64 s11, 0, v113
	v_not_b32_e32 v113, v114
	v_cmp_gt_i32_e64 s12, 0, v114
	s_delay_alu instid0(VALU_DEP_4) | instskip(NEXT) | instid1(VALU_DEP_4)
	v_not_b32_e32 v114, v115
	v_xor_b32_e32 v111, s11, v111
	s_delay_alu instid0(VALU_DEP_4) | instskip(SKIP_1) | instid1(VALU_DEP_4)
	v_ashrrev_i32_e32 v113, 31, v113
	v_cmp_gt_i32_e64 s11, 0, v115
	v_ashrrev_i32_e32 v114, 31, v114
	s_delay_alu instid0(VALU_DEP_4) | instskip(NEXT) | instid1(VALU_DEP_4)
	v_and_b32_e32 v111, exec_lo, v111
	v_xor_b32_e32 v113, s12, v113
	v_cmp_gt_i32_e64 s12, 0, v110
	v_mul_u32_u24_e32 v110, 9, v112
	v_ashrrev_i32_e32 v112, 31, v116
	v_xor_b32_e32 v114, s11, v114
	v_and_b32_e32 v111, v111, v113
	s_delay_alu instid0(VALU_DEP_4) | instskip(NEXT) | instid1(VALU_DEP_4)
	v_add_lshl_u32 v115, v110, v5, 2
	v_xor_b32_e32 v112, s12, v112
	s_delay_alu instid0(VALU_DEP_3) | instskip(SKIP_3) | instid1(VALU_DEP_2)
	v_and_b32_e32 v111, v111, v114
	ds_load_b32 v110, v115 offset:32
	; wave barrier
	v_and_b32_e32 v113, v111, v112
	v_add_nc_u32_e32 v112, 32, v115
	v_mbcnt_lo_u32_b32 v111, v113, 0
	v_cmp_ne_u32_e64 s12, 0, v113
	s_delay_alu instid0(VALU_DEP_2) | instskip(NEXT) | instid1(VALU_DEP_1)
	v_cmp_eq_u32_e64 s11, 0, v111
	s_and_b32 s12, s12, s11
	s_delay_alu instid0(SALU_CYCLE_1)
	s_and_saveexec_b32 s11, s12
	s_cbranch_execz .LBB29_54
; %bb.53:                               ;   in Loop: Header=BB29_4 Depth=2
	s_waitcnt lgkmcnt(0)
	v_bcnt_u32_b32 v113, v113, v110
	ds_store_b32 v112, v113
.LBB29_54:                              ;   in Loop: Header=BB29_4 Depth=2
	s_or_b32 exec_lo, exec_lo, s11
	v_lshlrev_b32_e32 v113, s17, v31
	; wave barrier
	s_delay_alu instid0(VALU_DEP_1) | instskip(SKIP_2) | instid1(VALU_DEP_3)
	v_bfe_u32 v114, v113, 28, 1
	v_lshrrev_b32_e32 v115, 28, v113
	v_not_b32_e32 v119, v113
	v_add_co_u32 v114, s11, v114, -1
	s_delay_alu instid0(VALU_DEP_1) | instskip(NEXT) | instid1(VALU_DEP_4)
	v_cndmask_b32_e64 v116, 0, 1, s11
	v_lshlrev_b32_e32 v117, 30, v115
	v_lshlrev_b32_e32 v118, 29, v115
	s_delay_alu instid0(VALU_DEP_3) | instskip(NEXT) | instid1(VALU_DEP_3)
	v_cmp_ne_u32_e64 s11, 0, v116
	v_not_b32_e32 v116, v117
	v_cmp_gt_i32_e64 s12, 0, v117
	s_delay_alu instid0(VALU_DEP_4) | instskip(NEXT) | instid1(VALU_DEP_4)
	v_not_b32_e32 v117, v118
	v_xor_b32_e32 v114, s11, v114
	s_delay_alu instid0(VALU_DEP_4) | instskip(SKIP_1) | instid1(VALU_DEP_4)
	v_ashrrev_i32_e32 v116, 31, v116
	v_cmp_gt_i32_e64 s11, 0, v118
	v_ashrrev_i32_e32 v117, 31, v117
	s_delay_alu instid0(VALU_DEP_4) | instskip(NEXT) | instid1(VALU_DEP_4)
	v_and_b32_e32 v114, exec_lo, v114
	v_xor_b32_e32 v116, s12, v116
	v_cmp_gt_i32_e64 s12, 0, v113
	v_mul_u32_u24_e32 v113, 9, v115
	v_ashrrev_i32_e32 v115, 31, v119
	v_xor_b32_e32 v117, s11, v117
	v_and_b32_e32 v114, v114, v116
	s_delay_alu instid0(VALU_DEP_4) | instskip(NEXT) | instid1(VALU_DEP_4)
	v_add_lshl_u32 v118, v113, v5, 2
	v_xor_b32_e32 v115, s12, v115
	s_delay_alu instid0(VALU_DEP_3) | instskip(SKIP_3) | instid1(VALU_DEP_2)
	v_and_b32_e32 v114, v114, v117
	ds_load_b32 v113, v118 offset:32
	; wave barrier
	v_and_b32_e32 v116, v114, v115
	v_add_nc_u32_e32 v115, 32, v118
	v_mbcnt_lo_u32_b32 v114, v116, 0
	v_cmp_ne_u32_e64 s12, 0, v116
	s_delay_alu instid0(VALU_DEP_2) | instskip(NEXT) | instid1(VALU_DEP_1)
	v_cmp_eq_u32_e64 s11, 0, v114
	s_and_b32 s12, s12, s11
	s_delay_alu instid0(SALU_CYCLE_1)
	s_and_saveexec_b32 s11, s12
	s_cbranch_execz .LBB29_56
; %bb.55:                               ;   in Loop: Header=BB29_4 Depth=2
	s_waitcnt lgkmcnt(0)
	v_bcnt_u32_b32 v116, v116, v113
	ds_store_b32 v115, v116
.LBB29_56:                              ;   in Loop: Header=BB29_4 Depth=2
	s_or_b32 exec_lo, exec_lo, s11
	v_lshlrev_b32_e32 v116, s17, v32
	; wave barrier
	s_delay_alu instid0(VALU_DEP_1) | instskip(SKIP_2) | instid1(VALU_DEP_3)
	v_bfe_u32 v117, v116, 28, 1
	v_lshrrev_b32_e32 v118, 28, v116
	v_not_b32_e32 v122, v116
	v_add_co_u32 v117, s11, v117, -1
	s_delay_alu instid0(VALU_DEP_1) | instskip(NEXT) | instid1(VALU_DEP_4)
	v_cndmask_b32_e64 v119, 0, 1, s11
	v_lshlrev_b32_e32 v120, 30, v118
	v_lshlrev_b32_e32 v121, 29, v118
	s_delay_alu instid0(VALU_DEP_3) | instskip(NEXT) | instid1(VALU_DEP_3)
	v_cmp_ne_u32_e64 s11, 0, v119
	v_not_b32_e32 v119, v120
	v_cmp_gt_i32_e64 s12, 0, v120
	s_delay_alu instid0(VALU_DEP_4) | instskip(NEXT) | instid1(VALU_DEP_4)
	v_not_b32_e32 v120, v121
	v_xor_b32_e32 v117, s11, v117
	s_delay_alu instid0(VALU_DEP_4) | instskip(SKIP_1) | instid1(VALU_DEP_4)
	v_ashrrev_i32_e32 v119, 31, v119
	v_cmp_gt_i32_e64 s11, 0, v121
	v_ashrrev_i32_e32 v120, 31, v120
	s_delay_alu instid0(VALU_DEP_4) | instskip(NEXT) | instid1(VALU_DEP_4)
	v_and_b32_e32 v117, exec_lo, v117
	v_xor_b32_e32 v119, s12, v119
	v_cmp_gt_i32_e64 s12, 0, v116
	v_mul_u32_u24_e32 v116, 9, v118
	v_ashrrev_i32_e32 v118, 31, v122
	v_xor_b32_e32 v120, s11, v120
	v_and_b32_e32 v117, v117, v119
	s_delay_alu instid0(VALU_DEP_4) | instskip(NEXT) | instid1(VALU_DEP_4)
	v_add_lshl_u32 v121, v116, v5, 2
	v_xor_b32_e32 v118, s12, v118
	s_delay_alu instid0(VALU_DEP_3) | instskip(SKIP_3) | instid1(VALU_DEP_2)
	v_and_b32_e32 v117, v117, v120
	ds_load_b32 v116, v121 offset:32
	; wave barrier
	v_and_b32_e32 v119, v117, v118
	v_add_nc_u32_e32 v118, 32, v121
	v_mbcnt_lo_u32_b32 v117, v119, 0
	v_cmp_ne_u32_e64 s12, 0, v119
	s_delay_alu instid0(VALU_DEP_2) | instskip(NEXT) | instid1(VALU_DEP_1)
	v_cmp_eq_u32_e64 s11, 0, v117
	s_and_b32 s12, s12, s11
	s_delay_alu instid0(SALU_CYCLE_1)
	s_and_saveexec_b32 s11, s12
	s_cbranch_execz .LBB29_58
; %bb.57:                               ;   in Loop: Header=BB29_4 Depth=2
	s_waitcnt lgkmcnt(0)
	v_bcnt_u32_b32 v119, v119, v116
	ds_store_b32 v118, v119
.LBB29_58:                              ;   in Loop: Header=BB29_4 Depth=2
	s_or_b32 exec_lo, exec_lo, s11
	v_lshlrev_b32_e32 v119, s17, v33
	; wave barrier
	s_delay_alu instid0(VALU_DEP_1) | instskip(SKIP_2) | instid1(VALU_DEP_3)
	v_bfe_u32 v120, v119, 28, 1
	v_lshrrev_b32_e32 v121, 28, v119
	v_not_b32_e32 v125, v119
	v_add_co_u32 v120, s11, v120, -1
	s_delay_alu instid0(VALU_DEP_1) | instskip(NEXT) | instid1(VALU_DEP_4)
	v_cndmask_b32_e64 v122, 0, 1, s11
	v_lshlrev_b32_e32 v123, 30, v121
	v_lshlrev_b32_e32 v124, 29, v121
	s_delay_alu instid0(VALU_DEP_3) | instskip(NEXT) | instid1(VALU_DEP_3)
	v_cmp_ne_u32_e64 s11, 0, v122
	v_not_b32_e32 v122, v123
	v_cmp_gt_i32_e64 s12, 0, v123
	s_delay_alu instid0(VALU_DEP_4) | instskip(NEXT) | instid1(VALU_DEP_4)
	v_not_b32_e32 v123, v124
	v_xor_b32_e32 v120, s11, v120
	s_delay_alu instid0(VALU_DEP_4) | instskip(SKIP_1) | instid1(VALU_DEP_4)
	v_ashrrev_i32_e32 v122, 31, v122
	v_cmp_gt_i32_e64 s11, 0, v124
	v_ashrrev_i32_e32 v123, 31, v123
	s_delay_alu instid0(VALU_DEP_4) | instskip(NEXT) | instid1(VALU_DEP_4)
	v_and_b32_e32 v120, exec_lo, v120
	v_xor_b32_e32 v122, s12, v122
	v_cmp_gt_i32_e64 s12, 0, v119
	v_mul_u32_u24_e32 v119, 9, v121
	v_ashrrev_i32_e32 v121, 31, v125
	v_xor_b32_e32 v123, s11, v123
	v_and_b32_e32 v120, v120, v122
	s_delay_alu instid0(VALU_DEP_4) | instskip(NEXT) | instid1(VALU_DEP_4)
	v_add_lshl_u32 v124, v119, v5, 2
	v_xor_b32_e32 v121, s12, v121
	s_delay_alu instid0(VALU_DEP_3) | instskip(SKIP_3) | instid1(VALU_DEP_2)
	v_and_b32_e32 v120, v120, v123
	ds_load_b32 v119, v124 offset:32
	; wave barrier
	v_and_b32_e32 v122, v120, v121
	v_add_nc_u32_e32 v121, 32, v124
	v_mbcnt_lo_u32_b32 v120, v122, 0
	v_cmp_ne_u32_e64 s12, 0, v122
	s_delay_alu instid0(VALU_DEP_2) | instskip(NEXT) | instid1(VALU_DEP_1)
	v_cmp_eq_u32_e64 s11, 0, v120
	s_and_b32 s12, s12, s11
	s_delay_alu instid0(SALU_CYCLE_1)
	s_and_saveexec_b32 s11, s12
	s_cbranch_execz .LBB29_60
; %bb.59:                               ;   in Loop: Header=BB29_4 Depth=2
	s_waitcnt lgkmcnt(0)
	v_bcnt_u32_b32 v122, v122, v119
	ds_store_b32 v121, v122
.LBB29_60:                              ;   in Loop: Header=BB29_4 Depth=2
	s_or_b32 exec_lo, exec_lo, s11
	v_lshlrev_b32_e32 v122, s17, v34
	; wave barrier
	s_delay_alu instid0(VALU_DEP_1) | instskip(SKIP_2) | instid1(VALU_DEP_3)
	v_bfe_u32 v123, v122, 28, 1
	v_lshrrev_b32_e32 v124, 28, v122
	v_not_b32_e32 v128, v122
	v_add_co_u32 v123, s11, v123, -1
	s_delay_alu instid0(VALU_DEP_1) | instskip(NEXT) | instid1(VALU_DEP_4)
	v_cndmask_b32_e64 v125, 0, 1, s11
	v_lshlrev_b32_e32 v126, 30, v124
	v_lshlrev_b32_e32 v127, 29, v124
	s_delay_alu instid0(VALU_DEP_3) | instskip(NEXT) | instid1(VALU_DEP_3)
	v_cmp_ne_u32_e64 s11, 0, v125
	v_not_b32_e32 v125, v126
	v_cmp_gt_i32_e64 s12, 0, v126
	s_delay_alu instid0(VALU_DEP_4) | instskip(NEXT) | instid1(VALU_DEP_4)
	v_not_b32_e32 v126, v127
	v_xor_b32_e32 v123, s11, v123
	s_delay_alu instid0(VALU_DEP_4) | instskip(SKIP_1) | instid1(VALU_DEP_4)
	v_ashrrev_i32_e32 v125, 31, v125
	v_cmp_gt_i32_e64 s11, 0, v127
	v_ashrrev_i32_e32 v126, 31, v126
	s_delay_alu instid0(VALU_DEP_4) | instskip(NEXT) | instid1(VALU_DEP_4)
	v_and_b32_e32 v123, exec_lo, v123
	v_xor_b32_e32 v125, s12, v125
	v_cmp_gt_i32_e64 s12, 0, v122
	v_mul_u32_u24_e32 v122, 9, v124
	v_ashrrev_i32_e32 v124, 31, v128
	v_xor_b32_e32 v126, s11, v126
	v_and_b32_e32 v123, v123, v125
	s_delay_alu instid0(VALU_DEP_4) | instskip(NEXT) | instid1(VALU_DEP_4)
	v_add_lshl_u32 v127, v122, v5, 2
	v_xor_b32_e32 v124, s12, v124
	s_delay_alu instid0(VALU_DEP_3) | instskip(SKIP_3) | instid1(VALU_DEP_2)
	v_and_b32_e32 v123, v123, v126
	ds_load_b32 v122, v127 offset:32
	; wave barrier
	v_and_b32_e32 v125, v123, v124
	v_add_nc_u32_e32 v124, 32, v127
	v_mbcnt_lo_u32_b32 v123, v125, 0
	v_cmp_ne_u32_e64 s12, 0, v125
	s_delay_alu instid0(VALU_DEP_2) | instskip(NEXT) | instid1(VALU_DEP_1)
	v_cmp_eq_u32_e64 s11, 0, v123
	s_and_b32 s12, s12, s11
	s_delay_alu instid0(SALU_CYCLE_1)
	s_and_saveexec_b32 s11, s12
	s_cbranch_execz .LBB29_62
; %bb.61:                               ;   in Loop: Header=BB29_4 Depth=2
	s_waitcnt lgkmcnt(0)
	v_bcnt_u32_b32 v125, v125, v122
	ds_store_b32 v124, v125
.LBB29_62:                              ;   in Loop: Header=BB29_4 Depth=2
	s_or_b32 exec_lo, exec_lo, s11
	v_lshlrev_b32_e32 v125, s17, v35
	; wave barrier
	s_delay_alu instid0(VALU_DEP_1) | instskip(SKIP_2) | instid1(VALU_DEP_3)
	v_bfe_u32 v126, v125, 28, 1
	v_lshrrev_b32_e32 v127, 28, v125
	v_not_b32_e32 v131, v125
	v_add_co_u32 v126, s11, v126, -1
	s_delay_alu instid0(VALU_DEP_1) | instskip(NEXT) | instid1(VALU_DEP_4)
	v_cndmask_b32_e64 v128, 0, 1, s11
	v_lshlrev_b32_e32 v129, 30, v127
	v_lshlrev_b32_e32 v130, 29, v127
	s_delay_alu instid0(VALU_DEP_3) | instskip(NEXT) | instid1(VALU_DEP_3)
	v_cmp_ne_u32_e64 s11, 0, v128
	v_not_b32_e32 v128, v129
	v_cmp_gt_i32_e64 s12, 0, v129
	s_delay_alu instid0(VALU_DEP_4) | instskip(NEXT) | instid1(VALU_DEP_4)
	v_not_b32_e32 v129, v130
	v_xor_b32_e32 v126, s11, v126
	s_delay_alu instid0(VALU_DEP_4) | instskip(SKIP_1) | instid1(VALU_DEP_4)
	v_ashrrev_i32_e32 v128, 31, v128
	v_cmp_gt_i32_e64 s11, 0, v130
	v_ashrrev_i32_e32 v129, 31, v129
	s_delay_alu instid0(VALU_DEP_4) | instskip(NEXT) | instid1(VALU_DEP_4)
	v_and_b32_e32 v126, exec_lo, v126
	v_xor_b32_e32 v128, s12, v128
	v_cmp_gt_i32_e64 s12, 0, v125
	v_mul_u32_u24_e32 v125, 9, v127
	v_ashrrev_i32_e32 v127, 31, v131
	v_xor_b32_e32 v129, s11, v129
	v_and_b32_e32 v126, v126, v128
	s_delay_alu instid0(VALU_DEP_4) | instskip(NEXT) | instid1(VALU_DEP_4)
	v_add_lshl_u32 v130, v125, v5, 2
	v_xor_b32_e32 v127, s12, v127
	s_delay_alu instid0(VALU_DEP_3) | instskip(SKIP_3) | instid1(VALU_DEP_2)
	v_and_b32_e32 v126, v126, v129
	ds_load_b32 v125, v130 offset:32
	; wave barrier
	v_and_b32_e32 v128, v126, v127
	v_add_nc_u32_e32 v127, 32, v130
	v_mbcnt_lo_u32_b32 v126, v128, 0
	v_cmp_ne_u32_e64 s12, 0, v128
	s_delay_alu instid0(VALU_DEP_2) | instskip(NEXT) | instid1(VALU_DEP_1)
	v_cmp_eq_u32_e64 s11, 0, v126
	s_and_b32 s12, s12, s11
	s_delay_alu instid0(SALU_CYCLE_1)
	s_and_saveexec_b32 s11, s12
	s_cbranch_execz .LBB29_64
; %bb.63:                               ;   in Loop: Header=BB29_4 Depth=2
	s_waitcnt lgkmcnt(0)
	v_bcnt_u32_b32 v128, v128, v125
	ds_store_b32 v127, v128
.LBB29_64:                              ;   in Loop: Header=BB29_4 Depth=2
	s_or_b32 exec_lo, exec_lo, s11
	v_lshlrev_b32_e32 v128, s17, v36
	; wave barrier
	s_delay_alu instid0(VALU_DEP_1) | instskip(SKIP_2) | instid1(VALU_DEP_3)
	v_bfe_u32 v129, v128, 28, 1
	v_lshrrev_b32_e32 v130, 28, v128
	v_not_b32_e32 v134, v128
	v_add_co_u32 v129, s11, v129, -1
	s_delay_alu instid0(VALU_DEP_1) | instskip(NEXT) | instid1(VALU_DEP_4)
	v_cndmask_b32_e64 v131, 0, 1, s11
	v_lshlrev_b32_e32 v132, 30, v130
	v_lshlrev_b32_e32 v133, 29, v130
	s_delay_alu instid0(VALU_DEP_3) | instskip(NEXT) | instid1(VALU_DEP_3)
	v_cmp_ne_u32_e64 s11, 0, v131
	v_not_b32_e32 v131, v132
	v_cmp_gt_i32_e64 s12, 0, v132
	s_delay_alu instid0(VALU_DEP_4) | instskip(NEXT) | instid1(VALU_DEP_4)
	v_not_b32_e32 v132, v133
	v_xor_b32_e32 v129, s11, v129
	s_delay_alu instid0(VALU_DEP_4) | instskip(SKIP_1) | instid1(VALU_DEP_4)
	v_ashrrev_i32_e32 v131, 31, v131
	v_cmp_gt_i32_e64 s11, 0, v133
	v_ashrrev_i32_e32 v132, 31, v132
	s_delay_alu instid0(VALU_DEP_4) | instskip(NEXT) | instid1(VALU_DEP_4)
	v_and_b32_e32 v129, exec_lo, v129
	v_xor_b32_e32 v131, s12, v131
	v_cmp_gt_i32_e64 s12, 0, v128
	v_mul_u32_u24_e32 v128, 9, v130
	v_ashrrev_i32_e32 v130, 31, v134
	v_xor_b32_e32 v132, s11, v132
	v_and_b32_e32 v129, v129, v131
	s_delay_alu instid0(VALU_DEP_4) | instskip(NEXT) | instid1(VALU_DEP_4)
	v_add_lshl_u32 v133, v128, v5, 2
	v_xor_b32_e32 v130, s12, v130
	s_delay_alu instid0(VALU_DEP_3) | instskip(SKIP_3) | instid1(VALU_DEP_2)
	v_and_b32_e32 v129, v129, v132
	ds_load_b32 v128, v133 offset:32
	; wave barrier
	v_and_b32_e32 v131, v129, v130
	v_add_nc_u32_e32 v130, 32, v133
	v_mbcnt_lo_u32_b32 v129, v131, 0
	v_cmp_ne_u32_e64 s12, 0, v131
	s_delay_alu instid0(VALU_DEP_2) | instskip(NEXT) | instid1(VALU_DEP_1)
	v_cmp_eq_u32_e64 s11, 0, v129
	s_and_b32 s12, s12, s11
	s_delay_alu instid0(SALU_CYCLE_1)
	s_and_saveexec_b32 s11, s12
	s_cbranch_execz .LBB29_66
; %bb.65:                               ;   in Loop: Header=BB29_4 Depth=2
	s_waitcnt lgkmcnt(0)
	v_bcnt_u32_b32 v131, v131, v128
	ds_store_b32 v130, v131
.LBB29_66:                              ;   in Loop: Header=BB29_4 Depth=2
	s_or_b32 exec_lo, exec_lo, s11
	v_lshlrev_b32_e32 v131, s17, v37
	; wave barrier
	s_delay_alu instid0(VALU_DEP_1) | instskip(SKIP_2) | instid1(VALU_DEP_3)
	v_bfe_u32 v132, v131, 28, 1
	v_lshrrev_b32_e32 v133, 28, v131
	v_not_b32_e32 v137, v131
	v_add_co_u32 v132, s11, v132, -1
	s_delay_alu instid0(VALU_DEP_1) | instskip(NEXT) | instid1(VALU_DEP_4)
	v_cndmask_b32_e64 v134, 0, 1, s11
	v_lshlrev_b32_e32 v135, 30, v133
	v_lshlrev_b32_e32 v136, 29, v133
	s_delay_alu instid0(VALU_DEP_3) | instskip(NEXT) | instid1(VALU_DEP_3)
	v_cmp_ne_u32_e64 s11, 0, v134
	v_not_b32_e32 v134, v135
	v_cmp_gt_i32_e64 s12, 0, v135
	s_delay_alu instid0(VALU_DEP_4) | instskip(NEXT) | instid1(VALU_DEP_4)
	v_not_b32_e32 v135, v136
	v_xor_b32_e32 v132, s11, v132
	s_delay_alu instid0(VALU_DEP_4) | instskip(SKIP_1) | instid1(VALU_DEP_4)
	v_ashrrev_i32_e32 v134, 31, v134
	v_cmp_gt_i32_e64 s11, 0, v136
	v_ashrrev_i32_e32 v135, 31, v135
	s_delay_alu instid0(VALU_DEP_4) | instskip(NEXT) | instid1(VALU_DEP_4)
	v_and_b32_e32 v132, exec_lo, v132
	v_xor_b32_e32 v134, s12, v134
	v_cmp_gt_i32_e64 s12, 0, v131
	v_mul_u32_u24_e32 v131, 9, v133
	v_ashrrev_i32_e32 v133, 31, v137
	v_xor_b32_e32 v135, s11, v135
	v_and_b32_e32 v132, v132, v134
	s_delay_alu instid0(VALU_DEP_4) | instskip(NEXT) | instid1(VALU_DEP_4)
	v_add_lshl_u32 v136, v131, v5, 2
	v_xor_b32_e32 v133, s12, v133
	s_delay_alu instid0(VALU_DEP_3) | instskip(SKIP_3) | instid1(VALU_DEP_2)
	v_and_b32_e32 v132, v132, v135
	ds_load_b32 v131, v136 offset:32
	; wave barrier
	v_and_b32_e32 v134, v132, v133
	v_add_nc_u32_e32 v133, 32, v136
	v_mbcnt_lo_u32_b32 v132, v134, 0
	v_cmp_ne_u32_e64 s12, 0, v134
	s_delay_alu instid0(VALU_DEP_2) | instskip(NEXT) | instid1(VALU_DEP_1)
	v_cmp_eq_u32_e64 s11, 0, v132
	s_and_b32 s12, s12, s11
	s_delay_alu instid0(SALU_CYCLE_1)
	s_and_saveexec_b32 s11, s12
	s_cbranch_execz .LBB29_68
; %bb.67:                               ;   in Loop: Header=BB29_4 Depth=2
	s_waitcnt lgkmcnt(0)
	v_bcnt_u32_b32 v134, v134, v131
	ds_store_b32 v133, v134
.LBB29_68:                              ;   in Loop: Header=BB29_4 Depth=2
	s_or_b32 exec_lo, exec_lo, s11
	; wave barrier
	s_waitcnt lgkmcnt(0)
	s_barrier
	buffer_gl0_inv
	ds_load_b32 v134, v2 offset:32
	s_waitcnt lgkmcnt(0)
	v_mov_b32_dpp v135, v134 row_shr:1 row_mask:0xf bank_mask:0xf
	s_delay_alu instid0(VALU_DEP_1) | instskip(NEXT) | instid1(VALU_DEP_1)
	v_cndmask_b32_e64 v135, v135, 0, s0
	v_add_nc_u32_e32 v134, v135, v134
	s_delay_alu instid0(VALU_DEP_1) | instskip(NEXT) | instid1(VALU_DEP_1)
	v_mov_b32_dpp v135, v134 row_shr:2 row_mask:0xf bank_mask:0xf
	v_cndmask_b32_e64 v135, 0, v135, s1
	s_delay_alu instid0(VALU_DEP_1) | instskip(NEXT) | instid1(VALU_DEP_1)
	v_add_nc_u32_e32 v134, v134, v135
	v_mov_b32_dpp v135, v134 row_shr:4 row_mask:0xf bank_mask:0xf
	s_delay_alu instid0(VALU_DEP_1) | instskip(NEXT) | instid1(VALU_DEP_1)
	v_cndmask_b32_e64 v135, 0, v135, s2
	v_add_nc_u32_e32 v134, v134, v135
	s_delay_alu instid0(VALU_DEP_1) | instskip(NEXT) | instid1(VALU_DEP_1)
	v_mov_b32_dpp v135, v134 row_shr:8 row_mask:0xf bank_mask:0xf
	v_cndmask_b32_e64 v135, 0, v135, s3
	s_delay_alu instid0(VALU_DEP_1) | instskip(SKIP_3) | instid1(VALU_DEP_1)
	v_add_nc_u32_e32 v134, v134, v135
	ds_swizzle_b32 v135, v134 offset:swizzle(BROADCAST,32,15)
	s_waitcnt lgkmcnt(0)
	v_cndmask_b32_e64 v135, v135, 0, s4
	v_add_nc_u32_e32 v134, v134, v135
	s_and_saveexec_b32 s11, s10
	s_delay_alu instid0(SALU_CYCLE_1)
	s_xor_b32 s11, exec_lo, s11
	s_cbranch_execz .LBB29_70
; %bb.69:                               ;   in Loop: Header=BB29_4 Depth=2
	ds_store_b32 v4, v134
.LBB29_70:                              ;   in Loop: Header=BB29_4 Depth=2
	s_or_b32 exec_lo, exec_lo, s11
	s_waitcnt lgkmcnt(0)
	s_barrier
	buffer_gl0_inv
	s_and_saveexec_b32 s11, s5
	s_cbranch_execz .LBB29_72
; %bb.71:                               ;   in Loop: Header=BB29_4 Depth=2
	ds_load_b32 v135, v2
	s_waitcnt lgkmcnt(0)
	v_mov_b32_dpp v136, v135 row_shr:1 row_mask:0xf bank_mask:0xf
	s_delay_alu instid0(VALU_DEP_1) | instskip(NEXT) | instid1(VALU_DEP_1)
	v_cndmask_b32_e64 v136, v136, 0, s7
	v_add_nc_u32_e32 v135, v136, v135
	s_delay_alu instid0(VALU_DEP_1) | instskip(NEXT) | instid1(VALU_DEP_1)
	v_mov_b32_dpp v136, v135 row_shr:2 row_mask:0xf bank_mask:0xf
	v_cndmask_b32_e64 v136, 0, v136, s8
	s_delay_alu instid0(VALU_DEP_1) | instskip(NEXT) | instid1(VALU_DEP_1)
	v_add_nc_u32_e32 v135, v135, v136
	v_mov_b32_dpp v136, v135 row_shr:4 row_mask:0xf bank_mask:0xf
	s_delay_alu instid0(VALU_DEP_1) | instskip(NEXT) | instid1(VALU_DEP_1)
	v_cndmask_b32_e64 v136, 0, v136, s9
	v_add_nc_u32_e32 v135, v135, v136
	ds_store_b32 v2, v135
.LBB29_72:                              ;   in Loop: Header=BB29_4 Depth=2
	s_or_b32 exec_lo, exec_lo, s11
	v_mov_b32_e32 v135, 0
	s_waitcnt lgkmcnt(0)
	s_barrier
	buffer_gl0_inv
	s_and_saveexec_b32 s11, s6
	s_cbranch_execz .LBB29_3
; %bb.73:                               ;   in Loop: Header=BB29_4 Depth=2
	ds_load_b32 v135, v38
	s_branch .LBB29_3
.LBB29_74:
	ds_load_b32 v1, v43
	ds_load_b32 v3, v46
	;; [unrolled: 1-line block ×32, first 2 shown]
	v_lshlrev_b32_e32 v0, 2, v0
	s_add_u32 s0, s18, s14
	s_addc_u32 s1, s19, s15
	s_waitcnt lgkmcnt(31)
	v_add3_u32 v2, v42, v41, v1
	s_waitcnt lgkmcnt(30)
	v_add3_u32 v3, v45, v44, v3
	;; [unrolled: 2-line block ×3, first 2 shown]
	s_waitcnt lgkmcnt(28)
	v_add_nc_u32_e32 v1, v5, v39
	s_waitcnt lgkmcnt(27)
	v_add3_u32 v8, v60, v59, v8
	s_waitcnt lgkmcnt(26)
	v_add3_u32 v7, v57, v56, v7
	;; [unrolled: 2-line block ×13, first 2 shown]
	v_add3_u32 v18, v90, v89, v18
	v_add3_u32 v19, v93, v92, v19
	;; [unrolled: 1-line block ×7, first 2 shown]
	s_waitcnt lgkmcnt(0)
	v_add3_u32 v25, v111, v110, v33
	v_add3_u32 v26, v114, v113, v26
	;; [unrolled: 1-line block ×8, first 2 shown]
	s_clause 0x7
	global_store_b128 v0, v[1:4], s[0:1]
	global_store_b128 v0, v[5:8], s[0:1] offset:16
	global_store_b128 v0, v[9:12], s[0:1] offset:32
	;; [unrolled: 1-line block ×7, first 2 shown]
	s_nop 0
	s_sendmsg sendmsg(MSG_DEALLOC_VGPRS)
	s_endpgm
	.section	.rodata,"a",@progbits
	.p2align	6, 0x0
	.amdhsa_kernel _Z11rank_kernelIiLj4ELb0EL18RadixRankAlgorithm2ELj256ELj32ELj10EEvPKT_Pi
		.amdhsa_group_segment_fixed_size 1056
		.amdhsa_private_segment_fixed_size 0
		.amdhsa_kernarg_size 272
		.amdhsa_user_sgpr_count 15
		.amdhsa_user_sgpr_dispatch_ptr 0
		.amdhsa_user_sgpr_queue_ptr 0
		.amdhsa_user_sgpr_kernarg_segment_ptr 1
		.amdhsa_user_sgpr_dispatch_id 0
		.amdhsa_user_sgpr_private_segment_size 0
		.amdhsa_wavefront_size32 1
		.amdhsa_uses_dynamic_stack 0
		.amdhsa_enable_private_segment 0
		.amdhsa_system_sgpr_workgroup_id_x 1
		.amdhsa_system_sgpr_workgroup_id_y 0
		.amdhsa_system_sgpr_workgroup_id_z 0
		.amdhsa_system_sgpr_workgroup_info 0
		.amdhsa_system_vgpr_workitem_id 2
		.amdhsa_next_free_vgpr 138
		.amdhsa_next_free_sgpr 20
		.amdhsa_reserve_vcc 1
		.amdhsa_float_round_mode_32 0
		.amdhsa_float_round_mode_16_64 0
		.amdhsa_float_denorm_mode_32 3
		.amdhsa_float_denorm_mode_16_64 3
		.amdhsa_dx10_clamp 1
		.amdhsa_ieee_mode 1
		.amdhsa_fp16_overflow 0
		.amdhsa_workgroup_processor_mode 1
		.amdhsa_memory_ordered 1
		.amdhsa_forward_progress 0
		.amdhsa_shared_vgpr_count 0
		.amdhsa_exception_fp_ieee_invalid_op 0
		.amdhsa_exception_fp_denorm_src 0
		.amdhsa_exception_fp_ieee_div_zero 0
		.amdhsa_exception_fp_ieee_overflow 0
		.amdhsa_exception_fp_ieee_underflow 0
		.amdhsa_exception_fp_ieee_inexact 0
		.amdhsa_exception_int_div_zero 0
	.end_amdhsa_kernel
	.section	.text._Z11rank_kernelIiLj4ELb0EL18RadixRankAlgorithm2ELj256ELj32ELj10EEvPKT_Pi,"axG",@progbits,_Z11rank_kernelIiLj4ELb0EL18RadixRankAlgorithm2ELj256ELj32ELj10EEvPKT_Pi,comdat
.Lfunc_end29:
	.size	_Z11rank_kernelIiLj4ELb0EL18RadixRankAlgorithm2ELj256ELj32ELj10EEvPKT_Pi, .Lfunc_end29-_Z11rank_kernelIiLj4ELb0EL18RadixRankAlgorithm2ELj256ELj32ELj10EEvPKT_Pi
                                        ; -- End function
	.section	.AMDGPU.csdata,"",@progbits
; Kernel info:
; codeLenInByte = 9832
; NumSgprs: 22
; NumVgprs: 138
; ScratchSize: 0
; MemoryBound: 0
; FloatMode: 240
; IeeeMode: 1
; LDSByteSize: 1056 bytes/workgroup (compile time only)
; SGPRBlocks: 2
; VGPRBlocks: 17
; NumSGPRsForWavesPerEU: 22
; NumVGPRsForWavesPerEU: 138
; Occupancy: 10
; WaveLimiterHint : 0
; COMPUTE_PGM_RSRC2:SCRATCH_EN: 0
; COMPUTE_PGM_RSRC2:USER_SGPR: 15
; COMPUTE_PGM_RSRC2:TRAP_HANDLER: 0
; COMPUTE_PGM_RSRC2:TGID_X_EN: 1
; COMPUTE_PGM_RSRC2:TGID_Y_EN: 0
; COMPUTE_PGM_RSRC2:TGID_Z_EN: 0
; COMPUTE_PGM_RSRC2:TIDIG_COMP_CNT: 2
	.section	.text._Z11rank_kernelIiLj4ELb0EL18RadixRankAlgorithm0ELj512ELj1ELj10EEvPKT_Pi,"axG",@progbits,_Z11rank_kernelIiLj4ELb0EL18RadixRankAlgorithm0ELj512ELj1ELj10EEvPKT_Pi,comdat
	.protected	_Z11rank_kernelIiLj4ELb0EL18RadixRankAlgorithm0ELj512ELj1ELj10EEvPKT_Pi ; -- Begin function _Z11rank_kernelIiLj4ELb0EL18RadixRankAlgorithm0ELj512ELj1ELj10EEvPKT_Pi
	.globl	_Z11rank_kernelIiLj4ELb0EL18RadixRankAlgorithm0ELj512ELj1ELj10EEvPKT_Pi
	.p2align	8
	.type	_Z11rank_kernelIiLj4ELb0EL18RadixRankAlgorithm0ELj512ELj1ELj10EEvPKT_Pi,@function
_Z11rank_kernelIiLj4ELb0EL18RadixRankAlgorithm0ELj512ELj1ELj10EEvPKT_Pi: ; @_Z11rank_kernelIiLj4ELb0EL18RadixRankAlgorithm0ELj512ELj1ELj10EEvPKT_Pi
; %bb.0:
	s_load_b128 s[8:11], s[0:1], 0x0
	s_mov_b32 s17, 0
	s_lshl_b32 s16, s15, 9
	v_dual_mov_b32 v2, 0 :: v_dual_lshlrev_b32 v1, 2, v0
	s_lshl_b64 s[12:13], s[16:17], 2
	v_mbcnt_lo_u32_b32 v4, -1, 0
	v_or_b32_e32 v8, 31, v0
	v_lshrrev_b32_e32 v10, 3, v0
	v_lshlrev_b32_e32 v3, 5, v0
	v_cmp_gt_u32_e32 vcc_lo, 16, v0
	v_add_nc_u32_e32 v9, -1, v4
	v_and_b32_e32 v5, 15, v4
	v_and_b32_e32 v7, 16, v4
	v_cmp_eq_u32_e64 s7, v8, v0
	s_delay_alu instid0(VALU_DEP_4) | instskip(NEXT) | instid1(VALU_DEP_4)
	v_cmp_gt_i32_e64 s5, 0, v9
	v_cmp_eq_u32_e64 s2, 0, v5
	v_cmp_lt_u32_e64 s3, 1, v5
	v_cmp_lt_u32_e64 s4, 3, v5
	s_waitcnt lgkmcnt(0)
	s_add_u32 s0, s8, s12
	s_addc_u32 s1, s9, s13
	v_cndmask_b32_e64 v9, v9, v4, s5
	global_load_b32 v6, v1, s[0:1]
	v_cmp_lt_u32_e64 s0, 31, v0
	v_cmp_eq_u32_e64 s1, 0, v4
	v_cmp_lt_u32_e64 s5, 7, v5
	v_cmp_eq_u32_e64 s6, 0, v7
	v_and_b32_e32 v4, 60, v10
	v_lshlrev_b32_e32 v5, 2, v9
	v_or_b32_e32 v7, 0xfffffe00, v0
	s_waitcnt vmcnt(0)
	v_xor_b32_e32 v6, 0x80000000, v6
	s_branch .LBB30_2
.LBB30_1:                               ;   in Loop: Header=BB30_2 Depth=1
	s_add_i32 s17, s17, 1
	s_delay_alu instid0(SALU_CYCLE_1)
	s_cmp_eq_u32 s17, 10
	s_cbranch_scc1 .LBB30_12
.LBB30_2:                               ; =>This Loop Header: Depth=1
                                        ;     Child Loop BB30_4 Depth 2
                                        ;       Child Loop BB30_5 Depth 3
	s_mov_b32 s9, 0
	s_branch .LBB30_4
.LBB30_3:                               ;   in Loop: Header=BB30_4 Depth=2
	s_or_b32 exec_lo, exec_lo, s8
	s_waitcnt lgkmcnt(0)
	v_add_nc_u32_e32 v10, v11, v10
	ds_load_b32 v14, v2 offset:16444
	ds_load_2addr_b32 v[12:13], v3 offset1:1
	s_add_i32 s8, s9, 4
	s_cmp_lt_u32 s9, 28
	s_mov_b32 s9, s8
	ds_bpermute_b32 v10, v5, v10
	s_waitcnt lgkmcnt(0)
	v_cndmask_b32_e64 v15, v10, v11, s1
	ds_load_2addr_b32 v[10:11], v3 offset0:2 offset1:3
	v_lshl_add_u32 v16, v14, 16, v15
	ds_load_2addr_b32 v[14:15], v3 offset0:4 offset1:5
	ds_load_b32 v17, v3 offset:24
	v_add_nc_u32_e32 v12, v16, v12
	s_delay_alu instid0(VALU_DEP_1) | instskip(SKIP_1) | instid1(VALU_DEP_1)
	v_add_nc_u32_e32 v13, v13, v12
	s_waitcnt lgkmcnt(2)
	v_add_nc_u32_e32 v10, v10, v13
	s_delay_alu instid0(VALU_DEP_1) | instskip(SKIP_1) | instid1(VALU_DEP_1)
	v_add_nc_u32_e32 v11, v11, v10
	s_waitcnt lgkmcnt(1)
	;; [unrolled: 4-line block ×3, first 2 shown]
	v_add_nc_u32_e32 v17, v17, v15
	ds_store_2addr_b32 v3, v16, v12 offset1:1
	ds_store_2addr_b32 v3, v13, v10 offset0:2 offset1:3
	ds_store_2addr_b32 v3, v11, v14 offset0:4 offset1:5
	;; [unrolled: 1-line block ×3, first 2 shown]
	s_waitcnt lgkmcnt(0)
	s_barrier
	buffer_gl0_inv
	s_cbranch_scc0 .LBB30_1
.LBB30_4:                               ;   Parent Loop BB30_2 Depth=1
                                        ; =>  This Loop Header: Depth=2
                                        ;       Child Loop BB30_5 Depth 3
	v_dual_mov_b32 v8, v7 :: v_dual_mov_b32 v9, v1
	s_mov_b32 s14, 0
.LBB30_5:                               ;   Parent Loop BB30_2 Depth=1
                                        ;     Parent Loop BB30_4 Depth=2
                                        ; =>    This Inner Loop Header: Depth=3
	s_delay_alu instid0(VALU_DEP_1) | instskip(SKIP_3) | instid1(VALU_DEP_1)
	v_add_nc_u32_e32 v8, 0x200, v8
	ds_store_b32 v9, v2
	v_add_nc_u32_e32 v9, 0x800, v9
	v_cmp_lt_u32_e64 s8, 0xdff, v8
	s_or_b32 s14, s8, s14
	s_delay_alu instid0(SALU_CYCLE_1)
	s_and_not1_b32 exec_lo, exec_lo, s14
	s_cbranch_execnz .LBB30_5
; %bb.6:                                ;   in Loop: Header=BB30_4 Depth=2
	s_or_b32 exec_lo, exec_lo, s14
	s_sub_i32 s8, 28, s9
	s_delay_alu instid0(SALU_CYCLE_1) | instskip(NEXT) | instid1(VALU_DEP_1)
	v_lshlrev_b32_e32 v8, s8, v6
	v_lshrrev_b32_e32 v9, 19, v8
	s_delay_alu instid0(VALU_DEP_1) | instskip(NEXT) | instid1(VALU_DEP_1)
	v_and_or_b32 v9, 0xe00, v9, v0
	v_alignbit_b32 v8, v9, v8, 31
	s_delay_alu instid0(VALU_DEP_1)
	v_lshlrev_b32_e32 v8, 1, v8
	ds_load_u16 v9, v8
	s_waitcnt lgkmcnt(0)
	v_add_nc_u16 v10, v9, 1
	ds_store_b16 v8, v10
	s_waitcnt lgkmcnt(0)
	s_barrier
	buffer_gl0_inv
	ds_load_2addr_b32 v[10:11], v3 offset1:1
	ds_load_2addr_b32 v[12:13], v3 offset0:2 offset1:3
	ds_load_2addr_b32 v[14:15], v3 offset0:4 offset1:5
	;; [unrolled: 1-line block ×3, first 2 shown]
	s_waitcnt lgkmcnt(3)
	v_add_nc_u32_e32 v10, v11, v10
	s_waitcnt lgkmcnt(2)
	s_delay_alu instid0(VALU_DEP_1) | instskip(SKIP_1) | instid1(VALU_DEP_1)
	v_add3_u32 v10, v10, v12, v13
	s_waitcnt lgkmcnt(1)
	v_add3_u32 v10, v10, v14, v15
	s_waitcnt lgkmcnt(0)
	s_delay_alu instid0(VALU_DEP_1) | instskip(NEXT) | instid1(VALU_DEP_1)
	v_add3_u32 v10, v10, v16, v17
	v_mov_b32_dpp v11, v10 row_shr:1 row_mask:0xf bank_mask:0xf
	s_delay_alu instid0(VALU_DEP_1) | instskip(NEXT) | instid1(VALU_DEP_1)
	v_cndmask_b32_e64 v11, v11, 0, s2
	v_add_nc_u32_e32 v10, v11, v10
	s_delay_alu instid0(VALU_DEP_1) | instskip(NEXT) | instid1(VALU_DEP_1)
	v_mov_b32_dpp v11, v10 row_shr:2 row_mask:0xf bank_mask:0xf
	v_cndmask_b32_e64 v11, 0, v11, s3
	s_delay_alu instid0(VALU_DEP_1) | instskip(NEXT) | instid1(VALU_DEP_1)
	v_add_nc_u32_e32 v10, v10, v11
	v_mov_b32_dpp v11, v10 row_shr:4 row_mask:0xf bank_mask:0xf
	s_delay_alu instid0(VALU_DEP_1) | instskip(NEXT) | instid1(VALU_DEP_1)
	v_cndmask_b32_e64 v11, 0, v11, s4
	v_add_nc_u32_e32 v10, v10, v11
	s_delay_alu instid0(VALU_DEP_1) | instskip(NEXT) | instid1(VALU_DEP_1)
	v_mov_b32_dpp v11, v10 row_shr:8 row_mask:0xf bank_mask:0xf
	v_cndmask_b32_e64 v11, 0, v11, s5
	s_delay_alu instid0(VALU_DEP_1) | instskip(SKIP_3) | instid1(VALU_DEP_1)
	v_add_nc_u32_e32 v10, v10, v11
	ds_swizzle_b32 v11, v10 offset:swizzle(BROADCAST,32,15)
	s_waitcnt lgkmcnt(0)
	v_cndmask_b32_e64 v11, v11, 0, s6
	v_add_nc_u32_e32 v10, v10, v11
	s_and_saveexec_b32 s8, s7
	s_cbranch_execz .LBB30_8
; %bb.7:                                ;   in Loop: Header=BB30_4 Depth=2
	ds_store_b32 v4, v10 offset:16384
.LBB30_8:                               ;   in Loop: Header=BB30_4 Depth=2
	s_or_b32 exec_lo, exec_lo, s8
	s_waitcnt lgkmcnt(0)
	s_barrier
	buffer_gl0_inv
	s_and_saveexec_b32 s8, vcc_lo
	s_cbranch_execz .LBB30_10
; %bb.9:                                ;   in Loop: Header=BB30_4 Depth=2
	ds_load_b32 v11, v1 offset:16384
	s_waitcnt lgkmcnt(0)
	v_mov_b32_dpp v12, v11 row_shr:1 row_mask:0xf bank_mask:0xf
	s_delay_alu instid0(VALU_DEP_1) | instskip(NEXT) | instid1(VALU_DEP_1)
	v_cndmask_b32_e64 v12, v12, 0, s2
	v_add_nc_u32_e32 v11, v12, v11
	s_delay_alu instid0(VALU_DEP_1) | instskip(NEXT) | instid1(VALU_DEP_1)
	v_mov_b32_dpp v12, v11 row_shr:2 row_mask:0xf bank_mask:0xf
	v_cndmask_b32_e64 v12, 0, v12, s3
	s_delay_alu instid0(VALU_DEP_1) | instskip(NEXT) | instid1(VALU_DEP_1)
	v_add_nc_u32_e32 v11, v11, v12
	v_mov_b32_dpp v12, v11 row_shr:4 row_mask:0xf bank_mask:0xf
	s_delay_alu instid0(VALU_DEP_1) | instskip(NEXT) | instid1(VALU_DEP_1)
	v_cndmask_b32_e64 v12, 0, v12, s4
	v_add_nc_u32_e32 v11, v11, v12
	s_delay_alu instid0(VALU_DEP_1) | instskip(NEXT) | instid1(VALU_DEP_1)
	v_mov_b32_dpp v12, v11 row_shr:8 row_mask:0xf bank_mask:0xf
	v_cndmask_b32_e64 v12, 0, v12, s5
	s_delay_alu instid0(VALU_DEP_1)
	v_add_nc_u32_e32 v11, v11, v12
	ds_store_b32 v1, v11 offset:16384
.LBB30_10:                              ;   in Loop: Header=BB30_4 Depth=2
	s_or_b32 exec_lo, exec_lo, s8
	v_mov_b32_e32 v11, 0
	s_waitcnt lgkmcnt(0)
	s_barrier
	buffer_gl0_inv
	s_and_saveexec_b32 s8, s0
	s_cbranch_execz .LBB30_3
; %bb.11:                               ;   in Loop: Header=BB30_4 Depth=2
	ds_load_b32 v11, v4 offset:16380
	s_branch .LBB30_3
.LBB30_12:
	ds_load_u16 v1, v8
	v_and_b32_e32 v2, 0xffff, v9
	v_lshlrev_b32_e32 v0, 2, v0
	s_add_u32 s0, s10, s12
	s_addc_u32 s1, s11, s13
	s_waitcnt lgkmcnt(0)
	v_add_nc_u32_e32 v1, v1, v2
	global_store_b32 v0, v1, s[0:1]
	s_nop 0
	s_sendmsg sendmsg(MSG_DEALLOC_VGPRS)
	s_endpgm
	.section	.rodata,"a",@progbits
	.p2align	6, 0x0
	.amdhsa_kernel _Z11rank_kernelIiLj4ELb0EL18RadixRankAlgorithm0ELj512ELj1ELj10EEvPKT_Pi
		.amdhsa_group_segment_fixed_size 16448
		.amdhsa_private_segment_fixed_size 0
		.amdhsa_kernarg_size 16
		.amdhsa_user_sgpr_count 15
		.amdhsa_user_sgpr_dispatch_ptr 0
		.amdhsa_user_sgpr_queue_ptr 0
		.amdhsa_user_sgpr_kernarg_segment_ptr 1
		.amdhsa_user_sgpr_dispatch_id 0
		.amdhsa_user_sgpr_private_segment_size 0
		.amdhsa_wavefront_size32 1
		.amdhsa_uses_dynamic_stack 0
		.amdhsa_enable_private_segment 0
		.amdhsa_system_sgpr_workgroup_id_x 1
		.amdhsa_system_sgpr_workgroup_id_y 0
		.amdhsa_system_sgpr_workgroup_id_z 0
		.amdhsa_system_sgpr_workgroup_info 0
		.amdhsa_system_vgpr_workitem_id 0
		.amdhsa_next_free_vgpr 18
		.amdhsa_next_free_sgpr 18
		.amdhsa_reserve_vcc 1
		.amdhsa_float_round_mode_32 0
		.amdhsa_float_round_mode_16_64 0
		.amdhsa_float_denorm_mode_32 3
		.amdhsa_float_denorm_mode_16_64 3
		.amdhsa_dx10_clamp 1
		.amdhsa_ieee_mode 1
		.amdhsa_fp16_overflow 0
		.amdhsa_workgroup_processor_mode 1
		.amdhsa_memory_ordered 1
		.amdhsa_forward_progress 0
		.amdhsa_shared_vgpr_count 0
		.amdhsa_exception_fp_ieee_invalid_op 0
		.amdhsa_exception_fp_denorm_src 0
		.amdhsa_exception_fp_ieee_div_zero 0
		.amdhsa_exception_fp_ieee_overflow 0
		.amdhsa_exception_fp_ieee_underflow 0
		.amdhsa_exception_fp_ieee_inexact 0
		.amdhsa_exception_int_div_zero 0
	.end_amdhsa_kernel
	.section	.text._Z11rank_kernelIiLj4ELb0EL18RadixRankAlgorithm0ELj512ELj1ELj10EEvPKT_Pi,"axG",@progbits,_Z11rank_kernelIiLj4ELb0EL18RadixRankAlgorithm0ELj512ELj1ELj10EEvPKT_Pi,comdat
.Lfunc_end30:
	.size	_Z11rank_kernelIiLj4ELb0EL18RadixRankAlgorithm0ELj512ELj1ELj10EEvPKT_Pi, .Lfunc_end30-_Z11rank_kernelIiLj4ELb0EL18RadixRankAlgorithm0ELj512ELj1ELj10EEvPKT_Pi
                                        ; -- End function
	.section	.AMDGPU.csdata,"",@progbits
; Kernel info:
; codeLenInByte = 1064
; NumSgprs: 20
; NumVgprs: 18
; ScratchSize: 0
; MemoryBound: 0
; FloatMode: 240
; IeeeMode: 1
; LDSByteSize: 16448 bytes/workgroup (compile time only)
; SGPRBlocks: 2
; VGPRBlocks: 2
; NumSGPRsForWavesPerEU: 20
; NumVGPRsForWavesPerEU: 18
; Occupancy: 16
; WaveLimiterHint : 0
; COMPUTE_PGM_RSRC2:SCRATCH_EN: 0
; COMPUTE_PGM_RSRC2:USER_SGPR: 15
; COMPUTE_PGM_RSRC2:TRAP_HANDLER: 0
; COMPUTE_PGM_RSRC2:TGID_X_EN: 1
; COMPUTE_PGM_RSRC2:TGID_Y_EN: 0
; COMPUTE_PGM_RSRC2:TGID_Z_EN: 0
; COMPUTE_PGM_RSRC2:TIDIG_COMP_CNT: 0
	.section	.text._Z11rank_kernelIiLj4ELb0EL18RadixRankAlgorithm1ELj512ELj1ELj10EEvPKT_Pi,"axG",@progbits,_Z11rank_kernelIiLj4ELb0EL18RadixRankAlgorithm1ELj512ELj1ELj10EEvPKT_Pi,comdat
	.protected	_Z11rank_kernelIiLj4ELb0EL18RadixRankAlgorithm1ELj512ELj1ELj10EEvPKT_Pi ; -- Begin function _Z11rank_kernelIiLj4ELb0EL18RadixRankAlgorithm1ELj512ELj1ELj10EEvPKT_Pi
	.globl	_Z11rank_kernelIiLj4ELb0EL18RadixRankAlgorithm1ELj512ELj1ELj10EEvPKT_Pi
	.p2align	8
	.type	_Z11rank_kernelIiLj4ELb0EL18RadixRankAlgorithm1ELj512ELj1ELj10EEvPKT_Pi,@function
_Z11rank_kernelIiLj4ELb0EL18RadixRankAlgorithm1ELj512ELj1ELj10EEvPKT_Pi: ; @_Z11rank_kernelIiLj4ELb0EL18RadixRankAlgorithm1ELj512ELj1ELj10EEvPKT_Pi
; %bb.0:
	s_load_b128 s[8:11], s[0:1], 0x0
	s_mov_b32 s17, 0
	s_lshl_b32 s16, s15, 9
	v_dual_mov_b32 v10, 0 :: v_dual_lshlrev_b32 v9, 2, v0
	s_lshl_b64 s[12:13], s[16:17], 2
	v_mbcnt_lo_u32_b32 v2, -1, 0
	v_or_b32_e32 v5, 31, v0
	v_lshrrev_b32_e32 v7, 3, v0
	v_lshlrev_b32_e32 v11, 5, v0
	v_cmp_gt_u32_e32 vcc_lo, 16, v0
	v_add_nc_u32_e32 v6, -1, v2
	v_and_b32_e32 v3, 15, v2
	v_and_b32_e32 v4, 16, v2
	v_cmp_eq_u32_e64 s7, v5, v0
	v_and_b32_e32 v12, 60, v7
	v_cmp_gt_i32_e64 s5, 0, v6
	v_cmp_eq_u32_e64 s2, 0, v3
	v_cmp_lt_u32_e64 s3, 1, v3
	v_cmp_lt_u32_e64 s4, 3, v3
	s_waitcnt lgkmcnt(0)
	s_add_u32 s0, s8, s12
	s_addc_u32 s1, s9, s13
	v_cmp_eq_u32_e64 s6, 0, v4
	global_load_b32 v1, v9, s[0:1]
	v_cmp_eq_u32_e64 s1, 0, v2
	v_cndmask_b32_e64 v2, v6, v2, s5
	v_cmp_lt_u32_e64 s0, 31, v0
	v_cmp_lt_u32_e64 s5, 7, v3
	v_or_b32_e32 v15, 0xfffffe00, v0
	s_delay_alu instid0(VALU_DEP_4)
	v_lshlrev_b32_e32 v13, 2, v2
	s_waitcnt vmcnt(0)
	v_xor_b32_e32 v14, 0x80000000, v1
	s_branch .LBB31_2
.LBB31_1:                               ;   in Loop: Header=BB31_2 Depth=1
	s_add_i32 s17, s17, 1
	s_delay_alu instid0(SALU_CYCLE_1)
	s_cmp_eq_u32 s17, 10
	s_cbranch_scc1 .LBB31_12
.LBB31_2:                               ; =>This Loop Header: Depth=1
                                        ;     Child Loop BB31_4 Depth 2
                                        ;       Child Loop BB31_5 Depth 3
	s_mov_b32 s9, 0
	s_branch .LBB31_4
.LBB31_3:                               ;   in Loop: Header=BB31_4 Depth=2
	s_or_b32 exec_lo, exec_lo, s8
	s_waitcnt lgkmcnt(0)
	v_add_nc_u32_e32 v2, v18, v2
	ds_load_b32 v19, v10 offset:16444
	s_add_i32 s8, s9, 4
	s_cmp_lt_u32 s9, 28
	s_mov_b32 s9, s8
	ds_bpermute_b32 v2, v13, v2
	s_waitcnt lgkmcnt(0)
	v_cndmask_b32_e64 v2, v2, v18, s1
	s_delay_alu instid0(VALU_DEP_1) | instskip(NEXT) | instid1(VALU_DEP_1)
	v_lshl_add_u32 v2, v19, 16, v2
	v_add_nc_u32_e32 v7, v2, v7
	s_delay_alu instid0(VALU_DEP_1) | instskip(NEXT) | instid1(VALU_DEP_1)
	v_add_nc_u32_e32 v8, v7, v8
	v_add_nc_u32_e32 v5, v8, v5
	s_delay_alu instid0(VALU_DEP_1) | instskip(NEXT) | instid1(VALU_DEP_1)
	v_add_nc_u32_e32 v6, v5, v6
	;; [unrolled: 3-line block ×3, first 2 shown]
	v_add_nc_u32_e32 v1, v4, v1
	ds_store_2addr_b32 v11, v2, v7 offset1:1
	ds_store_2addr_b32 v11, v8, v5 offset0:2 offset1:3
	ds_store_2addr_b32 v11, v6, v3 offset0:4 offset1:5
	;; [unrolled: 1-line block ×3, first 2 shown]
	s_waitcnt lgkmcnt(0)
	s_barrier
	buffer_gl0_inv
	s_cbranch_scc0 .LBB31_1
.LBB31_4:                               ;   Parent Loop BB31_2 Depth=1
                                        ; =>  This Loop Header: Depth=2
                                        ;       Child Loop BB31_5 Depth 3
	v_dual_mov_b32 v1, v15 :: v_dual_mov_b32 v2, v9
	s_mov_b32 s14, 0
.LBB31_5:                               ;   Parent Loop BB31_2 Depth=1
                                        ;     Parent Loop BB31_4 Depth=2
                                        ; =>    This Inner Loop Header: Depth=3
	s_delay_alu instid0(VALU_DEP_1) | instskip(SKIP_3) | instid1(VALU_DEP_1)
	v_add_nc_u32_e32 v1, 0x200, v1
	ds_store_b32 v2, v10
	v_add_nc_u32_e32 v2, 0x800, v2
	v_cmp_lt_u32_e64 s8, 0xdff, v1
	s_or_b32 s14, s8, s14
	s_delay_alu instid0(SALU_CYCLE_1)
	s_and_not1_b32 exec_lo, exec_lo, s14
	s_cbranch_execnz .LBB31_5
; %bb.6:                                ;   in Loop: Header=BB31_4 Depth=2
	s_or_b32 exec_lo, exec_lo, s14
	s_sub_i32 s8, 28, s9
	s_delay_alu instid0(SALU_CYCLE_1) | instskip(NEXT) | instid1(VALU_DEP_1)
	v_lshlrev_b32_e32 v1, s8, v14
	v_lshrrev_b32_e32 v2, 19, v1
	s_delay_alu instid0(VALU_DEP_1) | instskip(NEXT) | instid1(VALU_DEP_1)
	v_and_or_b32 v2, 0xe00, v2, v0
	v_alignbit_b32 v1, v2, v1, 31
	s_delay_alu instid0(VALU_DEP_1)
	v_lshlrev_b32_e32 v16, 1, v1
	ds_load_u16 v17, v16
	s_waitcnt lgkmcnt(0)
	v_add_nc_u16 v1, v17, 1
	ds_store_b16 v16, v1
	s_waitcnt lgkmcnt(0)
	s_barrier
	buffer_gl0_inv
	ds_load_2addr_b32 v[7:8], v11 offset1:1
	ds_load_2addr_b32 v[5:6], v11 offset0:2 offset1:3
	ds_load_2addr_b32 v[3:4], v11 offset0:4 offset1:5
	;; [unrolled: 1-line block ×3, first 2 shown]
	s_waitcnt lgkmcnt(3)
	v_add_nc_u32_e32 v18, v8, v7
	s_waitcnt lgkmcnt(2)
	s_delay_alu instid0(VALU_DEP_1) | instskip(SKIP_1) | instid1(VALU_DEP_1)
	v_add3_u32 v18, v18, v5, v6
	s_waitcnt lgkmcnt(1)
	v_add3_u32 v18, v18, v3, v4
	s_waitcnt lgkmcnt(0)
	s_delay_alu instid0(VALU_DEP_1) | instskip(NEXT) | instid1(VALU_DEP_1)
	v_add3_u32 v2, v18, v1, v2
	v_mov_b32_dpp v18, v2 row_shr:1 row_mask:0xf bank_mask:0xf
	s_delay_alu instid0(VALU_DEP_1) | instskip(NEXT) | instid1(VALU_DEP_1)
	v_cndmask_b32_e64 v18, v18, 0, s2
	v_add_nc_u32_e32 v2, v18, v2
	s_delay_alu instid0(VALU_DEP_1) | instskip(NEXT) | instid1(VALU_DEP_1)
	v_mov_b32_dpp v18, v2 row_shr:2 row_mask:0xf bank_mask:0xf
	v_cndmask_b32_e64 v18, 0, v18, s3
	s_delay_alu instid0(VALU_DEP_1) | instskip(NEXT) | instid1(VALU_DEP_1)
	v_add_nc_u32_e32 v2, v2, v18
	v_mov_b32_dpp v18, v2 row_shr:4 row_mask:0xf bank_mask:0xf
	s_delay_alu instid0(VALU_DEP_1) | instskip(NEXT) | instid1(VALU_DEP_1)
	v_cndmask_b32_e64 v18, 0, v18, s4
	v_add_nc_u32_e32 v2, v2, v18
	s_delay_alu instid0(VALU_DEP_1) | instskip(NEXT) | instid1(VALU_DEP_1)
	v_mov_b32_dpp v18, v2 row_shr:8 row_mask:0xf bank_mask:0xf
	v_cndmask_b32_e64 v18, 0, v18, s5
	s_delay_alu instid0(VALU_DEP_1) | instskip(SKIP_3) | instid1(VALU_DEP_1)
	v_add_nc_u32_e32 v2, v2, v18
	ds_swizzle_b32 v18, v2 offset:swizzle(BROADCAST,32,15)
	s_waitcnt lgkmcnt(0)
	v_cndmask_b32_e64 v18, v18, 0, s6
	v_add_nc_u32_e32 v2, v2, v18
	s_and_saveexec_b32 s8, s7
	s_cbranch_execz .LBB31_8
; %bb.7:                                ;   in Loop: Header=BB31_4 Depth=2
	ds_store_b32 v12, v2 offset:16384
.LBB31_8:                               ;   in Loop: Header=BB31_4 Depth=2
	s_or_b32 exec_lo, exec_lo, s8
	s_waitcnt lgkmcnt(0)
	s_barrier
	buffer_gl0_inv
	s_and_saveexec_b32 s8, vcc_lo
	s_cbranch_execz .LBB31_10
; %bb.9:                                ;   in Loop: Header=BB31_4 Depth=2
	ds_load_b32 v18, v9 offset:16384
	s_waitcnt lgkmcnt(0)
	v_mov_b32_dpp v19, v18 row_shr:1 row_mask:0xf bank_mask:0xf
	s_delay_alu instid0(VALU_DEP_1) | instskip(NEXT) | instid1(VALU_DEP_1)
	v_cndmask_b32_e64 v19, v19, 0, s2
	v_add_nc_u32_e32 v18, v19, v18
	s_delay_alu instid0(VALU_DEP_1) | instskip(NEXT) | instid1(VALU_DEP_1)
	v_mov_b32_dpp v19, v18 row_shr:2 row_mask:0xf bank_mask:0xf
	v_cndmask_b32_e64 v19, 0, v19, s3
	s_delay_alu instid0(VALU_DEP_1) | instskip(NEXT) | instid1(VALU_DEP_1)
	v_add_nc_u32_e32 v18, v18, v19
	v_mov_b32_dpp v19, v18 row_shr:4 row_mask:0xf bank_mask:0xf
	s_delay_alu instid0(VALU_DEP_1) | instskip(NEXT) | instid1(VALU_DEP_1)
	v_cndmask_b32_e64 v19, 0, v19, s4
	v_add_nc_u32_e32 v18, v18, v19
	s_delay_alu instid0(VALU_DEP_1) | instskip(NEXT) | instid1(VALU_DEP_1)
	v_mov_b32_dpp v19, v18 row_shr:8 row_mask:0xf bank_mask:0xf
	v_cndmask_b32_e64 v19, 0, v19, s5
	s_delay_alu instid0(VALU_DEP_1)
	v_add_nc_u32_e32 v18, v18, v19
	ds_store_b32 v9, v18 offset:16384
.LBB31_10:                              ;   in Loop: Header=BB31_4 Depth=2
	s_or_b32 exec_lo, exec_lo, s8
	v_mov_b32_e32 v18, 0
	s_waitcnt lgkmcnt(0)
	s_barrier
	buffer_gl0_inv
	s_and_saveexec_b32 s8, s0
	s_cbranch_execz .LBB31_3
; %bb.11:                               ;   in Loop: Header=BB31_4 Depth=2
	ds_load_b32 v18, v12 offset:16380
	s_branch .LBB31_3
.LBB31_12:
	ds_load_u16 v1, v16
	v_and_b32_e32 v2, 0xffff, v17
	v_lshlrev_b32_e32 v0, 2, v0
	s_add_u32 s0, s10, s12
	s_addc_u32 s1, s11, s13
	s_waitcnt lgkmcnt(0)
	v_add_nc_u32_e32 v1, v1, v2
	global_store_b32 v0, v1, s[0:1]
	s_nop 0
	s_sendmsg sendmsg(MSG_DEALLOC_VGPRS)
	s_endpgm
	.section	.rodata,"a",@progbits
	.p2align	6, 0x0
	.amdhsa_kernel _Z11rank_kernelIiLj4ELb0EL18RadixRankAlgorithm1ELj512ELj1ELj10EEvPKT_Pi
		.amdhsa_group_segment_fixed_size 16448
		.amdhsa_private_segment_fixed_size 0
		.amdhsa_kernarg_size 16
		.amdhsa_user_sgpr_count 15
		.amdhsa_user_sgpr_dispatch_ptr 0
		.amdhsa_user_sgpr_queue_ptr 0
		.amdhsa_user_sgpr_kernarg_segment_ptr 1
		.amdhsa_user_sgpr_dispatch_id 0
		.amdhsa_user_sgpr_private_segment_size 0
		.amdhsa_wavefront_size32 1
		.amdhsa_uses_dynamic_stack 0
		.amdhsa_enable_private_segment 0
		.amdhsa_system_sgpr_workgroup_id_x 1
		.amdhsa_system_sgpr_workgroup_id_y 0
		.amdhsa_system_sgpr_workgroup_id_z 0
		.amdhsa_system_sgpr_workgroup_info 0
		.amdhsa_system_vgpr_workitem_id 0
		.amdhsa_next_free_vgpr 20
		.amdhsa_next_free_sgpr 18
		.amdhsa_reserve_vcc 1
		.amdhsa_float_round_mode_32 0
		.amdhsa_float_round_mode_16_64 0
		.amdhsa_float_denorm_mode_32 3
		.amdhsa_float_denorm_mode_16_64 3
		.amdhsa_dx10_clamp 1
		.amdhsa_ieee_mode 1
		.amdhsa_fp16_overflow 0
		.amdhsa_workgroup_processor_mode 1
		.amdhsa_memory_ordered 1
		.amdhsa_forward_progress 0
		.amdhsa_shared_vgpr_count 0
		.amdhsa_exception_fp_ieee_invalid_op 0
		.amdhsa_exception_fp_denorm_src 0
		.amdhsa_exception_fp_ieee_div_zero 0
		.amdhsa_exception_fp_ieee_overflow 0
		.amdhsa_exception_fp_ieee_underflow 0
		.amdhsa_exception_fp_ieee_inexact 0
		.amdhsa_exception_int_div_zero 0
	.end_amdhsa_kernel
	.section	.text._Z11rank_kernelIiLj4ELb0EL18RadixRankAlgorithm1ELj512ELj1ELj10EEvPKT_Pi,"axG",@progbits,_Z11rank_kernelIiLj4ELb0EL18RadixRankAlgorithm1ELj512ELj1ELj10EEvPKT_Pi,comdat
.Lfunc_end31:
	.size	_Z11rank_kernelIiLj4ELb0EL18RadixRankAlgorithm1ELj512ELj1ELj10EEvPKT_Pi, .Lfunc_end31-_Z11rank_kernelIiLj4ELb0EL18RadixRankAlgorithm1ELj512ELj1ELj10EEvPKT_Pi
                                        ; -- End function
	.section	.AMDGPU.csdata,"",@progbits
; Kernel info:
; codeLenInByte = 1024
; NumSgprs: 20
; NumVgprs: 20
; ScratchSize: 0
; MemoryBound: 0
; FloatMode: 240
; IeeeMode: 1
; LDSByteSize: 16448 bytes/workgroup (compile time only)
; SGPRBlocks: 2
; VGPRBlocks: 2
; NumSGPRsForWavesPerEU: 20
; NumVGPRsForWavesPerEU: 20
; Occupancy: 16
; WaveLimiterHint : 0
; COMPUTE_PGM_RSRC2:SCRATCH_EN: 0
; COMPUTE_PGM_RSRC2:USER_SGPR: 15
; COMPUTE_PGM_RSRC2:TRAP_HANDLER: 0
; COMPUTE_PGM_RSRC2:TGID_X_EN: 1
; COMPUTE_PGM_RSRC2:TGID_Y_EN: 0
; COMPUTE_PGM_RSRC2:TGID_Z_EN: 0
; COMPUTE_PGM_RSRC2:TIDIG_COMP_CNT: 0
	.section	.text._Z11rank_kernelIiLj4ELb0EL18RadixRankAlgorithm2ELj512ELj1ELj10EEvPKT_Pi,"axG",@progbits,_Z11rank_kernelIiLj4ELb0EL18RadixRankAlgorithm2ELj512ELj1ELj10EEvPKT_Pi,comdat
	.protected	_Z11rank_kernelIiLj4ELb0EL18RadixRankAlgorithm2ELj512ELj1ELj10EEvPKT_Pi ; -- Begin function _Z11rank_kernelIiLj4ELb0EL18RadixRankAlgorithm2ELj512ELj1ELj10EEvPKT_Pi
	.globl	_Z11rank_kernelIiLj4ELb0EL18RadixRankAlgorithm2ELj512ELj1ELj10EEvPKT_Pi
	.p2align	8
	.type	_Z11rank_kernelIiLj4ELb0EL18RadixRankAlgorithm2ELj512ELj1ELj10EEvPKT_Pi,@function
_Z11rank_kernelIiLj4ELb0EL18RadixRankAlgorithm2ELj512ELj1ELj10EEvPKT_Pi: ; @_Z11rank_kernelIiLj4ELb0EL18RadixRankAlgorithm2ELj512ELj1ELj10EEvPKT_Pi
; %bb.0:
	s_clause 0x1
	s_load_b128 s[8:11], s[0:1], 0x0
	s_load_b32 s5, s[0:1], 0x1c
	v_and_b32_e32 v1, 0x3ff, v0
	s_mov_b32 s17, 0
	s_lshl_b32 s16, s15, 9
	v_mov_b32_e32 v3, 0
	s_lshl_b64 s[12:13], s[16:17], 2
	v_lshlrev_b32_e32 v2, 2, v1
	v_mbcnt_lo_u32_b32 v4, -1, 0
	v_bfe_u32 v5, v0, 10, 10
	v_bfe_u32 v0, v0, 20, 10
	v_lshrrev_b32_e32 v10, 3, v1
	s_delay_alu instid0(VALU_DEP_4) | instskip(SKIP_3) | instid1(VALU_DEP_4)
	v_and_b32_e32 v6, 15, v4
	v_add_nc_u32_e32 v9, -1, v4
	v_and_b32_e32 v8, 16, v4
	v_cmp_eq_u32_e32 vcc_lo, 0, v4
	v_cmp_lt_u32_e64 s2, 3, v6
	v_cmp_lt_u32_e64 s3, 7, v6
	s_waitcnt lgkmcnt(0)
	s_add_u32 s0, s8, s12
	s_addc_u32 s1, s9, s13
	s_lshr_b32 s6, s5, 16
	global_load_b32 v7, v2, s[0:1]
	v_mad_u32_u24 v0, v0, s6, v5
	s_and_b32 s5, s5, 0xffff
	v_cmp_eq_u32_e64 s0, 0, v6
	v_cmp_lt_u32_e64 s1, 1, v6
	v_cmp_eq_u32_e64 s4, 0, v8
	v_mad_u64_u32 v[5:6], null, v0, s5, v[1:2]
	v_cmp_gt_i32_e64 s5, 0, v9
	v_or_b32_e32 v8, 31, v1
	v_and_b32_e32 v0, 60, v10
	v_cmp_lt_u32_e64 s6, 31, v1
	s_delay_alu instid0(VALU_DEP_4) | instskip(SKIP_3) | instid1(VALU_DEP_4)
	v_cndmask_b32_e64 v4, v9, v4, s5
	v_cmp_gt_u32_e64 s5, 16, v1
	v_cmp_eq_u32_e64 s7, v8, v1
	v_lshrrev_b32_e32 v5, 5, v5
	v_lshlrev_b32_e32 v4, 2, v4
	s_waitcnt vmcnt(0)
	v_xor_b32_e32 v6, 0x80000000, v7
	v_add_nc_u32_e32 v7, -4, v0
	s_branch .LBB32_2
.LBB32_1:                               ;   in Loop: Header=BB32_2 Depth=1
	s_add_i32 s17, s17, 1
	s_delay_alu instid0(SALU_CYCLE_1)
	s_cmp_eq_u32 s17, 10
	s_cbranch_scc1 .LBB32_12
.LBB32_2:                               ; =>This Loop Header: Depth=1
                                        ;     Child Loop BB32_4 Depth 2
	s_mov_b32 s14, -4
	s_mov_b32 s15, 28
	s_branch .LBB32_4
.LBB32_3:                               ;   in Loop: Header=BB32_4 Depth=2
	s_or_b32 exec_lo, exec_lo, s8
	s_waitcnt lgkmcnt(0)
	v_add_nc_u32_e32 v10, v11, v10
	s_add_i32 s14, s14, 4
	s_add_i32 s15, s15, -4
	s_cmp_lt_u32 s14, 28
	ds_bpermute_b32 v10, v4, v10
	s_waitcnt lgkmcnt(0)
	v_cndmask_b32_e32 v10, v10, v11, vcc_lo
	ds_store_b32 v2, v10 offset:64
	s_waitcnt lgkmcnt(0)
	s_barrier
	buffer_gl0_inv
	s_cbranch_scc0 .LBB32_1
.LBB32_4:                               ;   Parent Loop BB32_2 Depth=1
                                        ; =>  This Inner Loop Header: Depth=2
	v_lshlrev_b32_e32 v8, s15, v6
	ds_store_b32 v2, v3 offset:64
	s_waitcnt lgkmcnt(0)
	s_barrier
	buffer_gl0_inv
	v_bfe_u32 v9, v8, 28, 1
	v_lshrrev_b32_e32 v11, 28, v8
	v_not_b32_e32 v14, v8
	; wave barrier
	s_delay_alu instid0(VALU_DEP_3) | instskip(NEXT) | instid1(VALU_DEP_1)
	v_add_co_u32 v9, s8, v9, -1
	v_cndmask_b32_e64 v10, 0, 1, s8
	s_delay_alu instid0(VALU_DEP_4) | instskip(SKIP_1) | instid1(VALU_DEP_3)
	v_lshlrev_b32_e32 v12, 30, v11
	v_lshlrev_b32_e32 v13, 29, v11
	v_cmp_ne_u32_e64 s8, 0, v10
	s_delay_alu instid0(VALU_DEP_3) | instskip(SKIP_1) | instid1(VALU_DEP_4)
	v_not_b32_e32 v10, v12
	v_cmp_gt_i32_e64 s9, 0, v12
	v_not_b32_e32 v12, v13
	s_delay_alu instid0(VALU_DEP_4) | instskip(NEXT) | instid1(VALU_DEP_4)
	v_xor_b32_e32 v9, s8, v9
	v_ashrrev_i32_e32 v10, 31, v10
	v_cmp_gt_i32_e64 s8, 0, v13
	s_delay_alu instid0(VALU_DEP_4) | instskip(NEXT) | instid1(VALU_DEP_4)
	v_ashrrev_i32_e32 v12, 31, v12
	v_and_b32_e32 v9, exec_lo, v9
	s_delay_alu instid0(VALU_DEP_4) | instskip(SKIP_3) | instid1(VALU_DEP_4)
	v_xor_b32_e32 v10, s9, v10
	v_cmp_gt_i32_e64 s9, 0, v8
	v_ashrrev_i32_e32 v8, 31, v14
	v_xor_b32_e32 v12, s8, v12
	v_and_b32_e32 v9, v9, v10
	s_delay_alu instid0(VALU_DEP_3) | instskip(NEXT) | instid1(VALU_DEP_2)
	v_xor_b32_e32 v8, s9, v8
	v_and_b32_e32 v9, v9, v12
	s_delay_alu instid0(VALU_DEP_1) | instskip(SKIP_1) | instid1(VALU_DEP_2)
	v_and_b32_e32 v10, v9, v8
	v_mad_u32_u24 v9, v11, 17, v5
	v_mbcnt_lo_u32_b32 v8, v10, 0
	v_cmp_ne_u32_e64 s9, 0, v10
	s_delay_alu instid0(VALU_DEP_3) | instskip(NEXT) | instid1(VALU_DEP_3)
	v_lshl_add_u32 v9, v9, 2, 64
	v_cmp_eq_u32_e64 s8, 0, v8
	s_delay_alu instid0(VALU_DEP_1) | instskip(NEXT) | instid1(SALU_CYCLE_1)
	s_and_b32 s9, s9, s8
	s_and_saveexec_b32 s8, s9
	s_cbranch_execz .LBB32_6
; %bb.5:                                ;   in Loop: Header=BB32_4 Depth=2
	v_bcnt_u32_b32 v10, v10, 0
	ds_store_b32 v9, v10
.LBB32_6:                               ;   in Loop: Header=BB32_4 Depth=2
	s_or_b32 exec_lo, exec_lo, s8
	; wave barrier
	s_waitcnt lgkmcnt(0)
	s_barrier
	buffer_gl0_inv
	ds_load_b32 v10, v2 offset:64
	s_waitcnt lgkmcnt(0)
	v_mov_b32_dpp v11, v10 row_shr:1 row_mask:0xf bank_mask:0xf
	s_delay_alu instid0(VALU_DEP_1) | instskip(NEXT) | instid1(VALU_DEP_1)
	v_cndmask_b32_e64 v11, v11, 0, s0
	v_add_nc_u32_e32 v10, v11, v10
	s_delay_alu instid0(VALU_DEP_1) | instskip(NEXT) | instid1(VALU_DEP_1)
	v_mov_b32_dpp v11, v10 row_shr:2 row_mask:0xf bank_mask:0xf
	v_cndmask_b32_e64 v11, 0, v11, s1
	s_delay_alu instid0(VALU_DEP_1) | instskip(NEXT) | instid1(VALU_DEP_1)
	v_add_nc_u32_e32 v10, v10, v11
	v_mov_b32_dpp v11, v10 row_shr:4 row_mask:0xf bank_mask:0xf
	s_delay_alu instid0(VALU_DEP_1) | instskip(NEXT) | instid1(VALU_DEP_1)
	v_cndmask_b32_e64 v11, 0, v11, s2
	v_add_nc_u32_e32 v10, v10, v11
	s_delay_alu instid0(VALU_DEP_1) | instskip(NEXT) | instid1(VALU_DEP_1)
	v_mov_b32_dpp v11, v10 row_shr:8 row_mask:0xf bank_mask:0xf
	v_cndmask_b32_e64 v11, 0, v11, s3
	s_delay_alu instid0(VALU_DEP_1) | instskip(SKIP_3) | instid1(VALU_DEP_1)
	v_add_nc_u32_e32 v10, v10, v11
	ds_swizzle_b32 v11, v10 offset:swizzle(BROADCAST,32,15)
	s_waitcnt lgkmcnt(0)
	v_cndmask_b32_e64 v11, v11, 0, s4
	v_add_nc_u32_e32 v10, v10, v11
	s_and_saveexec_b32 s8, s7
	s_cbranch_execz .LBB32_8
; %bb.7:                                ;   in Loop: Header=BB32_4 Depth=2
	ds_store_b32 v0, v10
.LBB32_8:                               ;   in Loop: Header=BB32_4 Depth=2
	s_or_b32 exec_lo, exec_lo, s8
	s_waitcnt lgkmcnt(0)
	s_barrier
	buffer_gl0_inv
	s_and_saveexec_b32 s8, s5
	s_cbranch_execz .LBB32_10
; %bb.9:                                ;   in Loop: Header=BB32_4 Depth=2
	ds_load_b32 v11, v2
	s_waitcnt lgkmcnt(0)
	v_mov_b32_dpp v12, v11 row_shr:1 row_mask:0xf bank_mask:0xf
	s_delay_alu instid0(VALU_DEP_1) | instskip(NEXT) | instid1(VALU_DEP_1)
	v_cndmask_b32_e64 v12, v12, 0, s0
	v_add_nc_u32_e32 v11, v12, v11
	s_delay_alu instid0(VALU_DEP_1) | instskip(NEXT) | instid1(VALU_DEP_1)
	v_mov_b32_dpp v12, v11 row_shr:2 row_mask:0xf bank_mask:0xf
	v_cndmask_b32_e64 v12, 0, v12, s1
	s_delay_alu instid0(VALU_DEP_1) | instskip(NEXT) | instid1(VALU_DEP_1)
	v_add_nc_u32_e32 v11, v11, v12
	v_mov_b32_dpp v12, v11 row_shr:4 row_mask:0xf bank_mask:0xf
	s_delay_alu instid0(VALU_DEP_1) | instskip(NEXT) | instid1(VALU_DEP_1)
	v_cndmask_b32_e64 v12, 0, v12, s2
	v_add_nc_u32_e32 v11, v11, v12
	s_delay_alu instid0(VALU_DEP_1) | instskip(NEXT) | instid1(VALU_DEP_1)
	v_mov_b32_dpp v12, v11 row_shr:8 row_mask:0xf bank_mask:0xf
	v_cndmask_b32_e64 v12, 0, v12, s3
	s_delay_alu instid0(VALU_DEP_1)
	v_add_nc_u32_e32 v11, v11, v12
	ds_store_b32 v2, v11
.LBB32_10:                              ;   in Loop: Header=BB32_4 Depth=2
	s_or_b32 exec_lo, exec_lo, s8
	v_mov_b32_e32 v11, 0
	s_waitcnt lgkmcnt(0)
	s_barrier
	buffer_gl0_inv
	s_and_saveexec_b32 s8, s6
	s_cbranch_execz .LBB32_3
; %bb.11:                               ;   in Loop: Header=BB32_4 Depth=2
	ds_load_b32 v11, v7
	s_branch .LBB32_3
.LBB32_12:
	ds_load_b32 v0, v9
	v_lshlrev_b32_e32 v1, 2, v1
	s_add_u32 s0, s10, s12
	s_addc_u32 s1, s11, s13
	s_waitcnt lgkmcnt(0)
	v_add_nc_u32_e32 v0, v0, v8
	global_store_b32 v1, v0, s[0:1]
	s_nop 0
	s_sendmsg sendmsg(MSG_DEALLOC_VGPRS)
	s_endpgm
	.section	.rodata,"a",@progbits
	.p2align	6, 0x0
	.amdhsa_kernel _Z11rank_kernelIiLj4ELb0EL18RadixRankAlgorithm2ELj512ELj1ELj10EEvPKT_Pi
		.amdhsa_group_segment_fixed_size 2112
		.amdhsa_private_segment_fixed_size 0
		.amdhsa_kernarg_size 272
		.amdhsa_user_sgpr_count 15
		.amdhsa_user_sgpr_dispatch_ptr 0
		.amdhsa_user_sgpr_queue_ptr 0
		.amdhsa_user_sgpr_kernarg_segment_ptr 1
		.amdhsa_user_sgpr_dispatch_id 0
		.amdhsa_user_sgpr_private_segment_size 0
		.amdhsa_wavefront_size32 1
		.amdhsa_uses_dynamic_stack 0
		.amdhsa_enable_private_segment 0
		.amdhsa_system_sgpr_workgroup_id_x 1
		.amdhsa_system_sgpr_workgroup_id_y 0
		.amdhsa_system_sgpr_workgroup_id_z 0
		.amdhsa_system_sgpr_workgroup_info 0
		.amdhsa_system_vgpr_workitem_id 2
		.amdhsa_next_free_vgpr 15
		.amdhsa_next_free_sgpr 18
		.amdhsa_reserve_vcc 1
		.amdhsa_float_round_mode_32 0
		.amdhsa_float_round_mode_16_64 0
		.amdhsa_float_denorm_mode_32 3
		.amdhsa_float_denorm_mode_16_64 3
		.amdhsa_dx10_clamp 1
		.amdhsa_ieee_mode 1
		.amdhsa_fp16_overflow 0
		.amdhsa_workgroup_processor_mode 1
		.amdhsa_memory_ordered 1
		.amdhsa_forward_progress 0
		.amdhsa_shared_vgpr_count 0
		.amdhsa_exception_fp_ieee_invalid_op 0
		.amdhsa_exception_fp_denorm_src 0
		.amdhsa_exception_fp_ieee_div_zero 0
		.amdhsa_exception_fp_ieee_overflow 0
		.amdhsa_exception_fp_ieee_underflow 0
		.amdhsa_exception_fp_ieee_inexact 0
		.amdhsa_exception_int_div_zero 0
	.end_amdhsa_kernel
	.section	.text._Z11rank_kernelIiLj4ELb0EL18RadixRankAlgorithm2ELj512ELj1ELj10EEvPKT_Pi,"axG",@progbits,_Z11rank_kernelIiLj4ELb0EL18RadixRankAlgorithm2ELj512ELj1ELj10EEvPKT_Pi,comdat
.Lfunc_end32:
	.size	_Z11rank_kernelIiLj4ELb0EL18RadixRankAlgorithm2ELj512ELj1ELj10EEvPKT_Pi, .Lfunc_end32-_Z11rank_kernelIiLj4ELb0EL18RadixRankAlgorithm2ELj512ELj1ELj10EEvPKT_Pi
                                        ; -- End function
	.section	.AMDGPU.csdata,"",@progbits
; Kernel info:
; codeLenInByte = 1040
; NumSgprs: 20
; NumVgprs: 15
; ScratchSize: 0
; MemoryBound: 0
; FloatMode: 240
; IeeeMode: 1
; LDSByteSize: 2112 bytes/workgroup (compile time only)
; SGPRBlocks: 2
; VGPRBlocks: 1
; NumSGPRsForWavesPerEU: 20
; NumVGPRsForWavesPerEU: 15
; Occupancy: 16
; WaveLimiterHint : 0
; COMPUTE_PGM_RSRC2:SCRATCH_EN: 0
; COMPUTE_PGM_RSRC2:USER_SGPR: 15
; COMPUTE_PGM_RSRC2:TRAP_HANDLER: 0
; COMPUTE_PGM_RSRC2:TGID_X_EN: 1
; COMPUTE_PGM_RSRC2:TGID_Y_EN: 0
; COMPUTE_PGM_RSRC2:TGID_Z_EN: 0
; COMPUTE_PGM_RSRC2:TIDIG_COMP_CNT: 2
	.section	.text._Z11rank_kernelIiLj4ELb0EL18RadixRankAlgorithm0ELj512ELj4ELj10EEvPKT_Pi,"axG",@progbits,_Z11rank_kernelIiLj4ELb0EL18RadixRankAlgorithm0ELj512ELj4ELj10EEvPKT_Pi,comdat
	.protected	_Z11rank_kernelIiLj4ELb0EL18RadixRankAlgorithm0ELj512ELj4ELj10EEvPKT_Pi ; -- Begin function _Z11rank_kernelIiLj4ELb0EL18RadixRankAlgorithm0ELj512ELj4ELj10EEvPKT_Pi
	.globl	_Z11rank_kernelIiLj4ELb0EL18RadixRankAlgorithm0ELj512ELj4ELj10EEvPKT_Pi
	.p2align	8
	.type	_Z11rank_kernelIiLj4ELb0EL18RadixRankAlgorithm0ELj512ELj4ELj10EEvPKT_Pi,@function
_Z11rank_kernelIiLj4ELb0EL18RadixRankAlgorithm0ELj512ELj4ELj10EEvPKT_Pi: ; @_Z11rank_kernelIiLj4ELb0EL18RadixRankAlgorithm0ELj512ELj4ELj10EEvPKT_Pi
; %bb.0:
	s_load_b128 s[8:11], s[0:1], 0x0
	s_mov_b32 s17, 0
	s_lshl_b32 s16, s15, 11
	v_dual_mov_b32 v2, 0 :: v_dual_lshlrev_b32 v1, 4, v0
	s_lshl_b64 s[12:13], s[16:17], 2
	v_mbcnt_lo_u32_b32 v4, -1, 0
	v_or_b32_e32 v11, 31, v0
	v_lshrrev_b32_e32 v13, 3, v0
	v_lshlrev_b32_e32 v3, 5, v0
	v_cmp_gt_u32_e32 vcc_lo, 16, v0
	v_add_nc_u32_e32 v12, -1, v4
	v_and_b32_e32 v5, 15, v4
	v_and_b32_e32 v10, 16, v4
	v_cmp_eq_u32_e64 s7, v11, v0
	s_delay_alu instid0(VALU_DEP_4) | instskip(NEXT) | instid1(VALU_DEP_4)
	v_cmp_gt_i32_e64 s5, 0, v12
	v_cmp_eq_u32_e64 s2, 0, v5
	v_cmp_lt_u32_e64 s3, 1, v5
	v_cmp_lt_u32_e64 s4, 3, v5
	s_waitcnt lgkmcnt(0)
	s_add_u32 s0, s8, s12
	s_addc_u32 s1, s9, s13
	v_cndmask_b32_e64 v12, v12, v4, s5
	global_load_b128 v[6:9], v1, s[0:1]
	v_lshlrev_b32_e32 v1, 2, v0
	v_cmp_lt_u32_e64 s0, 31, v0
	v_cmp_eq_u32_e64 s1, 0, v4
	v_cmp_lt_u32_e64 s5, 7, v5
	v_cmp_eq_u32_e64 s6, 0, v10
	v_and_b32_e32 v4, 60, v13
	v_lshlrev_b32_e32 v5, 2, v12
	v_or_b32_e32 v10, 0xfffffe00, v0
	s_waitcnt vmcnt(0)
	v_xor_b32_e32 v6, 0x80000000, v6
	v_xor_b32_e32 v7, 0x80000000, v7
	;; [unrolled: 1-line block ×4, first 2 shown]
	s_branch .LBB33_2
.LBB33_1:                               ;   in Loop: Header=BB33_2 Depth=1
	s_add_i32 s17, s17, 1
	s_delay_alu instid0(SALU_CYCLE_1)
	s_cmp_eq_u32 s17, 10
	s_cbranch_scc1 .LBB33_12
.LBB33_2:                               ; =>This Loop Header: Depth=1
                                        ;     Child Loop BB33_4 Depth 2
                                        ;       Child Loop BB33_5 Depth 3
	s_mov_b32 s9, 0
	s_branch .LBB33_4
.LBB33_3:                               ;   in Loop: Header=BB33_4 Depth=2
	s_or_b32 exec_lo, exec_lo, s8
	s_waitcnt lgkmcnt(0)
	v_add_nc_u32_e32 v19, v20, v19
	ds_load_b32 v23, v2 offset:16444
	ds_load_2addr_b32 v[21:22], v3 offset1:1
	s_add_i32 s8, s9, 4
	s_cmp_lt_u32 s9, 28
	s_mov_b32 s9, s8
	ds_bpermute_b32 v19, v5, v19
	s_waitcnt lgkmcnt(0)
	v_cndmask_b32_e64 v24, v19, v20, s1
	ds_load_2addr_b32 v[19:20], v3 offset0:2 offset1:3
	v_lshl_add_u32 v25, v23, 16, v24
	ds_load_2addr_b32 v[23:24], v3 offset0:4 offset1:5
	ds_load_b32 v26, v3 offset:24
	v_add_nc_u32_e32 v21, v25, v21
	s_delay_alu instid0(VALU_DEP_1) | instskip(SKIP_1) | instid1(VALU_DEP_1)
	v_add_nc_u32_e32 v22, v22, v21
	s_waitcnt lgkmcnt(2)
	v_add_nc_u32_e32 v19, v19, v22
	s_delay_alu instid0(VALU_DEP_1) | instskip(SKIP_1) | instid1(VALU_DEP_1)
	v_add_nc_u32_e32 v20, v20, v19
	s_waitcnt lgkmcnt(1)
	;; [unrolled: 4-line block ×3, first 2 shown]
	v_add_nc_u32_e32 v26, v26, v24
	ds_store_2addr_b32 v3, v25, v21 offset1:1
	ds_store_2addr_b32 v3, v22, v19 offset0:2 offset1:3
	ds_store_2addr_b32 v3, v20, v23 offset0:4 offset1:5
	;; [unrolled: 1-line block ×3, first 2 shown]
	s_waitcnt lgkmcnt(0)
	s_barrier
	buffer_gl0_inv
	s_cbranch_scc0 .LBB33_1
.LBB33_4:                               ;   Parent Loop BB33_2 Depth=1
                                        ; =>  This Loop Header: Depth=2
                                        ;       Child Loop BB33_5 Depth 3
	v_dual_mov_b32 v11, v10 :: v_dual_mov_b32 v12, v1
	s_mov_b32 s14, 0
.LBB33_5:                               ;   Parent Loop BB33_2 Depth=1
                                        ;     Parent Loop BB33_4 Depth=2
                                        ; =>    This Inner Loop Header: Depth=3
	s_delay_alu instid0(VALU_DEP_1) | instskip(SKIP_3) | instid1(VALU_DEP_1)
	v_add_nc_u32_e32 v11, 0x200, v11
	ds_store_b32 v12, v2
	v_add_nc_u32_e32 v12, 0x800, v12
	v_cmp_lt_u32_e64 s8, 0xdff, v11
	s_or_b32 s14, s8, s14
	s_delay_alu instid0(SALU_CYCLE_1)
	s_and_not1_b32 exec_lo, exec_lo, s14
	s_cbranch_execnz .LBB33_5
; %bb.6:                                ;   in Loop: Header=BB33_4 Depth=2
	s_or_b32 exec_lo, exec_lo, s14
	s_sub_i32 s8, 28, s9
	s_delay_alu instid0(SALU_CYCLE_1) | instskip(SKIP_1) | instid1(VALU_DEP_2)
	v_lshlrev_b32_e32 v11, s8, v6
	v_lshlrev_b32_e32 v13, s8, v7
	v_lshrrev_b32_e32 v12, 19, v11
	s_delay_alu instid0(VALU_DEP_2) | instskip(NEXT) | instid1(VALU_DEP_2)
	v_lshrrev_b32_e32 v14, 19, v13
	v_and_or_b32 v12, 0xe00, v12, v0
	s_delay_alu instid0(VALU_DEP_2) | instskip(NEXT) | instid1(VALU_DEP_2)
	v_and_or_b32 v14, 0xe00, v14, v0
	v_alignbit_b32 v11, v12, v11, 31
	s_delay_alu instid0(VALU_DEP_2) | instskip(NEXT) | instid1(VALU_DEP_2)
	v_alignbit_b32 v13, v14, v13, 31
	v_lshlrev_b32_e32 v12, 1, v11
	s_delay_alu instid0(VALU_DEP_2)
	v_lshlrev_b32_e32 v14, 1, v13
	ds_load_u16 v11, v12
	s_waitcnt lgkmcnt(0)
	v_add_nc_u16 v15, v11, 1
	ds_store_b16 v12, v15
	ds_load_u16 v13, v14
	v_lshlrev_b32_e32 v15, s8, v8
	s_delay_alu instid0(VALU_DEP_1) | instskip(NEXT) | instid1(VALU_DEP_1)
	v_lshrrev_b32_e32 v16, 19, v15
	v_and_or_b32 v16, 0xe00, v16, v0
	s_delay_alu instid0(VALU_DEP_1) | instskip(SKIP_2) | instid1(VALU_DEP_2)
	v_alignbit_b32 v15, v16, v15, 31
	s_waitcnt lgkmcnt(0)
	v_add_nc_u16 v17, v13, 1
	v_lshlrev_b32_e32 v16, 1, v15
	ds_store_b16 v14, v17
	ds_load_u16 v15, v16
	v_lshlrev_b32_e32 v17, s8, v9
	s_delay_alu instid0(VALU_DEP_1) | instskip(NEXT) | instid1(VALU_DEP_1)
	v_lshrrev_b32_e32 v18, 19, v17
	v_and_or_b32 v18, 0xe00, v18, v0
	s_delay_alu instid0(VALU_DEP_1) | instskip(SKIP_2) | instid1(VALU_DEP_2)
	v_alignbit_b32 v17, v18, v17, 31
	s_waitcnt lgkmcnt(0)
	v_add_nc_u16 v19, v15, 1
	v_lshlrev_b32_e32 v18, 1, v17
	ds_store_b16 v16, v19
	ds_load_u16 v17, v18
	s_waitcnt lgkmcnt(0)
	v_add_nc_u16 v19, v17, 1
	ds_store_b16 v18, v19
	s_waitcnt lgkmcnt(0)
	s_barrier
	buffer_gl0_inv
	ds_load_2addr_b32 v[19:20], v3 offset1:1
	ds_load_2addr_b32 v[21:22], v3 offset0:2 offset1:3
	ds_load_2addr_b32 v[23:24], v3 offset0:4 offset1:5
	ds_load_2addr_b32 v[25:26], v3 offset0:6 offset1:7
	s_waitcnt lgkmcnt(3)
	v_add_nc_u32_e32 v19, v20, v19
	s_waitcnt lgkmcnt(2)
	s_delay_alu instid0(VALU_DEP_1) | instskip(SKIP_1) | instid1(VALU_DEP_1)
	v_add3_u32 v19, v19, v21, v22
	s_waitcnt lgkmcnt(1)
	v_add3_u32 v19, v19, v23, v24
	s_waitcnt lgkmcnt(0)
	s_delay_alu instid0(VALU_DEP_1) | instskip(NEXT) | instid1(VALU_DEP_1)
	v_add3_u32 v19, v19, v25, v26
	v_mov_b32_dpp v20, v19 row_shr:1 row_mask:0xf bank_mask:0xf
	s_delay_alu instid0(VALU_DEP_1) | instskip(NEXT) | instid1(VALU_DEP_1)
	v_cndmask_b32_e64 v20, v20, 0, s2
	v_add_nc_u32_e32 v19, v20, v19
	s_delay_alu instid0(VALU_DEP_1) | instskip(NEXT) | instid1(VALU_DEP_1)
	v_mov_b32_dpp v20, v19 row_shr:2 row_mask:0xf bank_mask:0xf
	v_cndmask_b32_e64 v20, 0, v20, s3
	s_delay_alu instid0(VALU_DEP_1) | instskip(NEXT) | instid1(VALU_DEP_1)
	v_add_nc_u32_e32 v19, v19, v20
	v_mov_b32_dpp v20, v19 row_shr:4 row_mask:0xf bank_mask:0xf
	s_delay_alu instid0(VALU_DEP_1) | instskip(NEXT) | instid1(VALU_DEP_1)
	v_cndmask_b32_e64 v20, 0, v20, s4
	v_add_nc_u32_e32 v19, v19, v20
	s_delay_alu instid0(VALU_DEP_1) | instskip(NEXT) | instid1(VALU_DEP_1)
	v_mov_b32_dpp v20, v19 row_shr:8 row_mask:0xf bank_mask:0xf
	v_cndmask_b32_e64 v20, 0, v20, s5
	s_delay_alu instid0(VALU_DEP_1) | instskip(SKIP_3) | instid1(VALU_DEP_1)
	v_add_nc_u32_e32 v19, v19, v20
	ds_swizzle_b32 v20, v19 offset:swizzle(BROADCAST,32,15)
	s_waitcnt lgkmcnt(0)
	v_cndmask_b32_e64 v20, v20, 0, s6
	v_add_nc_u32_e32 v19, v19, v20
	s_and_saveexec_b32 s8, s7
	s_cbranch_execz .LBB33_8
; %bb.7:                                ;   in Loop: Header=BB33_4 Depth=2
	ds_store_b32 v4, v19 offset:16384
.LBB33_8:                               ;   in Loop: Header=BB33_4 Depth=2
	s_or_b32 exec_lo, exec_lo, s8
	s_waitcnt lgkmcnt(0)
	s_barrier
	buffer_gl0_inv
	s_and_saveexec_b32 s8, vcc_lo
	s_cbranch_execz .LBB33_10
; %bb.9:                                ;   in Loop: Header=BB33_4 Depth=2
	ds_load_b32 v20, v1 offset:16384
	s_waitcnt lgkmcnt(0)
	v_mov_b32_dpp v21, v20 row_shr:1 row_mask:0xf bank_mask:0xf
	s_delay_alu instid0(VALU_DEP_1) | instskip(NEXT) | instid1(VALU_DEP_1)
	v_cndmask_b32_e64 v21, v21, 0, s2
	v_add_nc_u32_e32 v20, v21, v20
	s_delay_alu instid0(VALU_DEP_1) | instskip(NEXT) | instid1(VALU_DEP_1)
	v_mov_b32_dpp v21, v20 row_shr:2 row_mask:0xf bank_mask:0xf
	v_cndmask_b32_e64 v21, 0, v21, s3
	s_delay_alu instid0(VALU_DEP_1) | instskip(NEXT) | instid1(VALU_DEP_1)
	v_add_nc_u32_e32 v20, v20, v21
	v_mov_b32_dpp v21, v20 row_shr:4 row_mask:0xf bank_mask:0xf
	s_delay_alu instid0(VALU_DEP_1) | instskip(NEXT) | instid1(VALU_DEP_1)
	v_cndmask_b32_e64 v21, 0, v21, s4
	v_add_nc_u32_e32 v20, v20, v21
	s_delay_alu instid0(VALU_DEP_1) | instskip(NEXT) | instid1(VALU_DEP_1)
	v_mov_b32_dpp v21, v20 row_shr:8 row_mask:0xf bank_mask:0xf
	v_cndmask_b32_e64 v21, 0, v21, s5
	s_delay_alu instid0(VALU_DEP_1)
	v_add_nc_u32_e32 v20, v20, v21
	ds_store_b32 v1, v20 offset:16384
.LBB33_10:                              ;   in Loop: Header=BB33_4 Depth=2
	s_or_b32 exec_lo, exec_lo, s8
	v_mov_b32_e32 v20, 0
	s_waitcnt lgkmcnt(0)
	s_barrier
	buffer_gl0_inv
	s_and_saveexec_b32 s8, s0
	s_cbranch_execz .LBB33_3
; %bb.11:                               ;   in Loop: Header=BB33_4 Depth=2
	ds_load_b32 v20, v4 offset:16380
	s_branch .LBB33_3
.LBB33_12:
	ds_load_u16 v0, v12
	ds_load_u16 v3, v14
	;; [unrolled: 1-line block ×4, first 2 shown]
	v_and_b32_e32 v2, 0xffff, v11
	v_and_b32_e32 v6, 0xffff, v13
	;; [unrolled: 1-line block ×4, first 2 shown]
	s_add_u32 s0, s10, s12
	s_addc_u32 s1, s11, s13
	s_waitcnt lgkmcnt(3)
	v_add_nc_u32_e32 v2, v0, v2
	s_waitcnt lgkmcnt(2)
	v_add_nc_u32_e32 v3, v3, v6
	;; [unrolled: 2-line block ×4, first 2 shown]
	v_lshlrev_b32_e32 v0, 2, v1
	global_store_b128 v0, v[2:5], s[0:1]
	s_nop 0
	s_sendmsg sendmsg(MSG_DEALLOC_VGPRS)
	s_endpgm
	.section	.rodata,"a",@progbits
	.p2align	6, 0x0
	.amdhsa_kernel _Z11rank_kernelIiLj4ELb0EL18RadixRankAlgorithm0ELj512ELj4ELj10EEvPKT_Pi
		.amdhsa_group_segment_fixed_size 16448
		.amdhsa_private_segment_fixed_size 0
		.amdhsa_kernarg_size 16
		.amdhsa_user_sgpr_count 15
		.amdhsa_user_sgpr_dispatch_ptr 0
		.amdhsa_user_sgpr_queue_ptr 0
		.amdhsa_user_sgpr_kernarg_segment_ptr 1
		.amdhsa_user_sgpr_dispatch_id 0
		.amdhsa_user_sgpr_private_segment_size 0
		.amdhsa_wavefront_size32 1
		.amdhsa_uses_dynamic_stack 0
		.amdhsa_enable_private_segment 0
		.amdhsa_system_sgpr_workgroup_id_x 1
		.amdhsa_system_sgpr_workgroup_id_y 0
		.amdhsa_system_sgpr_workgroup_id_z 0
		.amdhsa_system_sgpr_workgroup_info 0
		.amdhsa_system_vgpr_workitem_id 0
		.amdhsa_next_free_vgpr 27
		.amdhsa_next_free_sgpr 18
		.amdhsa_reserve_vcc 1
		.amdhsa_float_round_mode_32 0
		.amdhsa_float_round_mode_16_64 0
		.amdhsa_float_denorm_mode_32 3
		.amdhsa_float_denorm_mode_16_64 3
		.amdhsa_dx10_clamp 1
		.amdhsa_ieee_mode 1
		.amdhsa_fp16_overflow 0
		.amdhsa_workgroup_processor_mode 1
		.amdhsa_memory_ordered 1
		.amdhsa_forward_progress 0
		.amdhsa_shared_vgpr_count 0
		.amdhsa_exception_fp_ieee_invalid_op 0
		.amdhsa_exception_fp_denorm_src 0
		.amdhsa_exception_fp_ieee_div_zero 0
		.amdhsa_exception_fp_ieee_overflow 0
		.amdhsa_exception_fp_ieee_underflow 0
		.amdhsa_exception_fp_ieee_inexact 0
		.amdhsa_exception_int_div_zero 0
	.end_amdhsa_kernel
	.section	.text._Z11rank_kernelIiLj4ELb0EL18RadixRankAlgorithm0ELj512ELj4ELj10EEvPKT_Pi,"axG",@progbits,_Z11rank_kernelIiLj4ELb0EL18RadixRankAlgorithm0ELj512ELj4ELj10EEvPKT_Pi,comdat
.Lfunc_end33:
	.size	_Z11rank_kernelIiLj4ELb0EL18RadixRankAlgorithm0ELj512ELj4ELj10EEvPKT_Pi, .Lfunc_end33-_Z11rank_kernelIiLj4ELb0EL18RadixRankAlgorithm0ELj512ELj4ELj10EEvPKT_Pi
                                        ; -- End function
	.section	.AMDGPU.csdata,"",@progbits
; Kernel info:
; codeLenInByte = 1368
; NumSgprs: 20
; NumVgprs: 27
; ScratchSize: 0
; MemoryBound: 0
; FloatMode: 240
; IeeeMode: 1
; LDSByteSize: 16448 bytes/workgroup (compile time only)
; SGPRBlocks: 2
; VGPRBlocks: 3
; NumSGPRsForWavesPerEU: 20
; NumVGPRsForWavesPerEU: 27
; Occupancy: 16
; WaveLimiterHint : 0
; COMPUTE_PGM_RSRC2:SCRATCH_EN: 0
; COMPUTE_PGM_RSRC2:USER_SGPR: 15
; COMPUTE_PGM_RSRC2:TRAP_HANDLER: 0
; COMPUTE_PGM_RSRC2:TGID_X_EN: 1
; COMPUTE_PGM_RSRC2:TGID_Y_EN: 0
; COMPUTE_PGM_RSRC2:TGID_Z_EN: 0
; COMPUTE_PGM_RSRC2:TIDIG_COMP_CNT: 0
	.section	.text._Z11rank_kernelIiLj4ELb0EL18RadixRankAlgorithm1ELj512ELj4ELj10EEvPKT_Pi,"axG",@progbits,_Z11rank_kernelIiLj4ELb0EL18RadixRankAlgorithm1ELj512ELj4ELj10EEvPKT_Pi,comdat
	.protected	_Z11rank_kernelIiLj4ELb0EL18RadixRankAlgorithm1ELj512ELj4ELj10EEvPKT_Pi ; -- Begin function _Z11rank_kernelIiLj4ELb0EL18RadixRankAlgorithm1ELj512ELj4ELj10EEvPKT_Pi
	.globl	_Z11rank_kernelIiLj4ELb0EL18RadixRankAlgorithm1ELj512ELj4ELj10EEvPKT_Pi
	.p2align	8
	.type	_Z11rank_kernelIiLj4ELb0EL18RadixRankAlgorithm1ELj512ELj4ELj10EEvPKT_Pi,@function
_Z11rank_kernelIiLj4ELb0EL18RadixRankAlgorithm1ELj512ELj4ELj10EEvPKT_Pi: ; @_Z11rank_kernelIiLj4ELb0EL18RadixRankAlgorithm1ELj512ELj4ELj10EEvPKT_Pi
; %bb.0:
	s_load_b128 s[8:11], s[0:1], 0x0
	s_mov_b32 s17, 0
	s_lshl_b32 s16, s15, 11
	v_dual_mov_b32 v10, 0 :: v_dual_lshlrev_b32 v1, 4, v0
	s_lshl_b64 s[12:13], s[16:17], 2
	v_mbcnt_lo_u32_b32 v5, -1, 0
	v_or_b32_e32 v8, 31, v0
	v_lshrrev_b32_e32 v13, 3, v0
	v_lshlrev_b32_e32 v9, 2, v0
	v_lshlrev_b32_e32 v11, 5, v0
	v_add_nc_u32_e32 v12, -1, v5
	v_and_b32_e32 v6, 15, v5
	v_and_b32_e32 v7, 16, v5
	v_cmp_gt_u32_e32 vcc_lo, 16, v0
	v_cmp_eq_u32_e64 s7, v8, v0
	v_cmp_gt_i32_e64 s5, 0, v12
	v_cmp_eq_u32_e64 s2, 0, v6
	v_cmp_lt_u32_e64 s3, 1, v6
	v_cmp_lt_u32_e64 s4, 3, v6
	s_waitcnt lgkmcnt(0)
	s_add_u32 s0, s8, s12
	s_addc_u32 s1, s9, s13
	v_cmp_eq_u32_e64 s6, 0, v7
	global_load_b128 v[1:4], v1, s[0:1]
	v_cmp_eq_u32_e64 s1, 0, v5
	v_cndmask_b32_e64 v5, v12, v5, s5
	v_cmp_lt_u32_e64 s0, 31, v0
	v_cmp_lt_u32_e64 s5, 7, v6
	v_and_b32_e32 v12, 60, v13
	v_or_b32_e32 v18, 0xfffffe00, v0
	v_lshlrev_b32_e32 v13, 2, v5
	s_waitcnt vmcnt(0)
	v_xor_b32_e32 v14, 0x80000000, v1
	v_xor_b32_e32 v15, 0x80000000, v2
	;; [unrolled: 1-line block ×4, first 2 shown]
	s_branch .LBB34_2
.LBB34_1:                               ;   in Loop: Header=BB34_2 Depth=1
	s_add_i32 s17, s17, 1
	s_delay_alu instid0(SALU_CYCLE_1)
	s_cmp_eq_u32 s17, 10
	s_cbranch_scc1 .LBB34_12
.LBB34_2:                               ; =>This Loop Header: Depth=1
                                        ;     Child Loop BB34_4 Depth 2
                                        ;       Child Loop BB34_5 Depth 3
	s_mov_b32 s9, 0
	s_branch .LBB34_4
.LBB34_3:                               ;   in Loop: Header=BB34_4 Depth=2
	s_or_b32 exec_lo, exec_lo, s8
	s_waitcnt lgkmcnt(0)
	v_add_nc_u32_e32 v2, v27, v2
	ds_load_b32 v28, v10 offset:16444
	s_add_i32 s8, s9, 4
	s_cmp_lt_u32 s9, 28
	s_mov_b32 s9, s8
	ds_bpermute_b32 v2, v13, v2
	s_waitcnt lgkmcnt(0)
	v_cndmask_b32_e64 v2, v2, v27, s1
	s_delay_alu instid0(VALU_DEP_1) | instskip(NEXT) | instid1(VALU_DEP_1)
	v_lshl_add_u32 v2, v28, 16, v2
	v_add_nc_u32_e32 v7, v2, v7
	s_delay_alu instid0(VALU_DEP_1) | instskip(NEXT) | instid1(VALU_DEP_1)
	v_add_nc_u32_e32 v8, v7, v8
	v_add_nc_u32_e32 v5, v8, v5
	s_delay_alu instid0(VALU_DEP_1) | instskip(NEXT) | instid1(VALU_DEP_1)
	v_add_nc_u32_e32 v6, v5, v6
	;; [unrolled: 3-line block ×3, first 2 shown]
	v_add_nc_u32_e32 v1, v4, v1
	ds_store_2addr_b32 v11, v2, v7 offset1:1
	ds_store_2addr_b32 v11, v8, v5 offset0:2 offset1:3
	ds_store_2addr_b32 v11, v6, v3 offset0:4 offset1:5
	;; [unrolled: 1-line block ×3, first 2 shown]
	s_waitcnt lgkmcnt(0)
	s_barrier
	buffer_gl0_inv
	s_cbranch_scc0 .LBB34_1
.LBB34_4:                               ;   Parent Loop BB34_2 Depth=1
                                        ; =>  This Loop Header: Depth=2
                                        ;       Child Loop BB34_5 Depth 3
	v_dual_mov_b32 v1, v18 :: v_dual_mov_b32 v2, v9
	s_mov_b32 s14, 0
.LBB34_5:                               ;   Parent Loop BB34_2 Depth=1
                                        ;     Parent Loop BB34_4 Depth=2
                                        ; =>    This Inner Loop Header: Depth=3
	s_delay_alu instid0(VALU_DEP_1) | instskip(SKIP_3) | instid1(VALU_DEP_1)
	v_add_nc_u32_e32 v1, 0x200, v1
	ds_store_b32 v2, v10
	v_add_nc_u32_e32 v2, 0x800, v2
	v_cmp_lt_u32_e64 s8, 0xdff, v1
	s_or_b32 s14, s8, s14
	s_delay_alu instid0(SALU_CYCLE_1)
	s_and_not1_b32 exec_lo, exec_lo, s14
	s_cbranch_execnz .LBB34_5
; %bb.6:                                ;   in Loop: Header=BB34_4 Depth=2
	s_or_b32 exec_lo, exec_lo, s14
	s_sub_i32 s8, 28, s9
	s_delay_alu instid0(SALU_CYCLE_1) | instskip(NEXT) | instid1(VALU_DEP_1)
	v_lshlrev_b32_e32 v1, s8, v14
	v_lshrrev_b32_e32 v2, 19, v1
	s_delay_alu instid0(VALU_DEP_1) | instskip(NEXT) | instid1(VALU_DEP_1)
	v_and_or_b32 v2, 0xe00, v2, v0
	v_alignbit_b32 v1, v2, v1, 31
	s_delay_alu instid0(VALU_DEP_1) | instskip(SKIP_3) | instid1(VALU_DEP_1)
	v_lshlrev_b32_e32 v20, 1, v1
	v_lshlrev_b32_e32 v1, s8, v15
	ds_load_u16 v19, v20
	v_lshrrev_b32_e32 v2, 19, v1
	v_and_or_b32 v2, 0xe00, v2, v0
	s_delay_alu instid0(VALU_DEP_1) | instskip(NEXT) | instid1(VALU_DEP_1)
	v_alignbit_b32 v1, v2, v1, 31
	v_lshlrev_b32_e32 v22, 1, v1
	v_lshlrev_b32_e32 v1, s8, v16
	s_waitcnt lgkmcnt(0)
	v_add_nc_u16 v2, v19, 1
	ds_store_b16 v20, v2
	ds_load_u16 v21, v22
	v_lshrrev_b32_e32 v2, 19, v1
	s_delay_alu instid0(VALU_DEP_1) | instskip(NEXT) | instid1(VALU_DEP_1)
	v_and_or_b32 v2, 0xe00, v2, v0
	v_alignbit_b32 v1, v2, v1, 31
	s_delay_alu instid0(VALU_DEP_1)
	v_lshlrev_b32_e32 v24, 1, v1
	v_lshlrev_b32_e32 v1, s8, v17
	s_waitcnt lgkmcnt(0)
	v_add_nc_u16 v2, v21, 1
	ds_store_b16 v22, v2
	ds_load_u16 v23, v24
	v_lshrrev_b32_e32 v2, 19, v1
	s_delay_alu instid0(VALU_DEP_1) | instskip(NEXT) | instid1(VALU_DEP_1)
	v_and_or_b32 v2, 0xe00, v2, v0
	v_alignbit_b32 v1, v2, v1, 31
	s_delay_alu instid0(VALU_DEP_1)
	v_lshlrev_b32_e32 v26, 1, v1
	s_waitcnt lgkmcnt(0)
	v_add_nc_u16 v2, v23, 1
	ds_store_b16 v24, v2
	ds_load_u16 v25, v26
	s_waitcnt lgkmcnt(0)
	v_add_nc_u16 v1, v25, 1
	ds_store_b16 v26, v1
	s_waitcnt lgkmcnt(0)
	s_barrier
	buffer_gl0_inv
	ds_load_2addr_b32 v[7:8], v11 offset1:1
	ds_load_2addr_b32 v[5:6], v11 offset0:2 offset1:3
	ds_load_2addr_b32 v[3:4], v11 offset0:4 offset1:5
	;; [unrolled: 1-line block ×3, first 2 shown]
	s_waitcnt lgkmcnt(3)
	v_add_nc_u32_e32 v27, v8, v7
	s_waitcnt lgkmcnt(2)
	s_delay_alu instid0(VALU_DEP_1) | instskip(SKIP_1) | instid1(VALU_DEP_1)
	v_add3_u32 v27, v27, v5, v6
	s_waitcnt lgkmcnt(1)
	v_add3_u32 v27, v27, v3, v4
	s_waitcnt lgkmcnt(0)
	s_delay_alu instid0(VALU_DEP_1) | instskip(NEXT) | instid1(VALU_DEP_1)
	v_add3_u32 v2, v27, v1, v2
	v_mov_b32_dpp v27, v2 row_shr:1 row_mask:0xf bank_mask:0xf
	s_delay_alu instid0(VALU_DEP_1) | instskip(NEXT) | instid1(VALU_DEP_1)
	v_cndmask_b32_e64 v27, v27, 0, s2
	v_add_nc_u32_e32 v2, v27, v2
	s_delay_alu instid0(VALU_DEP_1) | instskip(NEXT) | instid1(VALU_DEP_1)
	v_mov_b32_dpp v27, v2 row_shr:2 row_mask:0xf bank_mask:0xf
	v_cndmask_b32_e64 v27, 0, v27, s3
	s_delay_alu instid0(VALU_DEP_1) | instskip(NEXT) | instid1(VALU_DEP_1)
	v_add_nc_u32_e32 v2, v2, v27
	v_mov_b32_dpp v27, v2 row_shr:4 row_mask:0xf bank_mask:0xf
	s_delay_alu instid0(VALU_DEP_1) | instskip(NEXT) | instid1(VALU_DEP_1)
	v_cndmask_b32_e64 v27, 0, v27, s4
	v_add_nc_u32_e32 v2, v2, v27
	s_delay_alu instid0(VALU_DEP_1) | instskip(NEXT) | instid1(VALU_DEP_1)
	v_mov_b32_dpp v27, v2 row_shr:8 row_mask:0xf bank_mask:0xf
	v_cndmask_b32_e64 v27, 0, v27, s5
	s_delay_alu instid0(VALU_DEP_1) | instskip(SKIP_3) | instid1(VALU_DEP_1)
	v_add_nc_u32_e32 v2, v2, v27
	ds_swizzle_b32 v27, v2 offset:swizzle(BROADCAST,32,15)
	s_waitcnt lgkmcnt(0)
	v_cndmask_b32_e64 v27, v27, 0, s6
	v_add_nc_u32_e32 v2, v2, v27
	s_and_saveexec_b32 s8, s7
	s_cbranch_execz .LBB34_8
; %bb.7:                                ;   in Loop: Header=BB34_4 Depth=2
	ds_store_b32 v12, v2 offset:16384
.LBB34_8:                               ;   in Loop: Header=BB34_4 Depth=2
	s_or_b32 exec_lo, exec_lo, s8
	s_waitcnt lgkmcnt(0)
	s_barrier
	buffer_gl0_inv
	s_and_saveexec_b32 s8, vcc_lo
	s_cbranch_execz .LBB34_10
; %bb.9:                                ;   in Loop: Header=BB34_4 Depth=2
	ds_load_b32 v27, v9 offset:16384
	s_waitcnt lgkmcnt(0)
	v_mov_b32_dpp v28, v27 row_shr:1 row_mask:0xf bank_mask:0xf
	s_delay_alu instid0(VALU_DEP_1) | instskip(NEXT) | instid1(VALU_DEP_1)
	v_cndmask_b32_e64 v28, v28, 0, s2
	v_add_nc_u32_e32 v27, v28, v27
	s_delay_alu instid0(VALU_DEP_1) | instskip(NEXT) | instid1(VALU_DEP_1)
	v_mov_b32_dpp v28, v27 row_shr:2 row_mask:0xf bank_mask:0xf
	v_cndmask_b32_e64 v28, 0, v28, s3
	s_delay_alu instid0(VALU_DEP_1) | instskip(NEXT) | instid1(VALU_DEP_1)
	v_add_nc_u32_e32 v27, v27, v28
	v_mov_b32_dpp v28, v27 row_shr:4 row_mask:0xf bank_mask:0xf
	s_delay_alu instid0(VALU_DEP_1) | instskip(NEXT) | instid1(VALU_DEP_1)
	v_cndmask_b32_e64 v28, 0, v28, s4
	v_add_nc_u32_e32 v27, v27, v28
	s_delay_alu instid0(VALU_DEP_1) | instskip(NEXT) | instid1(VALU_DEP_1)
	v_mov_b32_dpp v28, v27 row_shr:8 row_mask:0xf bank_mask:0xf
	v_cndmask_b32_e64 v28, 0, v28, s5
	s_delay_alu instid0(VALU_DEP_1)
	v_add_nc_u32_e32 v27, v27, v28
	ds_store_b32 v9, v27 offset:16384
.LBB34_10:                              ;   in Loop: Header=BB34_4 Depth=2
	s_or_b32 exec_lo, exec_lo, s8
	v_mov_b32_e32 v27, 0
	s_waitcnt lgkmcnt(0)
	s_barrier
	buffer_gl0_inv
	s_and_saveexec_b32 s8, s0
	s_cbranch_execz .LBB34_3
; %bb.11:                               ;   in Loop: Header=BB34_4 Depth=2
	ds_load_b32 v27, v12 offset:16380
	s_branch .LBB34_3
.LBB34_12:
	ds_load_u16 v0, v20
	ds_load_u16 v1, v22
	;; [unrolled: 1-line block ×4, first 2 shown]
	v_and_b32_e32 v4, 0xffff, v19
	v_and_b32_e32 v5, 0xffff, v21
	;; [unrolled: 1-line block ×4, first 2 shown]
	s_add_u32 s0, s10, s12
	s_addc_u32 s1, s11, s13
	s_waitcnt lgkmcnt(3)
	v_add_nc_u32_e32 v0, v0, v4
	s_waitcnt lgkmcnt(2)
	v_add_nc_u32_e32 v1, v1, v5
	;; [unrolled: 2-line block ×4, first 2 shown]
	v_lshlrev_b32_e32 v4, 2, v9
	global_store_b128 v4, v[0:3], s[0:1]
	s_nop 0
	s_sendmsg sendmsg(MSG_DEALLOC_VGPRS)
	s_endpgm
	.section	.rodata,"a",@progbits
	.p2align	6, 0x0
	.amdhsa_kernel _Z11rank_kernelIiLj4ELb0EL18RadixRankAlgorithm1ELj512ELj4ELj10EEvPKT_Pi
		.amdhsa_group_segment_fixed_size 16448
		.amdhsa_private_segment_fixed_size 0
		.amdhsa_kernarg_size 16
		.amdhsa_user_sgpr_count 15
		.amdhsa_user_sgpr_dispatch_ptr 0
		.amdhsa_user_sgpr_queue_ptr 0
		.amdhsa_user_sgpr_kernarg_segment_ptr 1
		.amdhsa_user_sgpr_dispatch_id 0
		.amdhsa_user_sgpr_private_segment_size 0
		.amdhsa_wavefront_size32 1
		.amdhsa_uses_dynamic_stack 0
		.amdhsa_enable_private_segment 0
		.amdhsa_system_sgpr_workgroup_id_x 1
		.amdhsa_system_sgpr_workgroup_id_y 0
		.amdhsa_system_sgpr_workgroup_id_z 0
		.amdhsa_system_sgpr_workgroup_info 0
		.amdhsa_system_vgpr_workitem_id 0
		.amdhsa_next_free_vgpr 29
		.amdhsa_next_free_sgpr 18
		.amdhsa_reserve_vcc 1
		.amdhsa_float_round_mode_32 0
		.amdhsa_float_round_mode_16_64 0
		.amdhsa_float_denorm_mode_32 3
		.amdhsa_float_denorm_mode_16_64 3
		.amdhsa_dx10_clamp 1
		.amdhsa_ieee_mode 1
		.amdhsa_fp16_overflow 0
		.amdhsa_workgroup_processor_mode 1
		.amdhsa_memory_ordered 1
		.amdhsa_forward_progress 0
		.amdhsa_shared_vgpr_count 0
		.amdhsa_exception_fp_ieee_invalid_op 0
		.amdhsa_exception_fp_denorm_src 0
		.amdhsa_exception_fp_ieee_div_zero 0
		.amdhsa_exception_fp_ieee_overflow 0
		.amdhsa_exception_fp_ieee_underflow 0
		.amdhsa_exception_fp_ieee_inexact 0
		.amdhsa_exception_int_div_zero 0
	.end_amdhsa_kernel
	.section	.text._Z11rank_kernelIiLj4ELb0EL18RadixRankAlgorithm1ELj512ELj4ELj10EEvPKT_Pi,"axG",@progbits,_Z11rank_kernelIiLj4ELb0EL18RadixRankAlgorithm1ELj512ELj4ELj10EEvPKT_Pi,comdat
.Lfunc_end34:
	.size	_Z11rank_kernelIiLj4ELb0EL18RadixRankAlgorithm1ELj512ELj4ELj10EEvPKT_Pi, .Lfunc_end34-_Z11rank_kernelIiLj4ELb0EL18RadixRankAlgorithm1ELj512ELj4ELj10EEvPKT_Pi
                                        ; -- End function
	.section	.AMDGPU.csdata,"",@progbits
; Kernel info:
; codeLenInByte = 1320
; NumSgprs: 20
; NumVgprs: 29
; ScratchSize: 0
; MemoryBound: 0
; FloatMode: 240
; IeeeMode: 1
; LDSByteSize: 16448 bytes/workgroup (compile time only)
; SGPRBlocks: 2
; VGPRBlocks: 3
; NumSGPRsForWavesPerEU: 20
; NumVGPRsForWavesPerEU: 29
; Occupancy: 16
; WaveLimiterHint : 0
; COMPUTE_PGM_RSRC2:SCRATCH_EN: 0
; COMPUTE_PGM_RSRC2:USER_SGPR: 15
; COMPUTE_PGM_RSRC2:TRAP_HANDLER: 0
; COMPUTE_PGM_RSRC2:TGID_X_EN: 1
; COMPUTE_PGM_RSRC2:TGID_Y_EN: 0
; COMPUTE_PGM_RSRC2:TGID_Z_EN: 0
; COMPUTE_PGM_RSRC2:TIDIG_COMP_CNT: 0
	.section	.text._Z11rank_kernelIiLj4ELb0EL18RadixRankAlgorithm2ELj512ELj4ELj10EEvPKT_Pi,"axG",@progbits,_Z11rank_kernelIiLj4ELb0EL18RadixRankAlgorithm2ELj512ELj4ELj10EEvPKT_Pi,comdat
	.protected	_Z11rank_kernelIiLj4ELb0EL18RadixRankAlgorithm2ELj512ELj4ELj10EEvPKT_Pi ; -- Begin function _Z11rank_kernelIiLj4ELb0EL18RadixRankAlgorithm2ELj512ELj4ELj10EEvPKT_Pi
	.globl	_Z11rank_kernelIiLj4ELb0EL18RadixRankAlgorithm2ELj512ELj4ELj10EEvPKT_Pi
	.p2align	8
	.type	_Z11rank_kernelIiLj4ELb0EL18RadixRankAlgorithm2ELj512ELj4ELj10EEvPKT_Pi,@function
_Z11rank_kernelIiLj4ELb0EL18RadixRankAlgorithm2ELj512ELj4ELj10EEvPKT_Pi: ; @_Z11rank_kernelIiLj4ELb0EL18RadixRankAlgorithm2ELj512ELj4ELj10EEvPKT_Pi
; %bb.0:
	s_clause 0x1
	s_load_b128 s[8:11], s[0:1], 0x0
	s_load_b32 s5, s[0:1], 0x1c
	v_and_b32_e32 v2, 0x3ff, v0
	s_mov_b32 s17, 0
	s_lshl_b32 s16, s15, 11
	v_mbcnt_lo_u32_b32 v3, -1, 0
	s_lshl_b64 s[12:13], s[16:17], 2
	v_lshlrev_b32_e32 v1, 4, v2
	v_bfe_u32 v4, v0, 10, 10
	v_bfe_u32 v9, v0, 20, 10
	v_and_b32_e32 v10, 15, v3
	v_add_nc_u32_e32 v12, -1, v3
	v_and_b32_e32 v11, 16, v3
	v_cmp_eq_u32_e32 vcc_lo, 0, v3
	s_delay_alu instid0(VALU_DEP_4)
	v_cmp_lt_u32_e64 s2, 3, v10
	v_cmp_lt_u32_e64 s3, 7, v10
	s_waitcnt lgkmcnt(0)
	s_add_u32 s0, s8, s12
	s_addc_u32 s1, s9, s13
	s_lshr_b32 s4, s5, 16
	global_load_b128 v[5:8], v1, s[0:1]
	v_mov_b32_e32 v1, 0
	v_mad_u32_u24 v4, v9, s4, v4
	s_and_b32 s5, s5, 0xffff
	v_cmp_eq_u32_e64 s0, 0, v10
	v_cmp_lt_u32_e64 s1, 1, v10
	v_cmp_eq_u32_e64 s4, 0, v11
	v_mad_u64_u32 v[9:10], null, v4, s5, v[2:3]
	v_cmp_gt_i32_e64 s5, 0, v12
	v_or_b32_e32 v11, 31, v2
	v_lshrrev_b32_e32 v4, 3, v2
	v_lshlrev_b32_e32 v0, 2, v2
	v_cmp_lt_u32_e64 s6, 31, v2
	v_cndmask_b32_e64 v3, v12, v3, s5
	v_cmp_gt_u32_e64 s5, 16, v2
	v_cmp_eq_u32_e64 s7, v11, v2
	s_delay_alu instid0(VALU_DEP_3) | instskip(SKIP_2) | instid1(VALU_DEP_2)
	v_lshlrev_b32_e32 v2, 2, v3
	v_and_b32_e32 v3, 60, v4
	v_lshrrev_b32_e32 v4, 5, v9
	v_add_nc_u32_e32 v9, -4, v3
	s_waitcnt vmcnt(0)
	v_xor_b32_e32 v5, 0x80000000, v5
	v_xor_b32_e32 v6, 0x80000000, v6
	;; [unrolled: 1-line block ×4, first 2 shown]
	s_branch .LBB35_2
.LBB35_1:                               ;   in Loop: Header=BB35_2 Depth=1
	s_add_i32 s17, s17, 1
	s_delay_alu instid0(SALU_CYCLE_1)
	s_cmp_eq_u32 s17, 10
	s_cbranch_scc1 .LBB35_18
.LBB35_2:                               ; =>This Loop Header: Depth=1
                                        ;     Child Loop BB35_4 Depth 2
	s_mov_b32 s14, -4
	s_mov_b32 s15, 28
	s_branch .LBB35_4
.LBB35_3:                               ;   in Loop: Header=BB35_4 Depth=2
	s_or_b32 exec_lo, exec_lo, s8
	s_waitcnt lgkmcnt(0)
	v_add_nc_u32_e32 v21, v22, v21
	s_add_i32 s14, s14, 4
	s_add_i32 s15, s15, -4
	s_cmp_lt_u32 s14, 28
	ds_bpermute_b32 v21, v2, v21
	s_waitcnt lgkmcnt(0)
	v_cndmask_b32_e32 v21, v21, v22, vcc_lo
	ds_store_b32 v0, v21 offset:64
	s_waitcnt lgkmcnt(0)
	s_barrier
	buffer_gl0_inv
	s_cbranch_scc0 .LBB35_1
.LBB35_4:                               ;   Parent Loop BB35_2 Depth=1
                                        ; =>  This Inner Loop Header: Depth=2
	v_lshlrev_b32_e32 v10, s15, v5
	ds_store_b32 v0, v1 offset:64
	s_waitcnt lgkmcnt(0)
	s_barrier
	buffer_gl0_inv
	v_bfe_u32 v11, v10, 28, 1
	v_lshrrev_b32_e32 v13, 28, v10
	v_not_b32_e32 v16, v10
	; wave barrier
	s_delay_alu instid0(VALU_DEP_3) | instskip(NEXT) | instid1(VALU_DEP_1)
	v_add_co_u32 v11, s8, v11, -1
	v_cndmask_b32_e64 v12, 0, 1, s8
	s_delay_alu instid0(VALU_DEP_4) | instskip(SKIP_1) | instid1(VALU_DEP_3)
	v_lshlrev_b32_e32 v14, 30, v13
	v_lshlrev_b32_e32 v15, 29, v13
	v_cmp_ne_u32_e64 s8, 0, v12
	s_delay_alu instid0(VALU_DEP_3) | instskip(SKIP_1) | instid1(VALU_DEP_4)
	v_not_b32_e32 v12, v14
	v_cmp_gt_i32_e64 s9, 0, v14
	v_not_b32_e32 v14, v15
	s_delay_alu instid0(VALU_DEP_4) | instskip(NEXT) | instid1(VALU_DEP_4)
	v_xor_b32_e32 v11, s8, v11
	v_ashrrev_i32_e32 v12, 31, v12
	v_cmp_gt_i32_e64 s8, 0, v15
	s_delay_alu instid0(VALU_DEP_4) | instskip(NEXT) | instid1(VALU_DEP_4)
	v_ashrrev_i32_e32 v14, 31, v14
	v_and_b32_e32 v11, exec_lo, v11
	s_delay_alu instid0(VALU_DEP_4) | instskip(SKIP_3) | instid1(VALU_DEP_4)
	v_xor_b32_e32 v12, s9, v12
	v_cmp_gt_i32_e64 s9, 0, v10
	v_ashrrev_i32_e32 v10, 31, v16
	v_xor_b32_e32 v14, s8, v14
	v_and_b32_e32 v11, v11, v12
	s_delay_alu instid0(VALU_DEP_3) | instskip(NEXT) | instid1(VALU_DEP_2)
	v_xor_b32_e32 v10, s9, v10
	v_and_b32_e32 v11, v11, v14
	s_delay_alu instid0(VALU_DEP_1) | instskip(SKIP_1) | instid1(VALU_DEP_2)
	v_and_b32_e32 v12, v11, v10
	v_mad_u32_u24 v11, v13, 17, v4
	v_mbcnt_lo_u32_b32 v10, v12, 0
	v_cmp_ne_u32_e64 s9, 0, v12
	s_delay_alu instid0(VALU_DEP_3) | instskip(NEXT) | instid1(VALU_DEP_3)
	v_lshl_add_u32 v11, v11, 2, 64
	v_cmp_eq_u32_e64 s8, 0, v10
	s_delay_alu instid0(VALU_DEP_1) | instskip(NEXT) | instid1(SALU_CYCLE_1)
	s_and_b32 s9, s9, s8
	s_and_saveexec_b32 s8, s9
	s_cbranch_execz .LBB35_6
; %bb.5:                                ;   in Loop: Header=BB35_4 Depth=2
	v_bcnt_u32_b32 v12, v12, 0
	ds_store_b32 v11, v12
.LBB35_6:                               ;   in Loop: Header=BB35_4 Depth=2
	s_or_b32 exec_lo, exec_lo, s8
	v_lshlrev_b32_e32 v12, s15, v6
	; wave barrier
	s_delay_alu instid0(VALU_DEP_1) | instskip(SKIP_2) | instid1(VALU_DEP_3)
	v_bfe_u32 v13, v12, 28, 1
	v_lshrrev_b32_e32 v14, 28, v12
	v_not_b32_e32 v18, v12
	v_add_co_u32 v13, s8, v13, -1
	s_delay_alu instid0(VALU_DEP_1) | instskip(NEXT) | instid1(VALU_DEP_4)
	v_cndmask_b32_e64 v15, 0, 1, s8
	v_lshlrev_b32_e32 v16, 30, v14
	v_lshlrev_b32_e32 v17, 29, v14
	s_delay_alu instid0(VALU_DEP_3) | instskip(NEXT) | instid1(VALU_DEP_3)
	v_cmp_ne_u32_e64 s8, 0, v15
	v_not_b32_e32 v15, v16
	v_cmp_gt_i32_e64 s9, 0, v16
	s_delay_alu instid0(VALU_DEP_4) | instskip(NEXT) | instid1(VALU_DEP_4)
	v_not_b32_e32 v16, v17
	v_xor_b32_e32 v13, s8, v13
	s_delay_alu instid0(VALU_DEP_4) | instskip(SKIP_1) | instid1(VALU_DEP_4)
	v_ashrrev_i32_e32 v15, 31, v15
	v_cmp_gt_i32_e64 s8, 0, v17
	v_ashrrev_i32_e32 v16, 31, v16
	s_delay_alu instid0(VALU_DEP_4) | instskip(NEXT) | instid1(VALU_DEP_4)
	v_and_b32_e32 v13, exec_lo, v13
	v_xor_b32_e32 v15, s9, v15
	v_cmp_gt_i32_e64 s9, 0, v12
	v_mul_u32_u24_e32 v12, 17, v14
	v_ashrrev_i32_e32 v14, 31, v18
	v_xor_b32_e32 v16, s8, v16
	v_and_b32_e32 v13, v13, v15
	s_delay_alu instid0(VALU_DEP_4) | instskip(NEXT) | instid1(VALU_DEP_4)
	v_add_lshl_u32 v17, v4, v12, 2
	v_xor_b32_e32 v14, s9, v14
	s_delay_alu instid0(VALU_DEP_3) | instskip(SKIP_3) | instid1(VALU_DEP_2)
	v_and_b32_e32 v13, v13, v16
	ds_load_b32 v12, v17 offset:64
	; wave barrier
	v_and_b32_e32 v15, v13, v14
	v_add_nc_u32_e32 v14, 64, v17
	v_mbcnt_lo_u32_b32 v13, v15, 0
	v_cmp_ne_u32_e64 s9, 0, v15
	s_delay_alu instid0(VALU_DEP_2) | instskip(NEXT) | instid1(VALU_DEP_1)
	v_cmp_eq_u32_e64 s8, 0, v13
	s_and_b32 s9, s9, s8
	s_delay_alu instid0(SALU_CYCLE_1)
	s_and_saveexec_b32 s8, s9
	s_cbranch_execz .LBB35_8
; %bb.7:                                ;   in Loop: Header=BB35_4 Depth=2
	s_waitcnt lgkmcnt(0)
	v_bcnt_u32_b32 v15, v15, v12
	ds_store_b32 v14, v15
.LBB35_8:                               ;   in Loop: Header=BB35_4 Depth=2
	s_or_b32 exec_lo, exec_lo, s8
	v_lshlrev_b32_e32 v15, s15, v7
	; wave barrier
	s_delay_alu instid0(VALU_DEP_1) | instskip(SKIP_2) | instid1(VALU_DEP_3)
	v_bfe_u32 v16, v15, 28, 1
	v_lshrrev_b32_e32 v17, 28, v15
	v_not_b32_e32 v21, v15
	v_add_co_u32 v16, s8, v16, -1
	s_delay_alu instid0(VALU_DEP_1) | instskip(NEXT) | instid1(VALU_DEP_4)
	v_cndmask_b32_e64 v18, 0, 1, s8
	v_lshlrev_b32_e32 v19, 30, v17
	v_lshlrev_b32_e32 v20, 29, v17
	s_delay_alu instid0(VALU_DEP_3) | instskip(NEXT) | instid1(VALU_DEP_3)
	v_cmp_ne_u32_e64 s8, 0, v18
	v_not_b32_e32 v18, v19
	v_cmp_gt_i32_e64 s9, 0, v19
	s_delay_alu instid0(VALU_DEP_4) | instskip(NEXT) | instid1(VALU_DEP_4)
	v_not_b32_e32 v19, v20
	v_xor_b32_e32 v16, s8, v16
	s_delay_alu instid0(VALU_DEP_4) | instskip(SKIP_1) | instid1(VALU_DEP_4)
	v_ashrrev_i32_e32 v18, 31, v18
	v_cmp_gt_i32_e64 s8, 0, v20
	v_ashrrev_i32_e32 v19, 31, v19
	s_delay_alu instid0(VALU_DEP_4) | instskip(NEXT) | instid1(VALU_DEP_4)
	v_and_b32_e32 v16, exec_lo, v16
	v_xor_b32_e32 v18, s9, v18
	v_cmp_gt_i32_e64 s9, 0, v15
	v_mul_u32_u24_e32 v15, 17, v17
	v_ashrrev_i32_e32 v17, 31, v21
	v_xor_b32_e32 v19, s8, v19
	v_and_b32_e32 v16, v16, v18
	s_delay_alu instid0(VALU_DEP_4) | instskip(NEXT) | instid1(VALU_DEP_4)
	v_add_lshl_u32 v20, v4, v15, 2
	v_xor_b32_e32 v17, s9, v17
	s_delay_alu instid0(VALU_DEP_3) | instskip(SKIP_3) | instid1(VALU_DEP_2)
	v_and_b32_e32 v16, v16, v19
	ds_load_b32 v15, v20 offset:64
	; wave barrier
	v_and_b32_e32 v18, v16, v17
	v_add_nc_u32_e32 v17, 64, v20
	v_mbcnt_lo_u32_b32 v16, v18, 0
	v_cmp_ne_u32_e64 s9, 0, v18
	s_delay_alu instid0(VALU_DEP_2) | instskip(NEXT) | instid1(VALU_DEP_1)
	v_cmp_eq_u32_e64 s8, 0, v16
	s_and_b32 s9, s9, s8
	s_delay_alu instid0(SALU_CYCLE_1)
	s_and_saveexec_b32 s8, s9
	s_cbranch_execz .LBB35_10
; %bb.9:                                ;   in Loop: Header=BB35_4 Depth=2
	s_waitcnt lgkmcnt(0)
	v_bcnt_u32_b32 v18, v18, v15
	ds_store_b32 v17, v18
.LBB35_10:                              ;   in Loop: Header=BB35_4 Depth=2
	s_or_b32 exec_lo, exec_lo, s8
	v_lshlrev_b32_e32 v18, s15, v8
	; wave barrier
	s_delay_alu instid0(VALU_DEP_1) | instskip(SKIP_2) | instid1(VALU_DEP_3)
	v_bfe_u32 v19, v18, 28, 1
	v_lshrrev_b32_e32 v20, 28, v18
	v_not_b32_e32 v24, v18
	v_add_co_u32 v19, s8, v19, -1
	s_delay_alu instid0(VALU_DEP_1) | instskip(NEXT) | instid1(VALU_DEP_4)
	v_cndmask_b32_e64 v21, 0, 1, s8
	v_lshlrev_b32_e32 v22, 30, v20
	v_lshlrev_b32_e32 v23, 29, v20
	s_delay_alu instid0(VALU_DEP_3) | instskip(NEXT) | instid1(VALU_DEP_3)
	v_cmp_ne_u32_e64 s8, 0, v21
	v_not_b32_e32 v21, v22
	v_cmp_gt_i32_e64 s9, 0, v22
	s_delay_alu instid0(VALU_DEP_4) | instskip(NEXT) | instid1(VALU_DEP_4)
	v_not_b32_e32 v22, v23
	v_xor_b32_e32 v19, s8, v19
	s_delay_alu instid0(VALU_DEP_4) | instskip(SKIP_1) | instid1(VALU_DEP_4)
	v_ashrrev_i32_e32 v21, 31, v21
	v_cmp_gt_i32_e64 s8, 0, v23
	v_ashrrev_i32_e32 v22, 31, v22
	s_delay_alu instid0(VALU_DEP_4) | instskip(NEXT) | instid1(VALU_DEP_4)
	v_and_b32_e32 v19, exec_lo, v19
	v_xor_b32_e32 v21, s9, v21
	v_cmp_gt_i32_e64 s9, 0, v18
	v_mul_u32_u24_e32 v18, 17, v20
	v_ashrrev_i32_e32 v20, 31, v24
	v_xor_b32_e32 v22, s8, v22
	v_and_b32_e32 v19, v19, v21
	s_delay_alu instid0(VALU_DEP_4) | instskip(NEXT) | instid1(VALU_DEP_4)
	v_add_lshl_u32 v23, v4, v18, 2
	v_xor_b32_e32 v20, s9, v20
	s_delay_alu instid0(VALU_DEP_3) | instskip(SKIP_3) | instid1(VALU_DEP_2)
	v_and_b32_e32 v19, v19, v22
	ds_load_b32 v18, v23 offset:64
	; wave barrier
	v_and_b32_e32 v21, v19, v20
	v_add_nc_u32_e32 v20, 64, v23
	v_mbcnt_lo_u32_b32 v19, v21, 0
	v_cmp_ne_u32_e64 s9, 0, v21
	s_delay_alu instid0(VALU_DEP_2) | instskip(NEXT) | instid1(VALU_DEP_1)
	v_cmp_eq_u32_e64 s8, 0, v19
	s_and_b32 s9, s9, s8
	s_delay_alu instid0(SALU_CYCLE_1)
	s_and_saveexec_b32 s8, s9
	s_cbranch_execz .LBB35_12
; %bb.11:                               ;   in Loop: Header=BB35_4 Depth=2
	s_waitcnt lgkmcnt(0)
	v_bcnt_u32_b32 v21, v21, v18
	ds_store_b32 v20, v21
.LBB35_12:                              ;   in Loop: Header=BB35_4 Depth=2
	s_or_b32 exec_lo, exec_lo, s8
	; wave barrier
	s_waitcnt lgkmcnt(0)
	s_barrier
	buffer_gl0_inv
	ds_load_b32 v21, v0 offset:64
	s_waitcnt lgkmcnt(0)
	v_mov_b32_dpp v22, v21 row_shr:1 row_mask:0xf bank_mask:0xf
	s_delay_alu instid0(VALU_DEP_1) | instskip(NEXT) | instid1(VALU_DEP_1)
	v_cndmask_b32_e64 v22, v22, 0, s0
	v_add_nc_u32_e32 v21, v22, v21
	s_delay_alu instid0(VALU_DEP_1) | instskip(NEXT) | instid1(VALU_DEP_1)
	v_mov_b32_dpp v22, v21 row_shr:2 row_mask:0xf bank_mask:0xf
	v_cndmask_b32_e64 v22, 0, v22, s1
	s_delay_alu instid0(VALU_DEP_1) | instskip(NEXT) | instid1(VALU_DEP_1)
	v_add_nc_u32_e32 v21, v21, v22
	v_mov_b32_dpp v22, v21 row_shr:4 row_mask:0xf bank_mask:0xf
	s_delay_alu instid0(VALU_DEP_1) | instskip(NEXT) | instid1(VALU_DEP_1)
	v_cndmask_b32_e64 v22, 0, v22, s2
	v_add_nc_u32_e32 v21, v21, v22
	s_delay_alu instid0(VALU_DEP_1) | instskip(NEXT) | instid1(VALU_DEP_1)
	v_mov_b32_dpp v22, v21 row_shr:8 row_mask:0xf bank_mask:0xf
	v_cndmask_b32_e64 v22, 0, v22, s3
	s_delay_alu instid0(VALU_DEP_1) | instskip(SKIP_3) | instid1(VALU_DEP_1)
	v_add_nc_u32_e32 v21, v21, v22
	ds_swizzle_b32 v22, v21 offset:swizzle(BROADCAST,32,15)
	s_waitcnt lgkmcnt(0)
	v_cndmask_b32_e64 v22, v22, 0, s4
	v_add_nc_u32_e32 v21, v21, v22
	s_and_saveexec_b32 s8, s7
	s_delay_alu instid0(SALU_CYCLE_1)
	s_xor_b32 s8, exec_lo, s8
	s_cbranch_execz .LBB35_14
; %bb.13:                               ;   in Loop: Header=BB35_4 Depth=2
	ds_store_b32 v3, v21
.LBB35_14:                              ;   in Loop: Header=BB35_4 Depth=2
	s_or_b32 exec_lo, exec_lo, s8
	s_waitcnt lgkmcnt(0)
	s_barrier
	buffer_gl0_inv
	s_and_saveexec_b32 s8, s5
	s_cbranch_execz .LBB35_16
; %bb.15:                               ;   in Loop: Header=BB35_4 Depth=2
	ds_load_b32 v22, v0
	s_waitcnt lgkmcnt(0)
	v_mov_b32_dpp v23, v22 row_shr:1 row_mask:0xf bank_mask:0xf
	s_delay_alu instid0(VALU_DEP_1) | instskip(NEXT) | instid1(VALU_DEP_1)
	v_cndmask_b32_e64 v23, v23, 0, s0
	v_add_nc_u32_e32 v22, v23, v22
	s_delay_alu instid0(VALU_DEP_1) | instskip(NEXT) | instid1(VALU_DEP_1)
	v_mov_b32_dpp v23, v22 row_shr:2 row_mask:0xf bank_mask:0xf
	v_cndmask_b32_e64 v23, 0, v23, s1
	s_delay_alu instid0(VALU_DEP_1) | instskip(NEXT) | instid1(VALU_DEP_1)
	v_add_nc_u32_e32 v22, v22, v23
	v_mov_b32_dpp v23, v22 row_shr:4 row_mask:0xf bank_mask:0xf
	s_delay_alu instid0(VALU_DEP_1) | instskip(NEXT) | instid1(VALU_DEP_1)
	v_cndmask_b32_e64 v23, 0, v23, s2
	v_add_nc_u32_e32 v22, v22, v23
	s_delay_alu instid0(VALU_DEP_1) | instskip(NEXT) | instid1(VALU_DEP_1)
	v_mov_b32_dpp v23, v22 row_shr:8 row_mask:0xf bank_mask:0xf
	v_cndmask_b32_e64 v23, 0, v23, s3
	s_delay_alu instid0(VALU_DEP_1)
	v_add_nc_u32_e32 v22, v22, v23
	ds_store_b32 v0, v22
.LBB35_16:                              ;   in Loop: Header=BB35_4 Depth=2
	s_or_b32 exec_lo, exec_lo, s8
	v_mov_b32_e32 v22, 0
	s_waitcnt lgkmcnt(0)
	s_barrier
	buffer_gl0_inv
	s_and_saveexec_b32 s8, s6
	s_cbranch_execz .LBB35_3
; %bb.17:                               ;   in Loop: Header=BB35_4 Depth=2
	ds_load_b32 v22, v9
	s_branch .LBB35_3
.LBB35_18:
	ds_load_b32 v1, v11
	ds_load_b32 v2, v14
	;; [unrolled: 1-line block ×4, first 2 shown]
	v_lshlrev_b32_e32 v0, 2, v0
	s_add_u32 s0, s10, s12
	s_addc_u32 s1, s11, s13
	s_waitcnt lgkmcnt(3)
	v_add_nc_u32_e32 v1, v1, v10
	s_waitcnt lgkmcnt(2)
	v_add3_u32 v2, v13, v12, v2
	s_waitcnt lgkmcnt(1)
	v_add3_u32 v3, v16, v15, v3
	;; [unrolled: 2-line block ×3, first 2 shown]
	global_store_b128 v0, v[1:4], s[0:1]
	s_nop 0
	s_sendmsg sendmsg(MSG_DEALLOC_VGPRS)
	s_endpgm
	.section	.rodata,"a",@progbits
	.p2align	6, 0x0
	.amdhsa_kernel _Z11rank_kernelIiLj4ELb0EL18RadixRankAlgorithm2ELj512ELj4ELj10EEvPKT_Pi
		.amdhsa_group_segment_fixed_size 2112
		.amdhsa_private_segment_fixed_size 0
		.amdhsa_kernarg_size 272
		.amdhsa_user_sgpr_count 15
		.amdhsa_user_sgpr_dispatch_ptr 0
		.amdhsa_user_sgpr_queue_ptr 0
		.amdhsa_user_sgpr_kernarg_segment_ptr 1
		.amdhsa_user_sgpr_dispatch_id 0
		.amdhsa_user_sgpr_private_segment_size 0
		.amdhsa_wavefront_size32 1
		.amdhsa_uses_dynamic_stack 0
		.amdhsa_enable_private_segment 0
		.amdhsa_system_sgpr_workgroup_id_x 1
		.amdhsa_system_sgpr_workgroup_id_y 0
		.amdhsa_system_sgpr_workgroup_id_z 0
		.amdhsa_system_sgpr_workgroup_info 0
		.amdhsa_system_vgpr_workitem_id 2
		.amdhsa_next_free_vgpr 25
		.amdhsa_next_free_sgpr 18
		.amdhsa_reserve_vcc 1
		.amdhsa_float_round_mode_32 0
		.amdhsa_float_round_mode_16_64 0
		.amdhsa_float_denorm_mode_32 3
		.amdhsa_float_denorm_mode_16_64 3
		.amdhsa_dx10_clamp 1
		.amdhsa_ieee_mode 1
		.amdhsa_fp16_overflow 0
		.amdhsa_workgroup_processor_mode 1
		.amdhsa_memory_ordered 1
		.amdhsa_forward_progress 0
		.amdhsa_shared_vgpr_count 0
		.amdhsa_exception_fp_ieee_invalid_op 0
		.amdhsa_exception_fp_denorm_src 0
		.amdhsa_exception_fp_ieee_div_zero 0
		.amdhsa_exception_fp_ieee_overflow 0
		.amdhsa_exception_fp_ieee_underflow 0
		.amdhsa_exception_fp_ieee_inexact 0
		.amdhsa_exception_int_div_zero 0
	.end_amdhsa_kernel
	.section	.text._Z11rank_kernelIiLj4ELb0EL18RadixRankAlgorithm2ELj512ELj4ELj10EEvPKT_Pi,"axG",@progbits,_Z11rank_kernelIiLj4ELb0EL18RadixRankAlgorithm2ELj512ELj4ELj10EEvPKT_Pi,comdat
.Lfunc_end35:
	.size	_Z11rank_kernelIiLj4ELb0EL18RadixRankAlgorithm2ELj512ELj4ELj10EEvPKT_Pi, .Lfunc_end35-_Z11rank_kernelIiLj4ELb0EL18RadixRankAlgorithm2ELj512ELj4ELj10EEvPKT_Pi
                                        ; -- End function
	.section	.AMDGPU.csdata,"",@progbits
; Kernel info:
; codeLenInByte = 1892
; NumSgprs: 20
; NumVgprs: 25
; ScratchSize: 0
; MemoryBound: 0
; FloatMode: 240
; IeeeMode: 1
; LDSByteSize: 2112 bytes/workgroup (compile time only)
; SGPRBlocks: 2
; VGPRBlocks: 3
; NumSGPRsForWavesPerEU: 20
; NumVGPRsForWavesPerEU: 25
; Occupancy: 16
; WaveLimiterHint : 0
; COMPUTE_PGM_RSRC2:SCRATCH_EN: 0
; COMPUTE_PGM_RSRC2:USER_SGPR: 15
; COMPUTE_PGM_RSRC2:TRAP_HANDLER: 0
; COMPUTE_PGM_RSRC2:TGID_X_EN: 1
; COMPUTE_PGM_RSRC2:TGID_Y_EN: 0
; COMPUTE_PGM_RSRC2:TGID_Z_EN: 0
; COMPUTE_PGM_RSRC2:TIDIG_COMP_CNT: 2
	.section	.text._Z11rank_kernelIiLj4ELb0EL18RadixRankAlgorithm0ELj512ELj8ELj10EEvPKT_Pi,"axG",@progbits,_Z11rank_kernelIiLj4ELb0EL18RadixRankAlgorithm0ELj512ELj8ELj10EEvPKT_Pi,comdat
	.protected	_Z11rank_kernelIiLj4ELb0EL18RadixRankAlgorithm0ELj512ELj8ELj10EEvPKT_Pi ; -- Begin function _Z11rank_kernelIiLj4ELb0EL18RadixRankAlgorithm0ELj512ELj8ELj10EEvPKT_Pi
	.globl	_Z11rank_kernelIiLj4ELb0EL18RadixRankAlgorithm0ELj512ELj8ELj10EEvPKT_Pi
	.p2align	8
	.type	_Z11rank_kernelIiLj4ELb0EL18RadixRankAlgorithm0ELj512ELj8ELj10EEvPKT_Pi,@function
_Z11rank_kernelIiLj4ELb0EL18RadixRankAlgorithm0ELj512ELj8ELj10EEvPKT_Pi: ; @_Z11rank_kernelIiLj4ELb0EL18RadixRankAlgorithm0ELj512ELj8ELj10EEvPKT_Pi
; %bb.0:
	s_load_b128 s[8:11], s[0:1], 0x0
	s_mov_b32 s17, 0
	s_lshl_b32 s16, s15, 12
	v_dual_mov_b32 v3, 0 :: v_dual_lshlrev_b32 v2, 5, v0
	s_lshl_b64 s[12:13], s[16:17], 2
	v_mbcnt_lo_u32_b32 v5, -1, 0
	v_or_b32_e32 v16, 31, v0
	v_lshrrev_b32_e32 v18, 3, v0
	v_lshlrev_b32_e32 v1, 3, v0
	v_cmp_gt_u32_e32 vcc_lo, 16, v0
	v_add_nc_u32_e32 v17, -1, v5
	v_and_b32_e32 v6, 15, v5
	v_and_b32_e32 v15, 16, v5
	v_lshlrev_b32_e32 v4, 2, v0
	v_cmp_eq_u32_e64 s7, v16, v0
	v_cmp_gt_i32_e64 s5, 0, v17
	v_cmp_eq_u32_e64 s2, 0, v6
	v_cmp_lt_u32_e64 s3, 1, v6
	v_cmp_lt_u32_e64 s4, 3, v6
	s_waitcnt lgkmcnt(0)
	s_add_u32 s0, s8, s12
	s_addc_u32 s1, s9, s13
	v_cndmask_b32_e64 v17, v17, v5, s5
	s_clause 0x1
	global_load_b128 v[7:10], v2, s[0:1]
	global_load_b128 v[11:14], v2, s[0:1] offset:16
	v_cmp_lt_u32_e64 s0, 31, v0
	v_cmp_eq_u32_e64 s1, 0, v5
	v_cmp_lt_u32_e64 s5, 7, v6
	v_cmp_eq_u32_e64 s6, 0, v15
	v_and_b32_e32 v5, 60, v18
	v_lshlrev_b32_e32 v6, 2, v17
	v_or_b32_e32 v15, 0xfffffe00, v0
	s_waitcnt vmcnt(1)
	v_xor_b32_e32 v7, 0x80000000, v7
	v_xor_b32_e32 v8, 0x80000000, v8
	;; [unrolled: 1-line block ×4, first 2 shown]
	s_waitcnt vmcnt(0)
	v_xor_b32_e32 v11, 0x80000000, v11
	v_xor_b32_e32 v12, 0x80000000, v12
	;; [unrolled: 1-line block ×4, first 2 shown]
	s_branch .LBB36_2
.LBB36_1:                               ;   in Loop: Header=BB36_2 Depth=1
	s_add_i32 s17, s17, 1
	s_delay_alu instid0(SALU_CYCLE_1)
	s_cmp_eq_u32 s17, 10
	s_cbranch_scc1 .LBB36_12
.LBB36_2:                               ; =>This Loop Header: Depth=1
                                        ;     Child Loop BB36_4 Depth 2
                                        ;       Child Loop BB36_5 Depth 3
	s_mov_b32 s9, 0
	s_branch .LBB36_4
.LBB36_3:                               ;   in Loop: Header=BB36_4 Depth=2
	s_or_b32 exec_lo, exec_lo, s8
	s_waitcnt lgkmcnt(0)
	v_add_nc_u32_e32 v32, v33, v32
	ds_load_b32 v36, v3 offset:16444
	ds_load_2addr_b32 v[34:35], v2 offset1:1
	s_add_i32 s8, s9, 4
	s_cmp_lt_u32 s9, 28
	s_mov_b32 s9, s8
	ds_bpermute_b32 v32, v6, v32
	s_waitcnt lgkmcnt(0)
	v_cndmask_b32_e64 v37, v32, v33, s1
	ds_load_2addr_b32 v[32:33], v2 offset0:2 offset1:3
	v_lshl_add_u32 v38, v36, 16, v37
	ds_load_2addr_b32 v[36:37], v2 offset0:4 offset1:5
	ds_load_b32 v39, v2 offset:24
	v_add_nc_u32_e32 v34, v38, v34
	s_delay_alu instid0(VALU_DEP_1) | instskip(SKIP_1) | instid1(VALU_DEP_1)
	v_add_nc_u32_e32 v35, v35, v34
	s_waitcnt lgkmcnt(2)
	v_add_nc_u32_e32 v32, v32, v35
	s_delay_alu instid0(VALU_DEP_1) | instskip(SKIP_1) | instid1(VALU_DEP_1)
	v_add_nc_u32_e32 v33, v33, v32
	s_waitcnt lgkmcnt(1)
	;; [unrolled: 4-line block ×3, first 2 shown]
	v_add_nc_u32_e32 v39, v39, v37
	ds_store_2addr_b32 v2, v38, v34 offset1:1
	ds_store_2addr_b32 v2, v35, v32 offset0:2 offset1:3
	ds_store_2addr_b32 v2, v33, v36 offset0:4 offset1:5
	;; [unrolled: 1-line block ×3, first 2 shown]
	s_waitcnt lgkmcnt(0)
	s_barrier
	buffer_gl0_inv
	s_cbranch_scc0 .LBB36_1
.LBB36_4:                               ;   Parent Loop BB36_2 Depth=1
                                        ; =>  This Loop Header: Depth=2
                                        ;       Child Loop BB36_5 Depth 3
	v_dual_mov_b32 v16, v15 :: v_dual_mov_b32 v17, v4
	s_mov_b32 s14, 0
.LBB36_5:                               ;   Parent Loop BB36_2 Depth=1
                                        ;     Parent Loop BB36_4 Depth=2
                                        ; =>    This Inner Loop Header: Depth=3
	s_delay_alu instid0(VALU_DEP_1) | instskip(SKIP_3) | instid1(VALU_DEP_1)
	v_add_nc_u32_e32 v16, 0x200, v16
	ds_store_b32 v17, v3
	v_add_nc_u32_e32 v17, 0x800, v17
	v_cmp_lt_u32_e64 s8, 0xdff, v16
	s_or_b32 s14, s8, s14
	s_delay_alu instid0(SALU_CYCLE_1)
	s_and_not1_b32 exec_lo, exec_lo, s14
	s_cbranch_execnz .LBB36_5
; %bb.6:                                ;   in Loop: Header=BB36_4 Depth=2
	s_or_b32 exec_lo, exec_lo, s14
	s_sub_i32 s8, 28, s9
	s_delay_alu instid0(SALU_CYCLE_1) | instskip(SKIP_1) | instid1(VALU_DEP_2)
	v_lshlrev_b32_e32 v16, s8, v7
	v_lshlrev_b32_e32 v18, s8, v8
	v_lshrrev_b32_e32 v17, 19, v16
	s_delay_alu instid0(VALU_DEP_2) | instskip(NEXT) | instid1(VALU_DEP_2)
	v_lshrrev_b32_e32 v19, 19, v18
	v_and_or_b32 v17, 0xe00, v17, v0
	s_delay_alu instid0(VALU_DEP_2) | instskip(NEXT) | instid1(VALU_DEP_2)
	v_and_or_b32 v19, 0xe00, v19, v0
	v_alignbit_b32 v16, v17, v16, 31
	s_delay_alu instid0(VALU_DEP_2) | instskip(NEXT) | instid1(VALU_DEP_2)
	v_alignbit_b32 v18, v19, v18, 31
	v_lshlrev_b32_e32 v17, 1, v16
	s_delay_alu instid0(VALU_DEP_2)
	v_lshlrev_b32_e32 v19, 1, v18
	ds_load_u16 v16, v17
	s_waitcnt lgkmcnt(0)
	v_add_nc_u16 v20, v16, 1
	ds_store_b16 v17, v20
	ds_load_u16 v18, v19
	v_lshlrev_b32_e32 v20, s8, v9
	s_delay_alu instid0(VALU_DEP_1) | instskip(NEXT) | instid1(VALU_DEP_1)
	v_lshrrev_b32_e32 v21, 19, v20
	v_and_or_b32 v21, 0xe00, v21, v0
	s_delay_alu instid0(VALU_DEP_1) | instskip(SKIP_2) | instid1(VALU_DEP_2)
	v_alignbit_b32 v20, v21, v20, 31
	s_waitcnt lgkmcnt(0)
	v_add_nc_u16 v22, v18, 1
	v_lshlrev_b32_e32 v21, 1, v20
	ds_store_b16 v19, v22
	ds_load_u16 v20, v21
	v_lshlrev_b32_e32 v22, s8, v10
	s_delay_alu instid0(VALU_DEP_1) | instskip(NEXT) | instid1(VALU_DEP_1)
	v_lshrrev_b32_e32 v23, 19, v22
	v_and_or_b32 v23, 0xe00, v23, v0
	s_delay_alu instid0(VALU_DEP_1) | instskip(SKIP_2) | instid1(VALU_DEP_2)
	v_alignbit_b32 v22, v23, v22, 31
	s_waitcnt lgkmcnt(0)
	v_add_nc_u16 v24, v20, 1
	v_lshlrev_b32_e32 v23, 1, v22
	;; [unrolled: 11-line block ×6, first 2 shown]
	ds_store_b16 v29, v32
	ds_load_u16 v30, v31
	s_waitcnt lgkmcnt(0)
	v_add_nc_u16 v32, v30, 1
	ds_store_b16 v31, v32
	s_waitcnt lgkmcnt(0)
	s_barrier
	buffer_gl0_inv
	ds_load_2addr_b32 v[32:33], v2 offset1:1
	ds_load_2addr_b32 v[34:35], v2 offset0:2 offset1:3
	ds_load_2addr_b32 v[36:37], v2 offset0:4 offset1:5
	;; [unrolled: 1-line block ×3, first 2 shown]
	s_waitcnt lgkmcnt(3)
	v_add_nc_u32_e32 v32, v33, v32
	s_waitcnt lgkmcnt(2)
	s_delay_alu instid0(VALU_DEP_1) | instskip(SKIP_1) | instid1(VALU_DEP_1)
	v_add3_u32 v32, v32, v34, v35
	s_waitcnt lgkmcnt(1)
	v_add3_u32 v32, v32, v36, v37
	s_waitcnt lgkmcnt(0)
	s_delay_alu instid0(VALU_DEP_1) | instskip(NEXT) | instid1(VALU_DEP_1)
	v_add3_u32 v32, v32, v38, v39
	v_mov_b32_dpp v33, v32 row_shr:1 row_mask:0xf bank_mask:0xf
	s_delay_alu instid0(VALU_DEP_1) | instskip(NEXT) | instid1(VALU_DEP_1)
	v_cndmask_b32_e64 v33, v33, 0, s2
	v_add_nc_u32_e32 v32, v33, v32
	s_delay_alu instid0(VALU_DEP_1) | instskip(NEXT) | instid1(VALU_DEP_1)
	v_mov_b32_dpp v33, v32 row_shr:2 row_mask:0xf bank_mask:0xf
	v_cndmask_b32_e64 v33, 0, v33, s3
	s_delay_alu instid0(VALU_DEP_1) | instskip(NEXT) | instid1(VALU_DEP_1)
	v_add_nc_u32_e32 v32, v32, v33
	v_mov_b32_dpp v33, v32 row_shr:4 row_mask:0xf bank_mask:0xf
	s_delay_alu instid0(VALU_DEP_1) | instskip(NEXT) | instid1(VALU_DEP_1)
	v_cndmask_b32_e64 v33, 0, v33, s4
	v_add_nc_u32_e32 v32, v32, v33
	s_delay_alu instid0(VALU_DEP_1) | instskip(NEXT) | instid1(VALU_DEP_1)
	v_mov_b32_dpp v33, v32 row_shr:8 row_mask:0xf bank_mask:0xf
	v_cndmask_b32_e64 v33, 0, v33, s5
	s_delay_alu instid0(VALU_DEP_1) | instskip(SKIP_3) | instid1(VALU_DEP_1)
	v_add_nc_u32_e32 v32, v32, v33
	ds_swizzle_b32 v33, v32 offset:swizzle(BROADCAST,32,15)
	s_waitcnt lgkmcnt(0)
	v_cndmask_b32_e64 v33, v33, 0, s6
	v_add_nc_u32_e32 v32, v32, v33
	s_and_saveexec_b32 s8, s7
	s_cbranch_execz .LBB36_8
; %bb.7:                                ;   in Loop: Header=BB36_4 Depth=2
	ds_store_b32 v5, v32 offset:16384
.LBB36_8:                               ;   in Loop: Header=BB36_4 Depth=2
	s_or_b32 exec_lo, exec_lo, s8
	s_waitcnt lgkmcnt(0)
	s_barrier
	buffer_gl0_inv
	s_and_saveexec_b32 s8, vcc_lo
	s_cbranch_execz .LBB36_10
; %bb.9:                                ;   in Loop: Header=BB36_4 Depth=2
	ds_load_b32 v33, v4 offset:16384
	s_waitcnt lgkmcnt(0)
	v_mov_b32_dpp v34, v33 row_shr:1 row_mask:0xf bank_mask:0xf
	s_delay_alu instid0(VALU_DEP_1) | instskip(NEXT) | instid1(VALU_DEP_1)
	v_cndmask_b32_e64 v34, v34, 0, s2
	v_add_nc_u32_e32 v33, v34, v33
	s_delay_alu instid0(VALU_DEP_1) | instskip(NEXT) | instid1(VALU_DEP_1)
	v_mov_b32_dpp v34, v33 row_shr:2 row_mask:0xf bank_mask:0xf
	v_cndmask_b32_e64 v34, 0, v34, s3
	s_delay_alu instid0(VALU_DEP_1) | instskip(NEXT) | instid1(VALU_DEP_1)
	v_add_nc_u32_e32 v33, v33, v34
	v_mov_b32_dpp v34, v33 row_shr:4 row_mask:0xf bank_mask:0xf
	s_delay_alu instid0(VALU_DEP_1) | instskip(NEXT) | instid1(VALU_DEP_1)
	v_cndmask_b32_e64 v34, 0, v34, s4
	v_add_nc_u32_e32 v33, v33, v34
	s_delay_alu instid0(VALU_DEP_1) | instskip(NEXT) | instid1(VALU_DEP_1)
	v_mov_b32_dpp v34, v33 row_shr:8 row_mask:0xf bank_mask:0xf
	v_cndmask_b32_e64 v34, 0, v34, s5
	s_delay_alu instid0(VALU_DEP_1)
	v_add_nc_u32_e32 v33, v33, v34
	ds_store_b32 v4, v33 offset:16384
.LBB36_10:                              ;   in Loop: Header=BB36_4 Depth=2
	s_or_b32 exec_lo, exec_lo, s8
	v_mov_b32_e32 v33, 0
	s_waitcnt lgkmcnt(0)
	s_barrier
	buffer_gl0_inv
	s_and_saveexec_b32 s8, s0
	s_cbranch_execz .LBB36_3
; %bb.11:                               ;   in Loop: Header=BB36_4 Depth=2
	ds_load_b32 v33, v5 offset:16380
	s_branch .LBB36_3
.LBB36_12:
	ds_load_u16 v0, v17
	ds_load_u16 v3, v19
	;; [unrolled: 1-line block ×8, first 2 shown]
	v_and_b32_e32 v2, 0xffff, v16
	v_and_b32_e32 v10, 0xffff, v18
	;; [unrolled: 1-line block ×8, first 2 shown]
	s_add_u32 s0, s10, s12
	s_addc_u32 s1, s11, s13
	s_waitcnt lgkmcnt(7)
	v_add_nc_u32_e32 v2, v0, v2
	s_waitcnt lgkmcnt(6)
	v_add_nc_u32_e32 v3, v3, v10
	;; [unrolled: 2-line block ×4, first 2 shown]
	v_lshlrev_b32_e32 v0, 2, v1
	s_waitcnt lgkmcnt(3)
	v_add_nc_u32_e32 v6, v6, v13
	s_waitcnt lgkmcnt(2)
	v_add_nc_u32_e32 v7, v7, v14
	;; [unrolled: 2-line block ×4, first 2 shown]
	s_clause 0x1
	global_store_b128 v0, v[2:5], s[0:1]
	global_store_b128 v0, v[6:9], s[0:1] offset:16
	s_nop 0
	s_sendmsg sendmsg(MSG_DEALLOC_VGPRS)
	s_endpgm
	.section	.rodata,"a",@progbits
	.p2align	6, 0x0
	.amdhsa_kernel _Z11rank_kernelIiLj4ELb0EL18RadixRankAlgorithm0ELj512ELj8ELj10EEvPKT_Pi
		.amdhsa_group_segment_fixed_size 16448
		.amdhsa_private_segment_fixed_size 0
		.amdhsa_kernarg_size 16
		.amdhsa_user_sgpr_count 15
		.amdhsa_user_sgpr_dispatch_ptr 0
		.amdhsa_user_sgpr_queue_ptr 0
		.amdhsa_user_sgpr_kernarg_segment_ptr 1
		.amdhsa_user_sgpr_dispatch_id 0
		.amdhsa_user_sgpr_private_segment_size 0
		.amdhsa_wavefront_size32 1
		.amdhsa_uses_dynamic_stack 0
		.amdhsa_enable_private_segment 0
		.amdhsa_system_sgpr_workgroup_id_x 1
		.amdhsa_system_sgpr_workgroup_id_y 0
		.amdhsa_system_sgpr_workgroup_id_z 0
		.amdhsa_system_sgpr_workgroup_info 0
		.amdhsa_system_vgpr_workitem_id 0
		.amdhsa_next_free_vgpr 40
		.amdhsa_next_free_sgpr 18
		.amdhsa_reserve_vcc 1
		.amdhsa_float_round_mode_32 0
		.amdhsa_float_round_mode_16_64 0
		.amdhsa_float_denorm_mode_32 3
		.amdhsa_float_denorm_mode_16_64 3
		.amdhsa_dx10_clamp 1
		.amdhsa_ieee_mode 1
		.amdhsa_fp16_overflow 0
		.amdhsa_workgroup_processor_mode 1
		.amdhsa_memory_ordered 1
		.amdhsa_forward_progress 0
		.amdhsa_shared_vgpr_count 0
		.amdhsa_exception_fp_ieee_invalid_op 0
		.amdhsa_exception_fp_denorm_src 0
		.amdhsa_exception_fp_ieee_div_zero 0
		.amdhsa_exception_fp_ieee_overflow 0
		.amdhsa_exception_fp_ieee_underflow 0
		.amdhsa_exception_fp_ieee_inexact 0
		.amdhsa_exception_int_div_zero 0
	.end_amdhsa_kernel
	.section	.text._Z11rank_kernelIiLj4ELb0EL18RadixRankAlgorithm0ELj512ELj8ELj10EEvPKT_Pi,"axG",@progbits,_Z11rank_kernelIiLj4ELb0EL18RadixRankAlgorithm0ELj512ELj8ELj10EEvPKT_Pi,comdat
.Lfunc_end36:
	.size	_Z11rank_kernelIiLj4ELb0EL18RadixRankAlgorithm0ELj512ELj8ELj10EEvPKT_Pi, .Lfunc_end36-_Z11rank_kernelIiLj4ELb0EL18RadixRankAlgorithm0ELj512ELj8ELj10EEvPKT_Pi
                                        ; -- End function
	.section	.AMDGPU.csdata,"",@progbits
; Kernel info:
; codeLenInByte = 1792
; NumSgprs: 20
; NumVgprs: 40
; ScratchSize: 0
; MemoryBound: 0
; FloatMode: 240
; IeeeMode: 1
; LDSByteSize: 16448 bytes/workgroup (compile time only)
; SGPRBlocks: 2
; VGPRBlocks: 4
; NumSGPRsForWavesPerEU: 20
; NumVGPRsForWavesPerEU: 40
; Occupancy: 16
; WaveLimiterHint : 0
; COMPUTE_PGM_RSRC2:SCRATCH_EN: 0
; COMPUTE_PGM_RSRC2:USER_SGPR: 15
; COMPUTE_PGM_RSRC2:TRAP_HANDLER: 0
; COMPUTE_PGM_RSRC2:TGID_X_EN: 1
; COMPUTE_PGM_RSRC2:TGID_Y_EN: 0
; COMPUTE_PGM_RSRC2:TGID_Z_EN: 0
; COMPUTE_PGM_RSRC2:TIDIG_COMP_CNT: 0
	.section	.text._Z11rank_kernelIiLj4ELb0EL18RadixRankAlgorithm1ELj512ELj8ELj10EEvPKT_Pi,"axG",@progbits,_Z11rank_kernelIiLj4ELb0EL18RadixRankAlgorithm1ELj512ELj8ELj10EEvPKT_Pi,comdat
	.protected	_Z11rank_kernelIiLj4ELb0EL18RadixRankAlgorithm1ELj512ELj8ELj10EEvPKT_Pi ; -- Begin function _Z11rank_kernelIiLj4ELb0EL18RadixRankAlgorithm1ELj512ELj8ELj10EEvPKT_Pi
	.globl	_Z11rank_kernelIiLj4ELb0EL18RadixRankAlgorithm1ELj512ELj8ELj10EEvPKT_Pi
	.p2align	8
	.type	_Z11rank_kernelIiLj4ELb0EL18RadixRankAlgorithm1ELj512ELj8ELj10EEvPKT_Pi,@function
_Z11rank_kernelIiLj4ELb0EL18RadixRankAlgorithm1ELj512ELj8ELj10EEvPKT_Pi: ; @_Z11rank_kernelIiLj4ELb0EL18RadixRankAlgorithm1ELj512ELj8ELj10EEvPKT_Pi
; %bb.0:
	s_load_b128 s[8:11], s[0:1], 0x0
	s_mov_b32 s17, 0
	s_lshl_b32 s16, s15, 12
	v_dual_mov_b32 v11, 0 :: v_dual_lshlrev_b32 v10, 5, v0
	s_lshl_b64 s[12:13], s[16:17], 2
	v_mbcnt_lo_u32_b32 v13, -1, 0
	v_or_b32_e32 v16, 31, v0
	v_lshrrev_b32_e32 v18, 3, v0
	v_lshlrev_b32_e32 v9, 3, v0
	v_cmp_gt_u32_e32 vcc_lo, 16, v0
	v_add_nc_u32_e32 v17, -1, v13
	v_and_b32_e32 v14, 15, v13
	v_and_b32_e32 v15, 16, v13
	v_lshlrev_b32_e32 v12, 2, v0
	v_cmp_eq_u32_e64 s7, v16, v0
	v_cmp_gt_i32_e64 s5, 0, v17
	v_cmp_eq_u32_e64 s2, 0, v14
	v_cmp_lt_u32_e64 s3, 1, v14
	v_cmp_lt_u32_e64 s4, 3, v14
	s_waitcnt lgkmcnt(0)
	s_add_u32 s0, s8, s12
	s_addc_u32 s1, s9, s13
	v_cndmask_b32_e64 v17, v17, v13, s5
	s_clause 0x1
	global_load_b128 v[1:4], v10, s[0:1]
	global_load_b128 v[5:8], v10, s[0:1] offset:16
	v_cmp_lt_u32_e64 s0, 31, v0
	v_cmp_eq_u32_e64 s1, 0, v13
	v_cmp_lt_u32_e64 s5, 7, v14
	v_cmp_eq_u32_e64 s6, 0, v15
	v_and_b32_e32 v13, 60, v18
	v_lshlrev_b32_e32 v14, 2, v17
	v_or_b32_e32 v23, 0xfffffe00, v0
	s_waitcnt vmcnt(1)
	v_xor_b32_e32 v15, 0x80000000, v1
	v_xor_b32_e32 v16, 0x80000000, v2
	;; [unrolled: 1-line block ×4, first 2 shown]
	s_waitcnt vmcnt(0)
	v_xor_b32_e32 v19, 0x80000000, v5
	v_xor_b32_e32 v20, 0x80000000, v6
	;; [unrolled: 1-line block ×4, first 2 shown]
	s_branch .LBB37_2
.LBB37_1:                               ;   in Loop: Header=BB37_2 Depth=1
	s_add_i32 s17, s17, 1
	s_delay_alu instid0(SALU_CYCLE_1)
	s_cmp_eq_u32 s17, 10
	s_cbranch_scc1 .LBB37_12
.LBB37_2:                               ; =>This Loop Header: Depth=1
                                        ;     Child Loop BB37_4 Depth 2
                                        ;       Child Loop BB37_5 Depth 3
	s_mov_b32 s9, 0
	s_branch .LBB37_4
.LBB37_3:                               ;   in Loop: Header=BB37_4 Depth=2
	s_or_b32 exec_lo, exec_lo, s8
	s_waitcnt lgkmcnt(0)
	v_add_nc_u32_e32 v2, v40, v2
	ds_load_b32 v41, v11 offset:16444
	s_add_i32 s8, s9, 4
	s_cmp_lt_u32 s9, 28
	s_mov_b32 s9, s8
	ds_bpermute_b32 v2, v14, v2
	s_waitcnt lgkmcnt(0)
	v_cndmask_b32_e64 v2, v2, v40, s1
	s_delay_alu instid0(VALU_DEP_1) | instskip(NEXT) | instid1(VALU_DEP_1)
	v_lshl_add_u32 v2, v41, 16, v2
	v_add_nc_u32_e32 v7, v2, v7
	s_delay_alu instid0(VALU_DEP_1) | instskip(NEXT) | instid1(VALU_DEP_1)
	v_add_nc_u32_e32 v8, v7, v8
	v_add_nc_u32_e32 v5, v8, v5
	s_delay_alu instid0(VALU_DEP_1) | instskip(NEXT) | instid1(VALU_DEP_1)
	v_add_nc_u32_e32 v6, v5, v6
	;; [unrolled: 3-line block ×3, first 2 shown]
	v_add_nc_u32_e32 v1, v4, v1
	ds_store_2addr_b32 v10, v2, v7 offset1:1
	ds_store_2addr_b32 v10, v8, v5 offset0:2 offset1:3
	ds_store_2addr_b32 v10, v6, v3 offset0:4 offset1:5
	;; [unrolled: 1-line block ×3, first 2 shown]
	s_waitcnt lgkmcnt(0)
	s_barrier
	buffer_gl0_inv
	s_cbranch_scc0 .LBB37_1
.LBB37_4:                               ;   Parent Loop BB37_2 Depth=1
                                        ; =>  This Loop Header: Depth=2
                                        ;       Child Loop BB37_5 Depth 3
	v_dual_mov_b32 v1, v23 :: v_dual_mov_b32 v2, v12
	s_mov_b32 s14, 0
.LBB37_5:                               ;   Parent Loop BB37_2 Depth=1
                                        ;     Parent Loop BB37_4 Depth=2
                                        ; =>    This Inner Loop Header: Depth=3
	s_delay_alu instid0(VALU_DEP_1) | instskip(SKIP_3) | instid1(VALU_DEP_1)
	v_add_nc_u32_e32 v1, 0x200, v1
	ds_store_b32 v2, v11
	v_add_nc_u32_e32 v2, 0x800, v2
	v_cmp_lt_u32_e64 s8, 0xdff, v1
	s_or_b32 s14, s8, s14
	s_delay_alu instid0(SALU_CYCLE_1)
	s_and_not1_b32 exec_lo, exec_lo, s14
	s_cbranch_execnz .LBB37_5
; %bb.6:                                ;   in Loop: Header=BB37_4 Depth=2
	s_or_b32 exec_lo, exec_lo, s14
	s_sub_i32 s8, 28, s9
	s_delay_alu instid0(SALU_CYCLE_1) | instskip(NEXT) | instid1(VALU_DEP_1)
	v_lshlrev_b32_e32 v1, s8, v15
	v_lshrrev_b32_e32 v2, 19, v1
	s_delay_alu instid0(VALU_DEP_1) | instskip(NEXT) | instid1(VALU_DEP_1)
	v_and_or_b32 v2, 0xe00, v2, v0
	v_alignbit_b32 v1, v2, v1, 31
	s_delay_alu instid0(VALU_DEP_1) | instskip(SKIP_3) | instid1(VALU_DEP_1)
	v_lshlrev_b32_e32 v25, 1, v1
	v_lshlrev_b32_e32 v1, s8, v16
	ds_load_u16 v24, v25
	v_lshrrev_b32_e32 v2, 19, v1
	v_and_or_b32 v2, 0xe00, v2, v0
	s_delay_alu instid0(VALU_DEP_1) | instskip(NEXT) | instid1(VALU_DEP_1)
	v_alignbit_b32 v1, v2, v1, 31
	v_lshlrev_b32_e32 v27, 1, v1
	v_lshlrev_b32_e32 v1, s8, v17
	s_waitcnt lgkmcnt(0)
	v_add_nc_u16 v2, v24, 1
	ds_store_b16 v25, v2
	ds_load_u16 v26, v27
	v_lshrrev_b32_e32 v2, 19, v1
	s_delay_alu instid0(VALU_DEP_1) | instskip(NEXT) | instid1(VALU_DEP_1)
	v_and_or_b32 v2, 0xe00, v2, v0
	v_alignbit_b32 v1, v2, v1, 31
	s_delay_alu instid0(VALU_DEP_1)
	v_lshlrev_b32_e32 v29, 1, v1
	v_lshlrev_b32_e32 v1, s8, v18
	s_waitcnt lgkmcnt(0)
	v_add_nc_u16 v2, v26, 1
	ds_store_b16 v27, v2
	ds_load_u16 v28, v29
	v_lshrrev_b32_e32 v2, 19, v1
	s_delay_alu instid0(VALU_DEP_1) | instskip(NEXT) | instid1(VALU_DEP_1)
	v_and_or_b32 v2, 0xe00, v2, v0
	v_alignbit_b32 v1, v2, v1, 31
	s_delay_alu instid0(VALU_DEP_1)
	;; [unrolled: 11-line block ×6, first 2 shown]
	v_lshlrev_b32_e32 v39, 1, v1
	s_waitcnt lgkmcnt(0)
	v_add_nc_u16 v2, v36, 1
	ds_store_b16 v37, v2
	ds_load_u16 v38, v39
	s_waitcnt lgkmcnt(0)
	v_add_nc_u16 v1, v38, 1
	ds_store_b16 v39, v1
	s_waitcnt lgkmcnt(0)
	s_barrier
	buffer_gl0_inv
	ds_load_2addr_b32 v[7:8], v10 offset1:1
	ds_load_2addr_b32 v[5:6], v10 offset0:2 offset1:3
	ds_load_2addr_b32 v[3:4], v10 offset0:4 offset1:5
	ds_load_2addr_b32 v[1:2], v10 offset0:6 offset1:7
	s_waitcnt lgkmcnt(3)
	v_add_nc_u32_e32 v40, v8, v7
	s_waitcnt lgkmcnt(2)
	s_delay_alu instid0(VALU_DEP_1) | instskip(SKIP_1) | instid1(VALU_DEP_1)
	v_add3_u32 v40, v40, v5, v6
	s_waitcnt lgkmcnt(1)
	v_add3_u32 v40, v40, v3, v4
	s_waitcnt lgkmcnt(0)
	s_delay_alu instid0(VALU_DEP_1) | instskip(NEXT) | instid1(VALU_DEP_1)
	v_add3_u32 v2, v40, v1, v2
	v_mov_b32_dpp v40, v2 row_shr:1 row_mask:0xf bank_mask:0xf
	s_delay_alu instid0(VALU_DEP_1) | instskip(NEXT) | instid1(VALU_DEP_1)
	v_cndmask_b32_e64 v40, v40, 0, s2
	v_add_nc_u32_e32 v2, v40, v2
	s_delay_alu instid0(VALU_DEP_1) | instskip(NEXT) | instid1(VALU_DEP_1)
	v_mov_b32_dpp v40, v2 row_shr:2 row_mask:0xf bank_mask:0xf
	v_cndmask_b32_e64 v40, 0, v40, s3
	s_delay_alu instid0(VALU_DEP_1) | instskip(NEXT) | instid1(VALU_DEP_1)
	v_add_nc_u32_e32 v2, v2, v40
	v_mov_b32_dpp v40, v2 row_shr:4 row_mask:0xf bank_mask:0xf
	s_delay_alu instid0(VALU_DEP_1) | instskip(NEXT) | instid1(VALU_DEP_1)
	v_cndmask_b32_e64 v40, 0, v40, s4
	v_add_nc_u32_e32 v2, v2, v40
	s_delay_alu instid0(VALU_DEP_1) | instskip(NEXT) | instid1(VALU_DEP_1)
	v_mov_b32_dpp v40, v2 row_shr:8 row_mask:0xf bank_mask:0xf
	v_cndmask_b32_e64 v40, 0, v40, s5
	s_delay_alu instid0(VALU_DEP_1) | instskip(SKIP_3) | instid1(VALU_DEP_1)
	v_add_nc_u32_e32 v2, v2, v40
	ds_swizzle_b32 v40, v2 offset:swizzle(BROADCAST,32,15)
	s_waitcnt lgkmcnt(0)
	v_cndmask_b32_e64 v40, v40, 0, s6
	v_add_nc_u32_e32 v2, v2, v40
	s_and_saveexec_b32 s8, s7
	s_cbranch_execz .LBB37_8
; %bb.7:                                ;   in Loop: Header=BB37_4 Depth=2
	ds_store_b32 v13, v2 offset:16384
.LBB37_8:                               ;   in Loop: Header=BB37_4 Depth=2
	s_or_b32 exec_lo, exec_lo, s8
	s_waitcnt lgkmcnt(0)
	s_barrier
	buffer_gl0_inv
	s_and_saveexec_b32 s8, vcc_lo
	s_cbranch_execz .LBB37_10
; %bb.9:                                ;   in Loop: Header=BB37_4 Depth=2
	ds_load_b32 v40, v12 offset:16384
	s_waitcnt lgkmcnt(0)
	v_mov_b32_dpp v41, v40 row_shr:1 row_mask:0xf bank_mask:0xf
	s_delay_alu instid0(VALU_DEP_1) | instskip(NEXT) | instid1(VALU_DEP_1)
	v_cndmask_b32_e64 v41, v41, 0, s2
	v_add_nc_u32_e32 v40, v41, v40
	s_delay_alu instid0(VALU_DEP_1) | instskip(NEXT) | instid1(VALU_DEP_1)
	v_mov_b32_dpp v41, v40 row_shr:2 row_mask:0xf bank_mask:0xf
	v_cndmask_b32_e64 v41, 0, v41, s3
	s_delay_alu instid0(VALU_DEP_1) | instskip(NEXT) | instid1(VALU_DEP_1)
	v_add_nc_u32_e32 v40, v40, v41
	v_mov_b32_dpp v41, v40 row_shr:4 row_mask:0xf bank_mask:0xf
	s_delay_alu instid0(VALU_DEP_1) | instskip(NEXT) | instid1(VALU_DEP_1)
	v_cndmask_b32_e64 v41, 0, v41, s4
	v_add_nc_u32_e32 v40, v40, v41
	s_delay_alu instid0(VALU_DEP_1) | instskip(NEXT) | instid1(VALU_DEP_1)
	v_mov_b32_dpp v41, v40 row_shr:8 row_mask:0xf bank_mask:0xf
	v_cndmask_b32_e64 v41, 0, v41, s5
	s_delay_alu instid0(VALU_DEP_1)
	v_add_nc_u32_e32 v40, v40, v41
	ds_store_b32 v12, v40 offset:16384
.LBB37_10:                              ;   in Loop: Header=BB37_4 Depth=2
	s_or_b32 exec_lo, exec_lo, s8
	v_mov_b32_e32 v40, 0
	s_waitcnt lgkmcnt(0)
	s_barrier
	buffer_gl0_inv
	s_and_saveexec_b32 s8, s0
	s_cbranch_execz .LBB37_3
; %bb.11:                               ;   in Loop: Header=BB37_4 Depth=2
	ds_load_b32 v40, v13 offset:16380
	s_branch .LBB37_3
.LBB37_12:
	ds_load_u16 v0, v25
	ds_load_u16 v1, v27
	;; [unrolled: 1-line block ×8, first 2 shown]
	v_and_b32_e32 v8, 0xffff, v24
	v_and_b32_e32 v10, 0xffff, v26
	;; [unrolled: 1-line block ×8, first 2 shown]
	s_add_u32 s0, s10, s12
	s_addc_u32 s1, s11, s13
	s_waitcnt lgkmcnt(7)
	v_add_nc_u32_e32 v0, v0, v8
	s_waitcnt lgkmcnt(6)
	v_add_nc_u32_e32 v1, v1, v10
	;; [unrolled: 2-line block ×4, first 2 shown]
	v_lshlrev_b32_e32 v8, 2, v9
	s_waitcnt lgkmcnt(3)
	v_add_nc_u32_e32 v4, v4, v13
	s_waitcnt lgkmcnt(2)
	v_add_nc_u32_e32 v5, v5, v14
	;; [unrolled: 2-line block ×4, first 2 shown]
	s_clause 0x1
	global_store_b128 v8, v[0:3], s[0:1]
	global_store_b128 v8, v[4:7], s[0:1] offset:16
	s_nop 0
	s_sendmsg sendmsg(MSG_DEALLOC_VGPRS)
	s_endpgm
	.section	.rodata,"a",@progbits
	.p2align	6, 0x0
	.amdhsa_kernel _Z11rank_kernelIiLj4ELb0EL18RadixRankAlgorithm1ELj512ELj8ELj10EEvPKT_Pi
		.amdhsa_group_segment_fixed_size 16448
		.amdhsa_private_segment_fixed_size 0
		.amdhsa_kernarg_size 16
		.amdhsa_user_sgpr_count 15
		.amdhsa_user_sgpr_dispatch_ptr 0
		.amdhsa_user_sgpr_queue_ptr 0
		.amdhsa_user_sgpr_kernarg_segment_ptr 1
		.amdhsa_user_sgpr_dispatch_id 0
		.amdhsa_user_sgpr_private_segment_size 0
		.amdhsa_wavefront_size32 1
		.amdhsa_uses_dynamic_stack 0
		.amdhsa_enable_private_segment 0
		.amdhsa_system_sgpr_workgroup_id_x 1
		.amdhsa_system_sgpr_workgroup_id_y 0
		.amdhsa_system_sgpr_workgroup_id_z 0
		.amdhsa_system_sgpr_workgroup_info 0
		.amdhsa_system_vgpr_workitem_id 0
		.amdhsa_next_free_vgpr 42
		.amdhsa_next_free_sgpr 18
		.amdhsa_reserve_vcc 1
		.amdhsa_float_round_mode_32 0
		.amdhsa_float_round_mode_16_64 0
		.amdhsa_float_denorm_mode_32 3
		.amdhsa_float_denorm_mode_16_64 3
		.amdhsa_dx10_clamp 1
		.amdhsa_ieee_mode 1
		.amdhsa_fp16_overflow 0
		.amdhsa_workgroup_processor_mode 1
		.amdhsa_memory_ordered 1
		.amdhsa_forward_progress 0
		.amdhsa_shared_vgpr_count 0
		.amdhsa_exception_fp_ieee_invalid_op 0
		.amdhsa_exception_fp_denorm_src 0
		.amdhsa_exception_fp_ieee_div_zero 0
		.amdhsa_exception_fp_ieee_overflow 0
		.amdhsa_exception_fp_ieee_underflow 0
		.amdhsa_exception_fp_ieee_inexact 0
		.amdhsa_exception_int_div_zero 0
	.end_amdhsa_kernel
	.section	.text._Z11rank_kernelIiLj4ELb0EL18RadixRankAlgorithm1ELj512ELj8ELj10EEvPKT_Pi,"axG",@progbits,_Z11rank_kernelIiLj4ELb0EL18RadixRankAlgorithm1ELj512ELj8ELj10EEvPKT_Pi,comdat
.Lfunc_end37:
	.size	_Z11rank_kernelIiLj4ELb0EL18RadixRankAlgorithm1ELj512ELj8ELj10EEvPKT_Pi, .Lfunc_end37-_Z11rank_kernelIiLj4ELb0EL18RadixRankAlgorithm1ELj512ELj8ELj10EEvPKT_Pi
                                        ; -- End function
	.section	.AMDGPU.csdata,"",@progbits
; Kernel info:
; codeLenInByte = 1748
; NumSgprs: 20
; NumVgprs: 42
; ScratchSize: 0
; MemoryBound: 0
; FloatMode: 240
; IeeeMode: 1
; LDSByteSize: 16448 bytes/workgroup (compile time only)
; SGPRBlocks: 2
; VGPRBlocks: 5
; NumSGPRsForWavesPerEU: 20
; NumVGPRsForWavesPerEU: 42
; Occupancy: 16
; WaveLimiterHint : 0
; COMPUTE_PGM_RSRC2:SCRATCH_EN: 0
; COMPUTE_PGM_RSRC2:USER_SGPR: 15
; COMPUTE_PGM_RSRC2:TRAP_HANDLER: 0
; COMPUTE_PGM_RSRC2:TGID_X_EN: 1
; COMPUTE_PGM_RSRC2:TGID_Y_EN: 0
; COMPUTE_PGM_RSRC2:TGID_Z_EN: 0
; COMPUTE_PGM_RSRC2:TIDIG_COMP_CNT: 0
	.section	.text._Z11rank_kernelIiLj4ELb0EL18RadixRankAlgorithm2ELj512ELj8ELj10EEvPKT_Pi,"axG",@progbits,_Z11rank_kernelIiLj4ELb0EL18RadixRankAlgorithm2ELj512ELj8ELj10EEvPKT_Pi,comdat
	.protected	_Z11rank_kernelIiLj4ELb0EL18RadixRankAlgorithm2ELj512ELj8ELj10EEvPKT_Pi ; -- Begin function _Z11rank_kernelIiLj4ELb0EL18RadixRankAlgorithm2ELj512ELj8ELj10EEvPKT_Pi
	.globl	_Z11rank_kernelIiLj4ELb0EL18RadixRankAlgorithm2ELj512ELj8ELj10EEvPKT_Pi
	.p2align	8
	.type	_Z11rank_kernelIiLj4ELb0EL18RadixRankAlgorithm2ELj512ELj8ELj10EEvPKT_Pi,@function
_Z11rank_kernelIiLj4ELb0EL18RadixRankAlgorithm2ELj512ELj8ELj10EEvPKT_Pi: ; @_Z11rank_kernelIiLj4ELb0EL18RadixRankAlgorithm2ELj512ELj8ELj10EEvPKT_Pi
; %bb.0:
	s_clause 0x1
	s_load_b128 s[8:11], s[0:1], 0x0
	s_load_b32 s5, s[0:1], 0x1c
	v_and_b32_e32 v3, 0x3ff, v0
	s_mov_b32 s17, 0
	s_lshl_b32 s16, s15, 12
	v_mbcnt_lo_u32_b32 v4, -1, 0
	s_lshl_b64 s[12:13], s[16:17], 2
	v_lshlrev_b32_e32 v1, 5, v3
	v_bfe_u32 v5, v0, 10, 10
	v_bfe_u32 v14, v0, 20, 10
	v_and_b32_e32 v15, 15, v4
	v_add_nc_u32_e32 v17, -1, v4
	v_cmp_eq_u32_e32 vcc_lo, 0, v4
	v_lshlrev_b32_e32 v0, 3, v3
	v_lshlrev_b32_e32 v2, 2, v3
	v_cmp_lt_u32_e64 s2, 3, v15
	v_cmp_lt_u32_e64 s3, 7, v15
	;; [unrolled: 1-line block ×3, first 2 shown]
	v_and_b32_e32 v16, 16, v4
	s_waitcnt lgkmcnt(0)
	s_add_u32 s0, s8, s12
	s_addc_u32 s1, s9, s13
	s_clause 0x1
	global_load_b128 v[6:9], v1, s[0:1]
	global_load_b128 v[10:13], v1, s[0:1] offset:16
	s_lshr_b32 s4, s5, 16
	s_and_b32 s5, s5, 0xffff
	v_mad_u32_u24 v5, v14, s4, v5
	v_mov_b32_e32 v1, 0
	v_cmp_eq_u32_e64 s0, 0, v15
	v_cmp_lt_u32_e64 s1, 1, v15
	v_cmp_eq_u32_e64 s4, 0, v16
	v_mad_u64_u32 v[14:15], null, v5, s5, v[3:4]
	v_cmp_gt_i32_e64 s5, 0, v17
	v_or_b32_e32 v16, 31, v3
	v_lshrrev_b32_e32 v5, 3, v3
	s_delay_alu instid0(VALU_DEP_3) | instskip(SKIP_1) | instid1(VALU_DEP_4)
	v_cndmask_b32_e64 v4, v17, v4, s5
	v_cmp_gt_u32_e64 s5, 16, v3
	v_cmp_eq_u32_e64 s7, v16, v3
	s_delay_alu instid0(VALU_DEP_3) | instskip(SKIP_2) | instid1(VALU_DEP_2)
	v_lshlrev_b32_e32 v3, 2, v4
	v_and_b32_e32 v4, 60, v5
	v_lshrrev_b32_e32 v5, 5, v14
	v_add_nc_u32_e32 v14, -4, v4
	s_waitcnt vmcnt(1)
	v_xor_b32_e32 v6, 0x80000000, v6
	v_xor_b32_e32 v7, 0x80000000, v7
	;; [unrolled: 1-line block ×4, first 2 shown]
	s_waitcnt vmcnt(0)
	v_xor_b32_e32 v10, 0x80000000, v10
	v_xor_b32_e32 v11, 0x80000000, v11
	;; [unrolled: 1-line block ×4, first 2 shown]
	s_branch .LBB38_2
.LBB38_1:                               ;   in Loop: Header=BB38_2 Depth=1
	s_add_i32 s17, s17, 1
	s_delay_alu instid0(SALU_CYCLE_1)
	s_cmp_eq_u32 s17, 10
	s_cbranch_scc1 .LBB38_26
.LBB38_2:                               ; =>This Loop Header: Depth=1
                                        ;     Child Loop BB38_4 Depth 2
	s_mov_b32 s14, -4
	s_mov_b32 s15, 28
	s_branch .LBB38_4
.LBB38_3:                               ;   in Loop: Header=BB38_4 Depth=2
	s_or_b32 exec_lo, exec_lo, s8
	s_waitcnt lgkmcnt(0)
	v_add_nc_u32_e32 v38, v39, v38
	s_add_i32 s14, s14, 4
	s_add_i32 s15, s15, -4
	s_cmp_lt_u32 s14, 28
	ds_bpermute_b32 v38, v3, v38
	s_waitcnt lgkmcnt(0)
	v_cndmask_b32_e32 v38, v38, v39, vcc_lo
	ds_store_b32 v2, v38 offset:64
	s_waitcnt lgkmcnt(0)
	s_barrier
	buffer_gl0_inv
	s_cbranch_scc0 .LBB38_1
.LBB38_4:                               ;   Parent Loop BB38_2 Depth=1
                                        ; =>  This Inner Loop Header: Depth=2
	v_lshlrev_b32_e32 v15, s15, v6
	ds_store_b32 v2, v1 offset:64
	s_waitcnt lgkmcnt(0)
	s_barrier
	buffer_gl0_inv
	v_bfe_u32 v16, v15, 28, 1
	v_lshrrev_b32_e32 v18, 28, v15
	v_not_b32_e32 v21, v15
	; wave barrier
	s_delay_alu instid0(VALU_DEP_3) | instskip(NEXT) | instid1(VALU_DEP_1)
	v_add_co_u32 v16, s8, v16, -1
	v_cndmask_b32_e64 v17, 0, 1, s8
	s_delay_alu instid0(VALU_DEP_4) | instskip(SKIP_1) | instid1(VALU_DEP_3)
	v_lshlrev_b32_e32 v19, 30, v18
	v_lshlrev_b32_e32 v20, 29, v18
	v_cmp_ne_u32_e64 s8, 0, v17
	s_delay_alu instid0(VALU_DEP_3) | instskip(SKIP_1) | instid1(VALU_DEP_4)
	v_not_b32_e32 v17, v19
	v_cmp_gt_i32_e64 s9, 0, v19
	v_not_b32_e32 v19, v20
	s_delay_alu instid0(VALU_DEP_4) | instskip(NEXT) | instid1(VALU_DEP_4)
	v_xor_b32_e32 v16, s8, v16
	v_ashrrev_i32_e32 v17, 31, v17
	v_cmp_gt_i32_e64 s8, 0, v20
	s_delay_alu instid0(VALU_DEP_4) | instskip(NEXT) | instid1(VALU_DEP_4)
	v_ashrrev_i32_e32 v19, 31, v19
	v_and_b32_e32 v16, exec_lo, v16
	s_delay_alu instid0(VALU_DEP_4) | instskip(SKIP_3) | instid1(VALU_DEP_4)
	v_xor_b32_e32 v17, s9, v17
	v_cmp_gt_i32_e64 s9, 0, v15
	v_ashrrev_i32_e32 v15, 31, v21
	v_xor_b32_e32 v19, s8, v19
	v_and_b32_e32 v16, v16, v17
	s_delay_alu instid0(VALU_DEP_3) | instskip(NEXT) | instid1(VALU_DEP_2)
	v_xor_b32_e32 v15, s9, v15
	v_and_b32_e32 v16, v16, v19
	s_delay_alu instid0(VALU_DEP_1) | instskip(SKIP_1) | instid1(VALU_DEP_2)
	v_and_b32_e32 v17, v16, v15
	v_mad_u32_u24 v16, v18, 17, v5
	v_mbcnt_lo_u32_b32 v15, v17, 0
	v_cmp_ne_u32_e64 s9, 0, v17
	s_delay_alu instid0(VALU_DEP_3) | instskip(NEXT) | instid1(VALU_DEP_3)
	v_lshl_add_u32 v16, v16, 2, 64
	v_cmp_eq_u32_e64 s8, 0, v15
	s_delay_alu instid0(VALU_DEP_1) | instskip(NEXT) | instid1(SALU_CYCLE_1)
	s_and_b32 s9, s9, s8
	s_and_saveexec_b32 s8, s9
	s_cbranch_execz .LBB38_6
; %bb.5:                                ;   in Loop: Header=BB38_4 Depth=2
	v_bcnt_u32_b32 v17, v17, 0
	ds_store_b32 v16, v17
.LBB38_6:                               ;   in Loop: Header=BB38_4 Depth=2
	s_or_b32 exec_lo, exec_lo, s8
	v_lshlrev_b32_e32 v17, s15, v7
	; wave barrier
	s_delay_alu instid0(VALU_DEP_1) | instskip(SKIP_2) | instid1(VALU_DEP_3)
	v_bfe_u32 v18, v17, 28, 1
	v_lshrrev_b32_e32 v19, 28, v17
	v_not_b32_e32 v23, v17
	v_add_co_u32 v18, s8, v18, -1
	s_delay_alu instid0(VALU_DEP_1) | instskip(NEXT) | instid1(VALU_DEP_4)
	v_cndmask_b32_e64 v20, 0, 1, s8
	v_lshlrev_b32_e32 v21, 30, v19
	v_lshlrev_b32_e32 v22, 29, v19
	s_delay_alu instid0(VALU_DEP_3) | instskip(NEXT) | instid1(VALU_DEP_3)
	v_cmp_ne_u32_e64 s8, 0, v20
	v_not_b32_e32 v20, v21
	v_cmp_gt_i32_e64 s9, 0, v21
	s_delay_alu instid0(VALU_DEP_4) | instskip(NEXT) | instid1(VALU_DEP_4)
	v_not_b32_e32 v21, v22
	v_xor_b32_e32 v18, s8, v18
	s_delay_alu instid0(VALU_DEP_4) | instskip(SKIP_1) | instid1(VALU_DEP_4)
	v_ashrrev_i32_e32 v20, 31, v20
	v_cmp_gt_i32_e64 s8, 0, v22
	v_ashrrev_i32_e32 v21, 31, v21
	s_delay_alu instid0(VALU_DEP_4) | instskip(NEXT) | instid1(VALU_DEP_4)
	v_and_b32_e32 v18, exec_lo, v18
	v_xor_b32_e32 v20, s9, v20
	v_cmp_gt_i32_e64 s9, 0, v17
	v_mul_u32_u24_e32 v17, 17, v19
	v_ashrrev_i32_e32 v19, 31, v23
	v_xor_b32_e32 v21, s8, v21
	v_and_b32_e32 v18, v18, v20
	s_delay_alu instid0(VALU_DEP_4) | instskip(NEXT) | instid1(VALU_DEP_4)
	v_add_lshl_u32 v22, v5, v17, 2
	v_xor_b32_e32 v19, s9, v19
	s_delay_alu instid0(VALU_DEP_3) | instskip(SKIP_3) | instid1(VALU_DEP_2)
	v_and_b32_e32 v18, v18, v21
	ds_load_b32 v17, v22 offset:64
	; wave barrier
	v_and_b32_e32 v20, v18, v19
	v_add_nc_u32_e32 v19, 64, v22
	v_mbcnt_lo_u32_b32 v18, v20, 0
	v_cmp_ne_u32_e64 s9, 0, v20
	s_delay_alu instid0(VALU_DEP_2) | instskip(NEXT) | instid1(VALU_DEP_1)
	v_cmp_eq_u32_e64 s8, 0, v18
	s_and_b32 s9, s9, s8
	s_delay_alu instid0(SALU_CYCLE_1)
	s_and_saveexec_b32 s8, s9
	s_cbranch_execz .LBB38_8
; %bb.7:                                ;   in Loop: Header=BB38_4 Depth=2
	s_waitcnt lgkmcnt(0)
	v_bcnt_u32_b32 v20, v20, v17
	ds_store_b32 v19, v20
.LBB38_8:                               ;   in Loop: Header=BB38_4 Depth=2
	s_or_b32 exec_lo, exec_lo, s8
	v_lshlrev_b32_e32 v20, s15, v8
	; wave barrier
	s_delay_alu instid0(VALU_DEP_1) | instskip(SKIP_2) | instid1(VALU_DEP_3)
	v_bfe_u32 v21, v20, 28, 1
	v_lshrrev_b32_e32 v22, 28, v20
	v_not_b32_e32 v26, v20
	v_add_co_u32 v21, s8, v21, -1
	s_delay_alu instid0(VALU_DEP_1) | instskip(NEXT) | instid1(VALU_DEP_4)
	v_cndmask_b32_e64 v23, 0, 1, s8
	v_lshlrev_b32_e32 v24, 30, v22
	v_lshlrev_b32_e32 v25, 29, v22
	s_delay_alu instid0(VALU_DEP_3) | instskip(NEXT) | instid1(VALU_DEP_3)
	v_cmp_ne_u32_e64 s8, 0, v23
	v_not_b32_e32 v23, v24
	v_cmp_gt_i32_e64 s9, 0, v24
	s_delay_alu instid0(VALU_DEP_4) | instskip(NEXT) | instid1(VALU_DEP_4)
	v_not_b32_e32 v24, v25
	v_xor_b32_e32 v21, s8, v21
	s_delay_alu instid0(VALU_DEP_4) | instskip(SKIP_1) | instid1(VALU_DEP_4)
	v_ashrrev_i32_e32 v23, 31, v23
	v_cmp_gt_i32_e64 s8, 0, v25
	v_ashrrev_i32_e32 v24, 31, v24
	s_delay_alu instid0(VALU_DEP_4) | instskip(NEXT) | instid1(VALU_DEP_4)
	v_and_b32_e32 v21, exec_lo, v21
	v_xor_b32_e32 v23, s9, v23
	v_cmp_gt_i32_e64 s9, 0, v20
	v_mul_u32_u24_e32 v20, 17, v22
	v_ashrrev_i32_e32 v22, 31, v26
	v_xor_b32_e32 v24, s8, v24
	v_and_b32_e32 v21, v21, v23
	s_delay_alu instid0(VALU_DEP_4) | instskip(NEXT) | instid1(VALU_DEP_4)
	v_add_lshl_u32 v25, v5, v20, 2
	v_xor_b32_e32 v22, s9, v22
	s_delay_alu instid0(VALU_DEP_3) | instskip(SKIP_3) | instid1(VALU_DEP_2)
	v_and_b32_e32 v21, v21, v24
	ds_load_b32 v20, v25 offset:64
	; wave barrier
	v_and_b32_e32 v23, v21, v22
	v_add_nc_u32_e32 v22, 64, v25
	v_mbcnt_lo_u32_b32 v21, v23, 0
	v_cmp_ne_u32_e64 s9, 0, v23
	s_delay_alu instid0(VALU_DEP_2) | instskip(NEXT) | instid1(VALU_DEP_1)
	v_cmp_eq_u32_e64 s8, 0, v21
	s_and_b32 s9, s9, s8
	s_delay_alu instid0(SALU_CYCLE_1)
	s_and_saveexec_b32 s8, s9
	s_cbranch_execz .LBB38_10
; %bb.9:                                ;   in Loop: Header=BB38_4 Depth=2
	s_waitcnt lgkmcnt(0)
	v_bcnt_u32_b32 v23, v23, v20
	ds_store_b32 v22, v23
.LBB38_10:                              ;   in Loop: Header=BB38_4 Depth=2
	s_or_b32 exec_lo, exec_lo, s8
	v_lshlrev_b32_e32 v23, s15, v9
	; wave barrier
	s_delay_alu instid0(VALU_DEP_1) | instskip(SKIP_2) | instid1(VALU_DEP_3)
	v_bfe_u32 v24, v23, 28, 1
	v_lshrrev_b32_e32 v25, 28, v23
	v_not_b32_e32 v29, v23
	v_add_co_u32 v24, s8, v24, -1
	s_delay_alu instid0(VALU_DEP_1) | instskip(NEXT) | instid1(VALU_DEP_4)
	v_cndmask_b32_e64 v26, 0, 1, s8
	v_lshlrev_b32_e32 v27, 30, v25
	v_lshlrev_b32_e32 v28, 29, v25
	s_delay_alu instid0(VALU_DEP_3) | instskip(NEXT) | instid1(VALU_DEP_3)
	v_cmp_ne_u32_e64 s8, 0, v26
	v_not_b32_e32 v26, v27
	v_cmp_gt_i32_e64 s9, 0, v27
	s_delay_alu instid0(VALU_DEP_4) | instskip(NEXT) | instid1(VALU_DEP_4)
	v_not_b32_e32 v27, v28
	v_xor_b32_e32 v24, s8, v24
	s_delay_alu instid0(VALU_DEP_4) | instskip(SKIP_1) | instid1(VALU_DEP_4)
	v_ashrrev_i32_e32 v26, 31, v26
	v_cmp_gt_i32_e64 s8, 0, v28
	v_ashrrev_i32_e32 v27, 31, v27
	s_delay_alu instid0(VALU_DEP_4) | instskip(NEXT) | instid1(VALU_DEP_4)
	v_and_b32_e32 v24, exec_lo, v24
	v_xor_b32_e32 v26, s9, v26
	v_cmp_gt_i32_e64 s9, 0, v23
	v_mul_u32_u24_e32 v23, 17, v25
	v_ashrrev_i32_e32 v25, 31, v29
	v_xor_b32_e32 v27, s8, v27
	v_and_b32_e32 v24, v24, v26
	s_delay_alu instid0(VALU_DEP_4) | instskip(NEXT) | instid1(VALU_DEP_4)
	v_add_lshl_u32 v28, v5, v23, 2
	v_xor_b32_e32 v25, s9, v25
	s_delay_alu instid0(VALU_DEP_3) | instskip(SKIP_3) | instid1(VALU_DEP_2)
	v_and_b32_e32 v24, v24, v27
	ds_load_b32 v23, v28 offset:64
	; wave barrier
	v_and_b32_e32 v26, v24, v25
	v_add_nc_u32_e32 v25, 64, v28
	v_mbcnt_lo_u32_b32 v24, v26, 0
	v_cmp_ne_u32_e64 s9, 0, v26
	s_delay_alu instid0(VALU_DEP_2) | instskip(NEXT) | instid1(VALU_DEP_1)
	v_cmp_eq_u32_e64 s8, 0, v24
	s_and_b32 s9, s9, s8
	s_delay_alu instid0(SALU_CYCLE_1)
	s_and_saveexec_b32 s8, s9
	s_cbranch_execz .LBB38_12
; %bb.11:                               ;   in Loop: Header=BB38_4 Depth=2
	s_waitcnt lgkmcnt(0)
	v_bcnt_u32_b32 v26, v26, v23
	ds_store_b32 v25, v26
.LBB38_12:                              ;   in Loop: Header=BB38_4 Depth=2
	s_or_b32 exec_lo, exec_lo, s8
	v_lshlrev_b32_e32 v26, s15, v10
	; wave barrier
	s_delay_alu instid0(VALU_DEP_1) | instskip(SKIP_2) | instid1(VALU_DEP_3)
	v_bfe_u32 v27, v26, 28, 1
	v_lshrrev_b32_e32 v28, 28, v26
	v_not_b32_e32 v32, v26
	v_add_co_u32 v27, s8, v27, -1
	s_delay_alu instid0(VALU_DEP_1) | instskip(NEXT) | instid1(VALU_DEP_4)
	v_cndmask_b32_e64 v29, 0, 1, s8
	v_lshlrev_b32_e32 v30, 30, v28
	v_lshlrev_b32_e32 v31, 29, v28
	s_delay_alu instid0(VALU_DEP_3) | instskip(NEXT) | instid1(VALU_DEP_3)
	v_cmp_ne_u32_e64 s8, 0, v29
	v_not_b32_e32 v29, v30
	v_cmp_gt_i32_e64 s9, 0, v30
	s_delay_alu instid0(VALU_DEP_4) | instskip(NEXT) | instid1(VALU_DEP_4)
	v_not_b32_e32 v30, v31
	v_xor_b32_e32 v27, s8, v27
	s_delay_alu instid0(VALU_DEP_4) | instskip(SKIP_1) | instid1(VALU_DEP_4)
	v_ashrrev_i32_e32 v29, 31, v29
	v_cmp_gt_i32_e64 s8, 0, v31
	v_ashrrev_i32_e32 v30, 31, v30
	s_delay_alu instid0(VALU_DEP_4) | instskip(NEXT) | instid1(VALU_DEP_4)
	v_and_b32_e32 v27, exec_lo, v27
	v_xor_b32_e32 v29, s9, v29
	v_cmp_gt_i32_e64 s9, 0, v26
	v_mul_u32_u24_e32 v26, 17, v28
	v_ashrrev_i32_e32 v28, 31, v32
	v_xor_b32_e32 v30, s8, v30
	v_and_b32_e32 v27, v27, v29
	s_delay_alu instid0(VALU_DEP_4) | instskip(NEXT) | instid1(VALU_DEP_4)
	v_add_lshl_u32 v31, v5, v26, 2
	v_xor_b32_e32 v28, s9, v28
	s_delay_alu instid0(VALU_DEP_3) | instskip(SKIP_3) | instid1(VALU_DEP_2)
	v_and_b32_e32 v27, v27, v30
	ds_load_b32 v26, v31 offset:64
	; wave barrier
	v_and_b32_e32 v29, v27, v28
	v_add_nc_u32_e32 v28, 64, v31
	v_mbcnt_lo_u32_b32 v27, v29, 0
	v_cmp_ne_u32_e64 s9, 0, v29
	s_delay_alu instid0(VALU_DEP_2) | instskip(NEXT) | instid1(VALU_DEP_1)
	v_cmp_eq_u32_e64 s8, 0, v27
	s_and_b32 s9, s9, s8
	s_delay_alu instid0(SALU_CYCLE_1)
	s_and_saveexec_b32 s8, s9
	s_cbranch_execz .LBB38_14
; %bb.13:                               ;   in Loop: Header=BB38_4 Depth=2
	s_waitcnt lgkmcnt(0)
	v_bcnt_u32_b32 v29, v29, v26
	ds_store_b32 v28, v29
.LBB38_14:                              ;   in Loop: Header=BB38_4 Depth=2
	;; [unrolled: 53-line block ×5, first 2 shown]
	s_or_b32 exec_lo, exec_lo, s8
	; wave barrier
	s_waitcnt lgkmcnt(0)
	s_barrier
	buffer_gl0_inv
	ds_load_b32 v38, v2 offset:64
	s_waitcnt lgkmcnt(0)
	v_mov_b32_dpp v39, v38 row_shr:1 row_mask:0xf bank_mask:0xf
	s_delay_alu instid0(VALU_DEP_1) | instskip(NEXT) | instid1(VALU_DEP_1)
	v_cndmask_b32_e64 v39, v39, 0, s0
	v_add_nc_u32_e32 v38, v39, v38
	s_delay_alu instid0(VALU_DEP_1) | instskip(NEXT) | instid1(VALU_DEP_1)
	v_mov_b32_dpp v39, v38 row_shr:2 row_mask:0xf bank_mask:0xf
	v_cndmask_b32_e64 v39, 0, v39, s1
	s_delay_alu instid0(VALU_DEP_1) | instskip(NEXT) | instid1(VALU_DEP_1)
	v_add_nc_u32_e32 v38, v38, v39
	v_mov_b32_dpp v39, v38 row_shr:4 row_mask:0xf bank_mask:0xf
	s_delay_alu instid0(VALU_DEP_1) | instskip(NEXT) | instid1(VALU_DEP_1)
	v_cndmask_b32_e64 v39, 0, v39, s2
	v_add_nc_u32_e32 v38, v38, v39
	s_delay_alu instid0(VALU_DEP_1) | instskip(NEXT) | instid1(VALU_DEP_1)
	v_mov_b32_dpp v39, v38 row_shr:8 row_mask:0xf bank_mask:0xf
	v_cndmask_b32_e64 v39, 0, v39, s3
	s_delay_alu instid0(VALU_DEP_1) | instskip(SKIP_3) | instid1(VALU_DEP_1)
	v_add_nc_u32_e32 v38, v38, v39
	ds_swizzle_b32 v39, v38 offset:swizzle(BROADCAST,32,15)
	s_waitcnt lgkmcnt(0)
	v_cndmask_b32_e64 v39, v39, 0, s4
	v_add_nc_u32_e32 v38, v38, v39
	s_and_saveexec_b32 s8, s7
	s_delay_alu instid0(SALU_CYCLE_1)
	s_xor_b32 s8, exec_lo, s8
	s_cbranch_execz .LBB38_22
; %bb.21:                               ;   in Loop: Header=BB38_4 Depth=2
	ds_store_b32 v4, v38
.LBB38_22:                              ;   in Loop: Header=BB38_4 Depth=2
	s_or_b32 exec_lo, exec_lo, s8
	s_waitcnt lgkmcnt(0)
	s_barrier
	buffer_gl0_inv
	s_and_saveexec_b32 s8, s5
	s_cbranch_execz .LBB38_24
; %bb.23:                               ;   in Loop: Header=BB38_4 Depth=2
	ds_load_b32 v39, v2
	s_waitcnt lgkmcnt(0)
	v_mov_b32_dpp v40, v39 row_shr:1 row_mask:0xf bank_mask:0xf
	s_delay_alu instid0(VALU_DEP_1) | instskip(NEXT) | instid1(VALU_DEP_1)
	v_cndmask_b32_e64 v40, v40, 0, s0
	v_add_nc_u32_e32 v39, v40, v39
	s_delay_alu instid0(VALU_DEP_1) | instskip(NEXT) | instid1(VALU_DEP_1)
	v_mov_b32_dpp v40, v39 row_shr:2 row_mask:0xf bank_mask:0xf
	v_cndmask_b32_e64 v40, 0, v40, s1
	s_delay_alu instid0(VALU_DEP_1) | instskip(NEXT) | instid1(VALU_DEP_1)
	v_add_nc_u32_e32 v39, v39, v40
	v_mov_b32_dpp v40, v39 row_shr:4 row_mask:0xf bank_mask:0xf
	s_delay_alu instid0(VALU_DEP_1) | instskip(NEXT) | instid1(VALU_DEP_1)
	v_cndmask_b32_e64 v40, 0, v40, s2
	v_add_nc_u32_e32 v39, v39, v40
	s_delay_alu instid0(VALU_DEP_1) | instskip(NEXT) | instid1(VALU_DEP_1)
	v_mov_b32_dpp v40, v39 row_shr:8 row_mask:0xf bank_mask:0xf
	v_cndmask_b32_e64 v40, 0, v40, s3
	s_delay_alu instid0(VALU_DEP_1)
	v_add_nc_u32_e32 v39, v39, v40
	ds_store_b32 v2, v39
.LBB38_24:                              ;   in Loop: Header=BB38_4 Depth=2
	s_or_b32 exec_lo, exec_lo, s8
	v_mov_b32_e32 v39, 0
	s_waitcnt lgkmcnt(0)
	s_barrier
	buffer_gl0_inv
	s_and_saveexec_b32 s8, s6
	s_cbranch_execz .LBB38_3
; %bb.25:                               ;   in Loop: Header=BB38_4 Depth=2
	ds_load_b32 v39, v14
	s_branch .LBB38_3
.LBB38_26:
	ds_load_b32 v1, v16
	ds_load_b32 v2, v19
	;; [unrolled: 1-line block ×8, first 2 shown]
	v_lshlrev_b32_e32 v9, 2, v0
	s_add_u32 s0, s10, s12
	s_addc_u32 s1, s11, s13
	s_waitcnt lgkmcnt(7)
	v_add_nc_u32_e32 v0, v1, v15
	s_waitcnt lgkmcnt(6)
	v_add3_u32 v1, v18, v17, v2
	s_waitcnt lgkmcnt(5)
	v_add3_u32 v2, v21, v20, v3
	s_waitcnt lgkmcnt(4)
	v_add3_u32 v3, v24, v23, v4
	s_waitcnt lgkmcnt(3)
	v_add3_u32 v4, v27, v26, v5
	s_waitcnt lgkmcnt(2)
	v_add3_u32 v5, v30, v29, v6
	s_waitcnt lgkmcnt(1)
	v_add3_u32 v6, v33, v32, v7
	s_waitcnt lgkmcnt(0)
	v_add3_u32 v7, v36, v35, v8
	s_clause 0x1
	global_store_b128 v9, v[0:3], s[0:1]
	global_store_b128 v9, v[4:7], s[0:1] offset:16
	s_nop 0
	s_sendmsg sendmsg(MSG_DEALLOC_VGPRS)
	s_endpgm
	.section	.rodata,"a",@progbits
	.p2align	6, 0x0
	.amdhsa_kernel _Z11rank_kernelIiLj4ELb0EL18RadixRankAlgorithm2ELj512ELj8ELj10EEvPKT_Pi
		.amdhsa_group_segment_fixed_size 2112
		.amdhsa_private_segment_fixed_size 0
		.amdhsa_kernarg_size 272
		.amdhsa_user_sgpr_count 15
		.amdhsa_user_sgpr_dispatch_ptr 0
		.amdhsa_user_sgpr_queue_ptr 0
		.amdhsa_user_sgpr_kernarg_segment_ptr 1
		.amdhsa_user_sgpr_dispatch_id 0
		.amdhsa_user_sgpr_private_segment_size 0
		.amdhsa_wavefront_size32 1
		.amdhsa_uses_dynamic_stack 0
		.amdhsa_enable_private_segment 0
		.amdhsa_system_sgpr_workgroup_id_x 1
		.amdhsa_system_sgpr_workgroup_id_y 0
		.amdhsa_system_sgpr_workgroup_id_z 0
		.amdhsa_system_sgpr_workgroup_info 0
		.amdhsa_system_vgpr_workitem_id 2
		.amdhsa_next_free_vgpr 42
		.amdhsa_next_free_sgpr 18
		.amdhsa_reserve_vcc 1
		.amdhsa_float_round_mode_32 0
		.amdhsa_float_round_mode_16_64 0
		.amdhsa_float_denorm_mode_32 3
		.amdhsa_float_denorm_mode_16_64 3
		.amdhsa_dx10_clamp 1
		.amdhsa_ieee_mode 1
		.amdhsa_fp16_overflow 0
		.amdhsa_workgroup_processor_mode 1
		.amdhsa_memory_ordered 1
		.amdhsa_forward_progress 0
		.amdhsa_shared_vgpr_count 0
		.amdhsa_exception_fp_ieee_invalid_op 0
		.amdhsa_exception_fp_denorm_src 0
		.amdhsa_exception_fp_ieee_div_zero 0
		.amdhsa_exception_fp_ieee_overflow 0
		.amdhsa_exception_fp_ieee_underflow 0
		.amdhsa_exception_fp_ieee_inexact 0
		.amdhsa_exception_int_div_zero 0
	.end_amdhsa_kernel
	.section	.text._Z11rank_kernelIiLj4ELb0EL18RadixRankAlgorithm2ELj512ELj8ELj10EEvPKT_Pi,"axG",@progbits,_Z11rank_kernelIiLj4ELb0EL18RadixRankAlgorithm2ELj512ELj8ELj10EEvPKT_Pi,comdat
.Lfunc_end38:
	.size	_Z11rank_kernelIiLj4ELb0EL18RadixRankAlgorithm2ELj512ELj8ELj10EEvPKT_Pi, .Lfunc_end38-_Z11rank_kernelIiLj4ELb0EL18RadixRankAlgorithm2ELj512ELj8ELj10EEvPKT_Pi
                                        ; -- End function
	.section	.AMDGPU.csdata,"",@progbits
; Kernel info:
; codeLenInByte = 3044
; NumSgprs: 20
; NumVgprs: 42
; ScratchSize: 0
; MemoryBound: 0
; FloatMode: 240
; IeeeMode: 1
; LDSByteSize: 2112 bytes/workgroup (compile time only)
; SGPRBlocks: 2
; VGPRBlocks: 5
; NumSGPRsForWavesPerEU: 20
; NumVGPRsForWavesPerEU: 42
; Occupancy: 16
; WaveLimiterHint : 0
; COMPUTE_PGM_RSRC2:SCRATCH_EN: 0
; COMPUTE_PGM_RSRC2:USER_SGPR: 15
; COMPUTE_PGM_RSRC2:TRAP_HANDLER: 0
; COMPUTE_PGM_RSRC2:TGID_X_EN: 1
; COMPUTE_PGM_RSRC2:TGID_Y_EN: 0
; COMPUTE_PGM_RSRC2:TGID_Z_EN: 0
; COMPUTE_PGM_RSRC2:TIDIG_COMP_CNT: 2
	.section	.text._Z11rank_kernelIiLj4ELb0EL18RadixRankAlgorithm0ELj512ELj16ELj10EEvPKT_Pi,"axG",@progbits,_Z11rank_kernelIiLj4ELb0EL18RadixRankAlgorithm0ELj512ELj16ELj10EEvPKT_Pi,comdat
	.protected	_Z11rank_kernelIiLj4ELb0EL18RadixRankAlgorithm0ELj512ELj16ELj10EEvPKT_Pi ; -- Begin function _Z11rank_kernelIiLj4ELb0EL18RadixRankAlgorithm0ELj512ELj16ELj10EEvPKT_Pi
	.globl	_Z11rank_kernelIiLj4ELb0EL18RadixRankAlgorithm0ELj512ELj16ELj10EEvPKT_Pi
	.p2align	8
	.type	_Z11rank_kernelIiLj4ELb0EL18RadixRankAlgorithm0ELj512ELj16ELj10EEvPKT_Pi,@function
_Z11rank_kernelIiLj4ELb0EL18RadixRankAlgorithm0ELj512ELj16ELj10EEvPKT_Pi: ; @_Z11rank_kernelIiLj4ELb0EL18RadixRankAlgorithm0ELj512ELj16ELj10EEvPKT_Pi
; %bb.0:
	s_load_b128 s[8:11], s[0:1], 0x0
	s_mov_b32 s17, 0
	s_lshl_b32 s16, s15, 13
	v_dual_mov_b32 v2, 0 :: v_dual_lshlrev_b32 v1, 6, v0
	s_lshl_b64 s[12:13], s[16:17], 2
	v_mbcnt_lo_u32_b32 v5, -1, 0
	v_or_b32_e32 v24, 31, v0
	v_lshrrev_b32_e32 v26, 3, v0
	v_lshlrev_b32_e32 v3, 5, v0
	v_cmp_gt_u32_e32 vcc_lo, 16, v0
	v_add_nc_u32_e32 v25, -1, v5
	v_and_b32_e32 v6, 15, v5
	v_and_b32_e32 v23, 16, v5
	v_lshlrev_b32_e32 v4, 2, v0
	v_cmp_eq_u32_e64 s7, v24, v0
	v_cmp_gt_i32_e64 s5, 0, v25
	v_cmp_eq_u32_e64 s2, 0, v6
	v_cmp_lt_u32_e64 s3, 1, v6
	v_cmp_lt_u32_e64 s4, 3, v6
	s_waitcnt lgkmcnt(0)
	s_add_u32 s0, s8, s12
	s_addc_u32 s1, s9, s13
	v_cndmask_b32_e64 v25, v25, v5, s5
	s_clause 0x3
	global_load_b128 v[7:10], v1, s[0:1]
	global_load_b128 v[11:14], v1, s[0:1] offset:16
	global_load_b128 v[15:18], v1, s[0:1] offset:32
	;; [unrolled: 1-line block ×3, first 2 shown]
	v_lshlrev_b32_e32 v1, 4, v0
	v_cmp_lt_u32_e64 s0, 31, v0
	v_cmp_eq_u32_e64 s1, 0, v5
	v_cmp_lt_u32_e64 s5, 7, v6
	v_cmp_eq_u32_e64 s6, 0, v23
	v_and_b32_e32 v5, 60, v26
	v_lshlrev_b32_e32 v6, 2, v25
	v_or_b32_e32 v23, 0xfffffe00, v0
	s_waitcnt vmcnt(3)
	v_xor_b32_e32 v7, 0x80000000, v7
	v_xor_b32_e32 v8, 0x80000000, v8
	v_xor_b32_e32 v9, 0x80000000, v9
	v_xor_b32_e32 v10, 0x80000000, v10
	s_waitcnt vmcnt(2)
	v_xor_b32_e32 v11, 0x80000000, v11
	v_xor_b32_e32 v12, 0x80000000, v12
	v_xor_b32_e32 v13, 0x80000000, v13
	v_xor_b32_e32 v14, 0x80000000, v14
	;; [unrolled: 5-line block ×4, first 2 shown]
	s_branch .LBB39_2
.LBB39_1:                               ;   in Loop: Header=BB39_2 Depth=1
	s_add_i32 s17, s17, 1
	s_delay_alu instid0(SALU_CYCLE_1)
	s_cmp_eq_u32 s17, 10
	s_cbranch_scc1 .LBB39_12
.LBB39_2:                               ; =>This Loop Header: Depth=1
                                        ;     Child Loop BB39_4 Depth 2
                                        ;       Child Loop BB39_5 Depth 3
	s_mov_b32 s9, 0
	s_branch .LBB39_4
.LBB39_3:                               ;   in Loop: Header=BB39_4 Depth=2
	s_or_b32 exec_lo, exec_lo, s8
	s_waitcnt lgkmcnt(0)
	v_add_nc_u32_e32 v56, v57, v56
	ds_load_b32 v60, v2 offset:16444
	ds_load_2addr_b32 v[58:59], v3 offset1:1
	s_add_i32 s8, s9, 4
	s_cmp_lt_u32 s9, 28
	s_mov_b32 s9, s8
	ds_bpermute_b32 v56, v6, v56
	s_waitcnt lgkmcnt(0)
	v_cndmask_b32_e64 v61, v56, v57, s1
	ds_load_2addr_b32 v[56:57], v3 offset0:2 offset1:3
	v_lshl_add_u32 v62, v60, 16, v61
	ds_load_2addr_b32 v[60:61], v3 offset0:4 offset1:5
	ds_load_b32 v63, v3 offset:24
	v_add_nc_u32_e32 v58, v62, v58
	s_delay_alu instid0(VALU_DEP_1) | instskip(SKIP_1) | instid1(VALU_DEP_1)
	v_add_nc_u32_e32 v59, v59, v58
	s_waitcnt lgkmcnt(2)
	v_add_nc_u32_e32 v56, v56, v59
	s_delay_alu instid0(VALU_DEP_1) | instskip(SKIP_1) | instid1(VALU_DEP_1)
	v_add_nc_u32_e32 v57, v57, v56
	s_waitcnt lgkmcnt(1)
	;; [unrolled: 4-line block ×3, first 2 shown]
	v_add_nc_u32_e32 v63, v63, v61
	ds_store_2addr_b32 v3, v62, v58 offset1:1
	ds_store_2addr_b32 v3, v59, v56 offset0:2 offset1:3
	ds_store_2addr_b32 v3, v57, v60 offset0:4 offset1:5
	;; [unrolled: 1-line block ×3, first 2 shown]
	s_waitcnt lgkmcnt(0)
	s_barrier
	buffer_gl0_inv
	s_cbranch_scc0 .LBB39_1
.LBB39_4:                               ;   Parent Loop BB39_2 Depth=1
                                        ; =>  This Loop Header: Depth=2
                                        ;       Child Loop BB39_5 Depth 3
	v_dual_mov_b32 v24, v23 :: v_dual_mov_b32 v25, v4
	s_mov_b32 s14, 0
.LBB39_5:                               ;   Parent Loop BB39_2 Depth=1
                                        ;     Parent Loop BB39_4 Depth=2
                                        ; =>    This Inner Loop Header: Depth=3
	s_delay_alu instid0(VALU_DEP_1) | instskip(SKIP_3) | instid1(VALU_DEP_1)
	v_add_nc_u32_e32 v24, 0x200, v24
	ds_store_b32 v25, v2
	v_add_nc_u32_e32 v25, 0x800, v25
	v_cmp_lt_u32_e64 s8, 0xdff, v24
	s_or_b32 s14, s8, s14
	s_delay_alu instid0(SALU_CYCLE_1)
	s_and_not1_b32 exec_lo, exec_lo, s14
	s_cbranch_execnz .LBB39_5
; %bb.6:                                ;   in Loop: Header=BB39_4 Depth=2
	s_or_b32 exec_lo, exec_lo, s14
	s_sub_i32 s8, 28, s9
	s_delay_alu instid0(SALU_CYCLE_1) | instskip(NEXT) | instid1(VALU_DEP_1)
	v_lshlrev_b32_e32 v24, s8, v7
	v_lshrrev_b32_e32 v25, 19, v24
	s_delay_alu instid0(VALU_DEP_1) | instskip(NEXT) | instid1(VALU_DEP_1)
	v_and_or_b32 v25, 0xe00, v25, v0
	v_alignbit_b32 v24, v25, v24, 31
	v_lshlrev_b32_e32 v25, s8, v8
	s_delay_alu instid0(VALU_DEP_2) | instskip(NEXT) | instid1(VALU_DEP_2)
	v_lshlrev_b32_e32 v24, 1, v24
	v_lshrrev_b32_e32 v26, 19, v25
	ds_load_u16 v27, v24
	v_and_or_b32 v26, 0xe00, v26, v0
	s_delay_alu instid0(VALU_DEP_1) | instskip(NEXT) | instid1(VALU_DEP_1)
	v_alignbit_b32 v25, v26, v25, 31
	v_lshlrev_b32_e32 v25, 1, v25
	s_waitcnt lgkmcnt(0)
	v_add_nc_u16 v26, v27, 1
	ds_store_b16 v24, v26
	ds_load_u16 v29, v25
	v_lshlrev_b32_e32 v26, s8, v9
	s_delay_alu instid0(VALU_DEP_1) | instskip(NEXT) | instid1(VALU_DEP_1)
	v_lshrrev_b32_e32 v28, 19, v26
	v_and_or_b32 v28, 0xe00, v28, v0
	s_delay_alu instid0(VALU_DEP_1) | instskip(SKIP_2) | instid1(VALU_DEP_2)
	v_alignbit_b32 v26, v28, v26, 31
	s_waitcnt lgkmcnt(0)
	v_add_nc_u16 v28, v29, 1
	v_lshlrev_b32_e32 v26, 1, v26
	ds_store_b16 v25, v28
	ds_load_u16 v31, v26
	v_lshlrev_b32_e32 v28, s8, v10
	s_delay_alu instid0(VALU_DEP_1) | instskip(NEXT) | instid1(VALU_DEP_1)
	v_lshrrev_b32_e32 v30, 19, v28
	v_and_or_b32 v30, 0xe00, v30, v0
	s_delay_alu instid0(VALU_DEP_1) | instskip(SKIP_2) | instid1(VALU_DEP_2)
	v_alignbit_b32 v28, v30, v28, 31
	s_waitcnt lgkmcnt(0)
	v_add_nc_u16 v30, v31, 1
	v_lshlrev_b32_e32 v28, 1, v28
	;; [unrolled: 11-line block ×9, first 2 shown]
	v_lshlrev_b32_e32 v43, s8, v18
	ds_store_b16 v41, v46
	ds_load_u16 v48, v44
	v_lshrrev_b32_e32 v46, 19, v43
	s_delay_alu instid0(VALU_DEP_1) | instskip(NEXT) | instid1(VALU_DEP_1)
	v_and_or_b32 v46, 0xe00, v46, v0
	v_alignbit_b32 v43, v46, v43, 31
	s_delay_alu instid0(VALU_DEP_1)
	v_lshlrev_b32_e32 v47, 1, v43
	s_waitcnt lgkmcnt(0)
	v_add_nc_u16 v46, v48, 1
	ds_store_b16 v44, v46
	ds_load_u16 v43, v47
	v_lshlrev_b32_e32 v46, s8, v19
	s_delay_alu instid0(VALU_DEP_1) | instskip(NEXT) | instid1(VALU_DEP_1)
	v_lshrrev_b32_e32 v49, 19, v46
	v_and_or_b32 v49, 0xe00, v49, v0
	s_delay_alu instid0(VALU_DEP_1) | instskip(SKIP_2) | instid1(VALU_DEP_2)
	v_alignbit_b32 v46, v49, v46, 31
	s_waitcnt lgkmcnt(0)
	v_add_nc_u16 v49, v43, 1
	v_lshlrev_b32_e32 v50, 1, v46
	ds_store_b16 v47, v49
	ds_load_u16 v46, v50
	v_lshlrev_b32_e32 v49, s8, v20
	s_delay_alu instid0(VALU_DEP_1) | instskip(NEXT) | instid1(VALU_DEP_1)
	v_lshrrev_b32_e32 v51, 19, v49
	v_and_or_b32 v51, 0xe00, v51, v0
	s_delay_alu instid0(VALU_DEP_1) | instskip(SKIP_2) | instid1(VALU_DEP_2)
	v_alignbit_b32 v49, v51, v49, 31
	s_waitcnt lgkmcnt(0)
	v_add_nc_u16 v51, v46, 1
	v_lshlrev_b32_e32 v52, 1, v49
	;; [unrolled: 11-line block ×4, first 2 shown]
	ds_store_b16 v54, v56
	ds_load_u16 v53, v55
	s_waitcnt lgkmcnt(0)
	v_add_nc_u16 v56, v53, 1
	ds_store_b16 v55, v56
	s_waitcnt lgkmcnt(0)
	s_barrier
	buffer_gl0_inv
	ds_load_2addr_b32 v[56:57], v3 offset1:1
	ds_load_2addr_b32 v[58:59], v3 offset0:2 offset1:3
	ds_load_2addr_b32 v[60:61], v3 offset0:4 offset1:5
	;; [unrolled: 1-line block ×3, first 2 shown]
	s_waitcnt lgkmcnt(3)
	v_add_nc_u32_e32 v56, v57, v56
	s_waitcnt lgkmcnt(2)
	s_delay_alu instid0(VALU_DEP_1) | instskip(SKIP_1) | instid1(VALU_DEP_1)
	v_add3_u32 v56, v56, v58, v59
	s_waitcnt lgkmcnt(1)
	v_add3_u32 v56, v56, v60, v61
	s_waitcnt lgkmcnt(0)
	s_delay_alu instid0(VALU_DEP_1) | instskip(NEXT) | instid1(VALU_DEP_1)
	v_add3_u32 v56, v56, v62, v63
	v_mov_b32_dpp v57, v56 row_shr:1 row_mask:0xf bank_mask:0xf
	s_delay_alu instid0(VALU_DEP_1) | instskip(NEXT) | instid1(VALU_DEP_1)
	v_cndmask_b32_e64 v57, v57, 0, s2
	v_add_nc_u32_e32 v56, v57, v56
	s_delay_alu instid0(VALU_DEP_1) | instskip(NEXT) | instid1(VALU_DEP_1)
	v_mov_b32_dpp v57, v56 row_shr:2 row_mask:0xf bank_mask:0xf
	v_cndmask_b32_e64 v57, 0, v57, s3
	s_delay_alu instid0(VALU_DEP_1) | instskip(NEXT) | instid1(VALU_DEP_1)
	v_add_nc_u32_e32 v56, v56, v57
	v_mov_b32_dpp v57, v56 row_shr:4 row_mask:0xf bank_mask:0xf
	s_delay_alu instid0(VALU_DEP_1) | instskip(NEXT) | instid1(VALU_DEP_1)
	v_cndmask_b32_e64 v57, 0, v57, s4
	v_add_nc_u32_e32 v56, v56, v57
	s_delay_alu instid0(VALU_DEP_1) | instskip(NEXT) | instid1(VALU_DEP_1)
	v_mov_b32_dpp v57, v56 row_shr:8 row_mask:0xf bank_mask:0xf
	v_cndmask_b32_e64 v57, 0, v57, s5
	s_delay_alu instid0(VALU_DEP_1) | instskip(SKIP_3) | instid1(VALU_DEP_1)
	v_add_nc_u32_e32 v56, v56, v57
	ds_swizzle_b32 v57, v56 offset:swizzle(BROADCAST,32,15)
	s_waitcnt lgkmcnt(0)
	v_cndmask_b32_e64 v57, v57, 0, s6
	v_add_nc_u32_e32 v56, v56, v57
	s_and_saveexec_b32 s8, s7
	s_cbranch_execz .LBB39_8
; %bb.7:                                ;   in Loop: Header=BB39_4 Depth=2
	ds_store_b32 v5, v56 offset:16384
.LBB39_8:                               ;   in Loop: Header=BB39_4 Depth=2
	s_or_b32 exec_lo, exec_lo, s8
	s_waitcnt lgkmcnt(0)
	s_barrier
	buffer_gl0_inv
	s_and_saveexec_b32 s8, vcc_lo
	s_cbranch_execz .LBB39_10
; %bb.9:                                ;   in Loop: Header=BB39_4 Depth=2
	ds_load_b32 v57, v4 offset:16384
	s_waitcnt lgkmcnt(0)
	v_mov_b32_dpp v58, v57 row_shr:1 row_mask:0xf bank_mask:0xf
	s_delay_alu instid0(VALU_DEP_1) | instskip(NEXT) | instid1(VALU_DEP_1)
	v_cndmask_b32_e64 v58, v58, 0, s2
	v_add_nc_u32_e32 v57, v58, v57
	s_delay_alu instid0(VALU_DEP_1) | instskip(NEXT) | instid1(VALU_DEP_1)
	v_mov_b32_dpp v58, v57 row_shr:2 row_mask:0xf bank_mask:0xf
	v_cndmask_b32_e64 v58, 0, v58, s3
	s_delay_alu instid0(VALU_DEP_1) | instskip(NEXT) | instid1(VALU_DEP_1)
	v_add_nc_u32_e32 v57, v57, v58
	v_mov_b32_dpp v58, v57 row_shr:4 row_mask:0xf bank_mask:0xf
	s_delay_alu instid0(VALU_DEP_1) | instskip(NEXT) | instid1(VALU_DEP_1)
	v_cndmask_b32_e64 v58, 0, v58, s4
	v_add_nc_u32_e32 v57, v57, v58
	s_delay_alu instid0(VALU_DEP_1) | instskip(NEXT) | instid1(VALU_DEP_1)
	v_mov_b32_dpp v58, v57 row_shr:8 row_mask:0xf bank_mask:0xf
	v_cndmask_b32_e64 v58, 0, v58, s5
	s_delay_alu instid0(VALU_DEP_1)
	v_add_nc_u32_e32 v57, v57, v58
	ds_store_b32 v4, v57 offset:16384
.LBB39_10:                              ;   in Loop: Header=BB39_4 Depth=2
	s_or_b32 exec_lo, exec_lo, s8
	v_mov_b32_e32 v57, 0
	s_waitcnt lgkmcnt(0)
	s_barrier
	buffer_gl0_inv
	s_and_saveexec_b32 s8, s0
	s_cbranch_execz .LBB39_3
; %bb.11:                               ;   in Loop: Header=BB39_4 Depth=2
	ds_load_b32 v57, v5 offset:16380
	s_branch .LBB39_3
.LBB39_12:
	v_and_b32_e32 v0, 0xffff, v27
	v_and_b32_e32 v10, 0xffff, v29
	ds_load_u16 v2, v55
	ds_load_u16 v3, v54
	;; [unrolled: 1-line block ×16, first 2 shown]
	v_and_b32_e32 v14, 0xffff, v31
	v_and_b32_e32 v15, 0xffff, v33
	v_and_b32_e32 v4, 0xffff, v53
	v_and_b32_e32 v30, 0xffff, v51
	v_and_b32_e32 v31, 0xffff, v49
	v_and_b32_e32 v32, 0xffff, v46
	v_and_b32_e32 v33, 0xffff, v43
	v_and_b32_e32 v18, 0xffff, v35
	v_and_b32_e32 v11, 0xffff, v37
	v_and_b32_e32 v12, 0xffff, v38
	v_and_b32_e32 v13, 0xffff, v40
	v_and_b32_e32 v6, 0xffff, v42
	v_and_b32_e32 v7, 0xffff, v45
	v_and_b32_e32 v8, 0xffff, v48
	s_waitcnt lgkmcnt(15)
	v_add_nc_u32_e32 v5, v2, v4
	s_waitcnt lgkmcnt(14)
	v_add_nc_u32_e32 v4, v3, v30
	s_waitcnt lgkmcnt(13)
	v_add_nc_u32_e32 v3, v9, v31
	s_waitcnt lgkmcnt(12)
	v_add_nc_u32_e32 v2, v16, v32
	s_waitcnt lgkmcnt(11)
	v_add_nc_u32_e32 v9, v17, v33
	s_waitcnt lgkmcnt(3)
	v_add_nc_u32_e32 v17, v28, v15
	s_waitcnt lgkmcnt(2)
	v_add_nc_u32_e32 v16, v26, v14
	s_waitcnt lgkmcnt(1)
	v_add_nc_u32_e32 v15, v25, v10
	s_waitcnt lgkmcnt(0)
	v_add_nc_u32_e32 v14, v24, v0
	v_lshlrev_b32_e32 v0, 2, v1
	v_add_nc_u32_e32 v13, v22, v13
	v_add_nc_u32_e32 v12, v23, v12
	;; [unrolled: 1-line block ×7, first 2 shown]
	s_add_u32 s0, s10, s12
	s_addc_u32 s1, s11, s13
	s_clause 0x3
	global_store_b128 v0, v[14:17], s[0:1]
	global_store_b128 v0, v[10:13], s[0:1] offset:16
	global_store_b128 v0, v[6:9], s[0:1] offset:32
	;; [unrolled: 1-line block ×3, first 2 shown]
	s_nop 0
	s_sendmsg sendmsg(MSG_DEALLOC_VGPRS)
	s_endpgm
	.section	.rodata,"a",@progbits
	.p2align	6, 0x0
	.amdhsa_kernel _Z11rank_kernelIiLj4ELb0EL18RadixRankAlgorithm0ELj512ELj16ELj10EEvPKT_Pi
		.amdhsa_group_segment_fixed_size 16448
		.amdhsa_private_segment_fixed_size 0
		.amdhsa_kernarg_size 16
		.amdhsa_user_sgpr_count 15
		.amdhsa_user_sgpr_dispatch_ptr 0
		.amdhsa_user_sgpr_queue_ptr 0
		.amdhsa_user_sgpr_kernarg_segment_ptr 1
		.amdhsa_user_sgpr_dispatch_id 0
		.amdhsa_user_sgpr_private_segment_size 0
		.amdhsa_wavefront_size32 1
		.amdhsa_uses_dynamic_stack 0
		.amdhsa_enable_private_segment 0
		.amdhsa_system_sgpr_workgroup_id_x 1
		.amdhsa_system_sgpr_workgroup_id_y 0
		.amdhsa_system_sgpr_workgroup_id_z 0
		.amdhsa_system_sgpr_workgroup_info 0
		.amdhsa_system_vgpr_workitem_id 0
		.amdhsa_next_free_vgpr 64
		.amdhsa_next_free_sgpr 18
		.amdhsa_reserve_vcc 1
		.amdhsa_float_round_mode_32 0
		.amdhsa_float_round_mode_16_64 0
		.amdhsa_float_denorm_mode_32 3
		.amdhsa_float_denorm_mode_16_64 3
		.amdhsa_dx10_clamp 1
		.amdhsa_ieee_mode 1
		.amdhsa_fp16_overflow 0
		.amdhsa_workgroup_processor_mode 1
		.amdhsa_memory_ordered 1
		.amdhsa_forward_progress 0
		.amdhsa_shared_vgpr_count 0
		.amdhsa_exception_fp_ieee_invalid_op 0
		.amdhsa_exception_fp_denorm_src 0
		.amdhsa_exception_fp_ieee_div_zero 0
		.amdhsa_exception_fp_ieee_overflow 0
		.amdhsa_exception_fp_ieee_underflow 0
		.amdhsa_exception_fp_ieee_inexact 0
		.amdhsa_exception_int_div_zero 0
	.end_amdhsa_kernel
	.section	.text._Z11rank_kernelIiLj4ELb0EL18RadixRankAlgorithm0ELj512ELj16ELj10EEvPKT_Pi,"axG",@progbits,_Z11rank_kernelIiLj4ELb0EL18RadixRankAlgorithm0ELj512ELj16ELj10EEvPKT_Pi,comdat
.Lfunc_end39:
	.size	_Z11rank_kernelIiLj4ELb0EL18RadixRankAlgorithm0ELj512ELj16ELj10EEvPKT_Pi, .Lfunc_end39-_Z11rank_kernelIiLj4ELb0EL18RadixRankAlgorithm0ELj512ELj16ELj10EEvPKT_Pi
                                        ; -- End function
	.section	.AMDGPU.csdata,"",@progbits
; Kernel info:
; codeLenInByte = 2604
; NumSgprs: 20
; NumVgprs: 64
; ScratchSize: 0
; MemoryBound: 0
; FloatMode: 240
; IeeeMode: 1
; LDSByteSize: 16448 bytes/workgroup (compile time only)
; SGPRBlocks: 2
; VGPRBlocks: 7
; NumSGPRsForWavesPerEU: 20
; NumVGPRsForWavesPerEU: 64
; Occupancy: 16
; WaveLimiterHint : 0
; COMPUTE_PGM_RSRC2:SCRATCH_EN: 0
; COMPUTE_PGM_RSRC2:USER_SGPR: 15
; COMPUTE_PGM_RSRC2:TRAP_HANDLER: 0
; COMPUTE_PGM_RSRC2:TGID_X_EN: 1
; COMPUTE_PGM_RSRC2:TGID_Y_EN: 0
; COMPUTE_PGM_RSRC2:TGID_Z_EN: 0
; COMPUTE_PGM_RSRC2:TIDIG_COMP_CNT: 0
	.section	.text._Z11rank_kernelIiLj4ELb0EL18RadixRankAlgorithm1ELj512ELj16ELj10EEvPKT_Pi,"axG",@progbits,_Z11rank_kernelIiLj4ELb0EL18RadixRankAlgorithm1ELj512ELj16ELj10EEvPKT_Pi,comdat
	.protected	_Z11rank_kernelIiLj4ELb0EL18RadixRankAlgorithm1ELj512ELj16ELj10EEvPKT_Pi ; -- Begin function _Z11rank_kernelIiLj4ELb0EL18RadixRankAlgorithm1ELj512ELj16ELj10EEvPKT_Pi
	.globl	_Z11rank_kernelIiLj4ELb0EL18RadixRankAlgorithm1ELj512ELj16ELj10EEvPKT_Pi
	.p2align	8
	.type	_Z11rank_kernelIiLj4ELb0EL18RadixRankAlgorithm1ELj512ELj16ELj10EEvPKT_Pi,@function
_Z11rank_kernelIiLj4ELb0EL18RadixRankAlgorithm1ELj512ELj16ELj10EEvPKT_Pi: ; @_Z11rank_kernelIiLj4ELb0EL18RadixRankAlgorithm1ELj512ELj16ELj10EEvPKT_Pi
; %bb.0:
	s_load_b128 s[8:11], s[0:1], 0x0
	s_mov_b32 s17, 0
	s_lshl_b32 s16, s15, 13
	v_dual_mov_b32 v10, 0 :: v_dual_lshlrev_b32 v9, 6, v0
	s_lshl_b64 s[12:13], s[16:17], 2
	v_mbcnt_lo_u32_b32 v13, -1, 0
	v_or_b32_e32 v16, 31, v0
	v_lshrrev_b32_e32 v18, 3, v0
	v_lshlrev_b32_e32 v11, 5, v0
	v_cmp_gt_u32_e32 vcc_lo, 16, v0
	v_add_nc_u32_e32 v17, -1, v13
	v_and_b32_e32 v14, 15, v13
	v_and_b32_e32 v15, 16, v13
	v_lshlrev_b32_e32 v12, 2, v0
	v_cmp_eq_u32_e64 s7, v16, v0
	v_cmp_gt_i32_e64 s5, 0, v17
	v_cmp_eq_u32_e64 s2, 0, v14
	v_cmp_lt_u32_e64 s3, 1, v14
	v_cmp_lt_u32_e64 s4, 3, v14
	s_waitcnt lgkmcnt(0)
	s_add_u32 s0, s8, s12
	s_addc_u32 s1, s9, s13
	v_cndmask_b32_e64 v17, v17, v13, s5
	s_clause 0x3
	global_load_b128 v[1:4], v9, s[0:1]
	global_load_b128 v[5:8], v9, s[0:1] offset:16
	global_load_b128 v[23:26], v9, s[0:1] offset:32
	;; [unrolled: 1-line block ×3, first 2 shown]
	v_lshlrev_b32_e32 v9, 4, v0
	v_cmp_lt_u32_e64 s0, 31, v0
	v_cmp_eq_u32_e64 s1, 0, v13
	v_cmp_lt_u32_e64 s5, 7, v14
	v_cmp_eq_u32_e64 s6, 0, v15
	v_and_b32_e32 v13, 60, v18
	v_lshlrev_b32_e32 v14, 2, v17
	v_or_b32_e32 v31, 0xfffffe00, v0
	s_waitcnt vmcnt(3)
	v_xor_b32_e32 v15, 0x80000000, v1
	v_xor_b32_e32 v16, 0x80000000, v2
	v_xor_b32_e32 v17, 0x80000000, v3
	v_xor_b32_e32 v18, 0x80000000, v4
	s_waitcnt vmcnt(2)
	v_xor_b32_e32 v19, 0x80000000, v5
	v_xor_b32_e32 v20, 0x80000000, v6
	v_xor_b32_e32 v21, 0x80000000, v7
	v_xor_b32_e32 v22, 0x80000000, v8
	;; [unrolled: 5-line block ×4, first 2 shown]
	s_branch .LBB40_2
.LBB40_1:                               ;   in Loop: Header=BB40_2 Depth=1
	s_add_i32 s17, s17, 1
	s_delay_alu instid0(SALU_CYCLE_1)
	s_cmp_eq_u32 s17, 10
	s_cbranch_scc1 .LBB40_12
.LBB40_2:                               ; =>This Loop Header: Depth=1
                                        ;     Child Loop BB40_4 Depth 2
                                        ;       Child Loop BB40_5 Depth 3
	s_mov_b32 s9, 0
	s_branch .LBB40_4
.LBB40_3:                               ;   in Loop: Header=BB40_4 Depth=2
	s_or_b32 exec_lo, exec_lo, s8
	s_waitcnt lgkmcnt(0)
	v_add_nc_u32_e32 v2, v64, v2
	ds_load_b32 v65, v10 offset:16444
	s_add_i32 s8, s9, 4
	s_cmp_lt_u32 s9, 28
	s_mov_b32 s9, s8
	ds_bpermute_b32 v2, v14, v2
	s_waitcnt lgkmcnt(0)
	v_cndmask_b32_e64 v2, v2, v64, s1
	s_delay_alu instid0(VALU_DEP_1) | instskip(NEXT) | instid1(VALU_DEP_1)
	v_lshl_add_u32 v2, v65, 16, v2
	v_add_nc_u32_e32 v7, v2, v7
	s_delay_alu instid0(VALU_DEP_1) | instskip(NEXT) | instid1(VALU_DEP_1)
	v_add_nc_u32_e32 v8, v7, v8
	v_add_nc_u32_e32 v5, v8, v5
	s_delay_alu instid0(VALU_DEP_1) | instskip(NEXT) | instid1(VALU_DEP_1)
	v_add_nc_u32_e32 v6, v5, v6
	;; [unrolled: 3-line block ×3, first 2 shown]
	v_add_nc_u32_e32 v1, v4, v1
	ds_store_2addr_b32 v11, v2, v7 offset1:1
	ds_store_2addr_b32 v11, v8, v5 offset0:2 offset1:3
	ds_store_2addr_b32 v11, v6, v3 offset0:4 offset1:5
	;; [unrolled: 1-line block ×3, first 2 shown]
	s_waitcnt lgkmcnt(0)
	s_barrier
	buffer_gl0_inv
	s_cbranch_scc0 .LBB40_1
.LBB40_4:                               ;   Parent Loop BB40_2 Depth=1
                                        ; =>  This Loop Header: Depth=2
                                        ;       Child Loop BB40_5 Depth 3
	v_dual_mov_b32 v1, v31 :: v_dual_mov_b32 v2, v12
	s_mov_b32 s14, 0
.LBB40_5:                               ;   Parent Loop BB40_2 Depth=1
                                        ;     Parent Loop BB40_4 Depth=2
                                        ; =>    This Inner Loop Header: Depth=3
	s_delay_alu instid0(VALU_DEP_1) | instskip(SKIP_3) | instid1(VALU_DEP_1)
	v_add_nc_u32_e32 v1, 0x200, v1
	ds_store_b32 v2, v10
	v_add_nc_u32_e32 v2, 0x800, v2
	v_cmp_lt_u32_e64 s8, 0xdff, v1
	s_or_b32 s14, s8, s14
	s_delay_alu instid0(SALU_CYCLE_1)
	s_and_not1_b32 exec_lo, exec_lo, s14
	s_cbranch_execnz .LBB40_5
; %bb.6:                                ;   in Loop: Header=BB40_4 Depth=2
	s_or_b32 exec_lo, exec_lo, s14
	s_sub_i32 s8, 28, s9
	s_delay_alu instid0(SALU_CYCLE_1) | instskip(NEXT) | instid1(VALU_DEP_1)
	v_lshlrev_b32_e32 v1, s8, v15
	v_lshrrev_b32_e32 v2, 19, v1
	s_delay_alu instid0(VALU_DEP_1) | instskip(NEXT) | instid1(VALU_DEP_1)
	v_and_or_b32 v2, 0xe00, v2, v0
	v_alignbit_b32 v1, v2, v1, 31
	s_delay_alu instid0(VALU_DEP_1) | instskip(SKIP_3) | instid1(VALU_DEP_1)
	v_lshlrev_b32_e32 v32, 1, v1
	v_lshlrev_b32_e32 v1, s8, v16
	ds_load_u16 v35, v32
	v_lshrrev_b32_e32 v2, 19, v1
	v_and_or_b32 v2, 0xe00, v2, v0
	s_delay_alu instid0(VALU_DEP_1) | instskip(NEXT) | instid1(VALU_DEP_1)
	v_alignbit_b32 v1, v2, v1, 31
	v_lshlrev_b32_e32 v33, 1, v1
	v_lshlrev_b32_e32 v1, s8, v17
	s_waitcnt lgkmcnt(0)
	v_add_nc_u16 v2, v35, 1
	ds_store_b16 v32, v2
	ds_load_u16 v37, v33
	v_lshrrev_b32_e32 v2, 19, v1
	s_delay_alu instid0(VALU_DEP_1) | instskip(NEXT) | instid1(VALU_DEP_1)
	v_and_or_b32 v2, 0xe00, v2, v0
	v_alignbit_b32 v1, v2, v1, 31
	s_delay_alu instid0(VALU_DEP_1)
	v_lshlrev_b32_e32 v34, 1, v1
	v_lshlrev_b32_e32 v1, s8, v18
	s_waitcnt lgkmcnt(0)
	v_add_nc_u16 v2, v37, 1
	ds_store_b16 v33, v2
	ds_load_u16 v39, v34
	v_lshrrev_b32_e32 v2, 19, v1
	s_delay_alu instid0(VALU_DEP_1) | instskip(NEXT) | instid1(VALU_DEP_1)
	v_and_or_b32 v2, 0xe00, v2, v0
	v_alignbit_b32 v1, v2, v1, 31
	s_delay_alu instid0(VALU_DEP_1)
	v_lshlrev_b32_e32 v36, 1, v1
	v_lshlrev_b32_e32 v1, s8, v19
	s_waitcnt lgkmcnt(0)
	v_add_nc_u16 v2, v39, 1
	ds_store_b16 v34, v2
	ds_load_u16 v41, v36
	v_lshrrev_b32_e32 v2, 19, v1
	s_delay_alu instid0(VALU_DEP_1) | instskip(NEXT) | instid1(VALU_DEP_1)
	v_and_or_b32 v2, 0xe00, v2, v0
	v_alignbit_b32 v1, v2, v1, 31
	s_delay_alu instid0(VALU_DEP_1)
	v_lshlrev_b32_e32 v38, 1, v1
	v_lshlrev_b32_e32 v1, s8, v20
	s_waitcnt lgkmcnt(0)
	v_add_nc_u16 v2, v41, 1
	ds_store_b16 v36, v2
	ds_load_u16 v43, v38
	v_lshrrev_b32_e32 v2, 19, v1
	s_delay_alu instid0(VALU_DEP_1) | instskip(NEXT) | instid1(VALU_DEP_1)
	v_and_or_b32 v2, 0xe00, v2, v0
	v_alignbit_b32 v1, v2, v1, 31
	s_delay_alu instid0(VALU_DEP_1)
	v_lshlrev_b32_e32 v40, 1, v1
	v_lshlrev_b32_e32 v1, s8, v21
	s_waitcnt lgkmcnt(0)
	v_add_nc_u16 v2, v43, 1
	ds_store_b16 v38, v2
	ds_load_u16 v45, v40
	v_lshrrev_b32_e32 v2, 19, v1
	s_delay_alu instid0(VALU_DEP_1) | instskip(NEXT) | instid1(VALU_DEP_1)
	v_and_or_b32 v2, 0xe00, v2, v0
	v_alignbit_b32 v1, v2, v1, 31
	s_delay_alu instid0(VALU_DEP_1)
	v_lshlrev_b32_e32 v42, 1, v1
	v_lshlrev_b32_e32 v1, s8, v22
	s_waitcnt lgkmcnt(0)
	v_add_nc_u16 v2, v45, 1
	ds_store_b16 v40, v2
	ds_load_u16 v46, v42
	v_lshrrev_b32_e32 v2, 19, v1
	s_delay_alu instid0(VALU_DEP_1) | instskip(NEXT) | instid1(VALU_DEP_1)
	v_and_or_b32 v2, 0xe00, v2, v0
	v_alignbit_b32 v1, v2, v1, 31
	s_delay_alu instid0(VALU_DEP_1)
	v_lshlrev_b32_e32 v44, 1, v1
	v_lshlrev_b32_e32 v1, s8, v23
	s_waitcnt lgkmcnt(0)
	v_add_nc_u16 v2, v46, 1
	ds_store_b16 v42, v2
	ds_load_u16 v48, v44
	v_lshrrev_b32_e32 v2, 19, v1
	s_delay_alu instid0(VALU_DEP_1) | instskip(NEXT) | instid1(VALU_DEP_1)
	v_and_or_b32 v2, 0xe00, v2, v0
	v_alignbit_b32 v1, v2, v1, 31
	s_delay_alu instid0(VALU_DEP_1)
	v_lshlrev_b32_e32 v47, 1, v1
	v_lshlrev_b32_e32 v1, s8, v24
	s_waitcnt lgkmcnt(0)
	v_add_nc_u16 v2, v48, 1
	ds_store_b16 v44, v2
	ds_load_u16 v50, v47
	v_lshrrev_b32_e32 v2, 19, v1
	s_delay_alu instid0(VALU_DEP_1) | instskip(NEXT) | instid1(VALU_DEP_1)
	v_and_or_b32 v2, 0xe00, v2, v0
	v_alignbit_b32 v1, v2, v1, 31
	s_delay_alu instid0(VALU_DEP_1)
	v_lshlrev_b32_e32 v49, 1, v1
	v_lshlrev_b32_e32 v1, s8, v25
	s_waitcnt lgkmcnt(0)
	v_add_nc_u16 v2, v50, 1
	ds_store_b16 v47, v2
	ds_load_u16 v53, v49
	v_lshrrev_b32_e32 v2, 19, v1
	s_delay_alu instid0(VALU_DEP_1) | instskip(NEXT) | instid1(VALU_DEP_1)
	v_and_or_b32 v2, 0xe00, v2, v0
	v_alignbit_b32 v1, v2, v1, 31
	s_delay_alu instid0(VALU_DEP_1)
	v_lshlrev_b32_e32 v52, 1, v1
	v_lshlrev_b32_e32 v1, s8, v26
	s_waitcnt lgkmcnt(0)
	v_add_nc_u16 v2, v53, 1
	ds_store_b16 v49, v2
	ds_load_u16 v56, v52
	v_lshrrev_b32_e32 v2, 19, v1
	s_delay_alu instid0(VALU_DEP_1) | instskip(NEXT) | instid1(VALU_DEP_1)
	v_and_or_b32 v2, 0xe00, v2, v0
	v_alignbit_b32 v1, v2, v1, 31
	s_delay_alu instid0(VALU_DEP_1)
	v_lshlrev_b32_e32 v55, 1, v1
	v_lshlrev_b32_e32 v1, s8, v27
	s_waitcnt lgkmcnt(0)
	v_add_nc_u16 v2, v56, 1
	ds_store_b16 v52, v2
	ds_load_u16 v51, v55
	v_lshrrev_b32_e32 v2, 19, v1
	s_delay_alu instid0(VALU_DEP_1) | instskip(NEXT) | instid1(VALU_DEP_1)
	v_and_or_b32 v2, 0xe00, v2, v0
	v_alignbit_b32 v1, v2, v1, 31
	s_delay_alu instid0(VALU_DEP_1)
	v_lshlrev_b32_e32 v58, 1, v1
	v_lshlrev_b32_e32 v1, s8, v28
	s_waitcnt lgkmcnt(0)
	v_add_nc_u16 v2, v51, 1
	ds_store_b16 v55, v2
	ds_load_u16 v54, v58
	v_lshrrev_b32_e32 v2, 19, v1
	s_delay_alu instid0(VALU_DEP_1) | instskip(NEXT) | instid1(VALU_DEP_1)
	v_and_or_b32 v2, 0xe00, v2, v0
	v_alignbit_b32 v1, v2, v1, 31
	s_delay_alu instid0(VALU_DEP_1)
	v_lshlrev_b32_e32 v60, 1, v1
	v_lshlrev_b32_e32 v1, s8, v29
	s_waitcnt lgkmcnt(0)
	v_add_nc_u16 v2, v54, 1
	ds_store_b16 v58, v2
	ds_load_u16 v57, v60
	v_lshrrev_b32_e32 v2, 19, v1
	s_delay_alu instid0(VALU_DEP_1) | instskip(NEXT) | instid1(VALU_DEP_1)
	v_and_or_b32 v2, 0xe00, v2, v0
	v_alignbit_b32 v1, v2, v1, 31
	s_delay_alu instid0(VALU_DEP_1)
	v_lshlrev_b32_e32 v62, 1, v1
	v_lshlrev_b32_e32 v1, s8, v30
	s_waitcnt lgkmcnt(0)
	v_add_nc_u16 v2, v57, 1
	ds_store_b16 v60, v2
	ds_load_u16 v59, v62
	v_lshrrev_b32_e32 v2, 19, v1
	s_delay_alu instid0(VALU_DEP_1) | instskip(NEXT) | instid1(VALU_DEP_1)
	v_and_or_b32 v2, 0xe00, v2, v0
	v_alignbit_b32 v1, v2, v1, 31
	s_delay_alu instid0(VALU_DEP_1)
	v_lshlrev_b32_e32 v63, 1, v1
	s_waitcnt lgkmcnt(0)
	v_add_nc_u16 v2, v59, 1
	ds_store_b16 v62, v2
	ds_load_u16 v61, v63
	s_waitcnt lgkmcnt(0)
	v_add_nc_u16 v1, v61, 1
	ds_store_b16 v63, v1
	s_waitcnt lgkmcnt(0)
	s_barrier
	buffer_gl0_inv
	ds_load_2addr_b32 v[7:8], v11 offset1:1
	ds_load_2addr_b32 v[5:6], v11 offset0:2 offset1:3
	ds_load_2addr_b32 v[3:4], v11 offset0:4 offset1:5
	;; [unrolled: 1-line block ×3, first 2 shown]
	s_waitcnt lgkmcnt(3)
	v_add_nc_u32_e32 v64, v8, v7
	s_waitcnt lgkmcnt(2)
	s_delay_alu instid0(VALU_DEP_1) | instskip(SKIP_1) | instid1(VALU_DEP_1)
	v_add3_u32 v64, v64, v5, v6
	s_waitcnt lgkmcnt(1)
	v_add3_u32 v64, v64, v3, v4
	s_waitcnt lgkmcnt(0)
	s_delay_alu instid0(VALU_DEP_1) | instskip(NEXT) | instid1(VALU_DEP_1)
	v_add3_u32 v2, v64, v1, v2
	v_mov_b32_dpp v64, v2 row_shr:1 row_mask:0xf bank_mask:0xf
	s_delay_alu instid0(VALU_DEP_1) | instskip(NEXT) | instid1(VALU_DEP_1)
	v_cndmask_b32_e64 v64, v64, 0, s2
	v_add_nc_u32_e32 v2, v64, v2
	s_delay_alu instid0(VALU_DEP_1) | instskip(NEXT) | instid1(VALU_DEP_1)
	v_mov_b32_dpp v64, v2 row_shr:2 row_mask:0xf bank_mask:0xf
	v_cndmask_b32_e64 v64, 0, v64, s3
	s_delay_alu instid0(VALU_DEP_1) | instskip(NEXT) | instid1(VALU_DEP_1)
	v_add_nc_u32_e32 v2, v2, v64
	v_mov_b32_dpp v64, v2 row_shr:4 row_mask:0xf bank_mask:0xf
	s_delay_alu instid0(VALU_DEP_1) | instskip(NEXT) | instid1(VALU_DEP_1)
	v_cndmask_b32_e64 v64, 0, v64, s4
	v_add_nc_u32_e32 v2, v2, v64
	s_delay_alu instid0(VALU_DEP_1) | instskip(NEXT) | instid1(VALU_DEP_1)
	v_mov_b32_dpp v64, v2 row_shr:8 row_mask:0xf bank_mask:0xf
	v_cndmask_b32_e64 v64, 0, v64, s5
	s_delay_alu instid0(VALU_DEP_1) | instskip(SKIP_3) | instid1(VALU_DEP_1)
	v_add_nc_u32_e32 v2, v2, v64
	ds_swizzle_b32 v64, v2 offset:swizzle(BROADCAST,32,15)
	s_waitcnt lgkmcnt(0)
	v_cndmask_b32_e64 v64, v64, 0, s6
	v_add_nc_u32_e32 v2, v2, v64
	s_and_saveexec_b32 s8, s7
	s_cbranch_execz .LBB40_8
; %bb.7:                                ;   in Loop: Header=BB40_4 Depth=2
	ds_store_b32 v13, v2 offset:16384
.LBB40_8:                               ;   in Loop: Header=BB40_4 Depth=2
	s_or_b32 exec_lo, exec_lo, s8
	s_waitcnt lgkmcnt(0)
	s_barrier
	buffer_gl0_inv
	s_and_saveexec_b32 s8, vcc_lo
	s_cbranch_execz .LBB40_10
; %bb.9:                                ;   in Loop: Header=BB40_4 Depth=2
	ds_load_b32 v64, v12 offset:16384
	s_waitcnt lgkmcnt(0)
	v_mov_b32_dpp v65, v64 row_shr:1 row_mask:0xf bank_mask:0xf
	s_delay_alu instid0(VALU_DEP_1) | instskip(NEXT) | instid1(VALU_DEP_1)
	v_cndmask_b32_e64 v65, v65, 0, s2
	v_add_nc_u32_e32 v64, v65, v64
	s_delay_alu instid0(VALU_DEP_1) | instskip(NEXT) | instid1(VALU_DEP_1)
	v_mov_b32_dpp v65, v64 row_shr:2 row_mask:0xf bank_mask:0xf
	v_cndmask_b32_e64 v65, 0, v65, s3
	s_delay_alu instid0(VALU_DEP_1) | instskip(NEXT) | instid1(VALU_DEP_1)
	v_add_nc_u32_e32 v64, v64, v65
	v_mov_b32_dpp v65, v64 row_shr:4 row_mask:0xf bank_mask:0xf
	s_delay_alu instid0(VALU_DEP_1) | instskip(NEXT) | instid1(VALU_DEP_1)
	v_cndmask_b32_e64 v65, 0, v65, s4
	v_add_nc_u32_e32 v64, v64, v65
	s_delay_alu instid0(VALU_DEP_1) | instskip(NEXT) | instid1(VALU_DEP_1)
	v_mov_b32_dpp v65, v64 row_shr:8 row_mask:0xf bank_mask:0xf
	v_cndmask_b32_e64 v65, 0, v65, s5
	s_delay_alu instid0(VALU_DEP_1)
	v_add_nc_u32_e32 v64, v64, v65
	ds_store_b32 v12, v64 offset:16384
.LBB40_10:                              ;   in Loop: Header=BB40_4 Depth=2
	s_or_b32 exec_lo, exec_lo, s8
	v_mov_b32_e32 v64, 0
	s_waitcnt lgkmcnt(0)
	s_barrier
	buffer_gl0_inv
	s_and_saveexec_b32 s8, s0
	s_cbranch_execz .LBB40_3
; %bb.11:                               ;   in Loop: Header=BB40_4 Depth=2
	ds_load_b32 v64, v13 offset:16380
	s_branch .LBB40_3
.LBB40_12:
	ds_load_u16 v0, v63
	ds_load_u16 v1, v62
	;; [unrolled: 1-line block ×16, first 2 shown]
	v_and_b32_e32 v8, 0xffff, v35
	v_and_b32_e32 v13, 0xffff, v37
	;; [unrolled: 1-line block ×16, first 2 shown]
	s_waitcnt lgkmcnt(15)
	v_add_nc_u32_e32 v3, v0, v2
	s_waitcnt lgkmcnt(12)
	v_add_nc_u32_e32 v0, v16, v32
	;; [unrolled: 2-line block ×6, first 2 shown]
	v_lshlrev_b32_e32 v8, 2, v9
	v_add_nc_u32_e32 v12, v22, v12
	v_add_nc_u32_e32 v11, v23, v11
	v_add_nc_u32_e32 v10, v24, v10
	v_add_nc_u32_e32 v9, v25, v17
	v_add_nc_u32_e32 v2, v1, v30
	v_add_nc_u32_e32 v1, v7, v31
	v_add_nc_u32_e32 v7, v18, v33
	v_add_nc_u32_e32 v6, v19, v6
	v_add_nc_u32_e32 v5, v20, v5
	v_add_nc_u32_e32 v4, v21, v4
	s_add_u32 s0, s10, s12
	s_addc_u32 s1, s11, s13
	s_clause 0x3
	global_store_b128 v8, v[13:16], s[0:1]
	global_store_b128 v8, v[9:12], s[0:1] offset:16
	global_store_b128 v8, v[4:7], s[0:1] offset:32
	;; [unrolled: 1-line block ×3, first 2 shown]
	s_nop 0
	s_sendmsg sendmsg(MSG_DEALLOC_VGPRS)
	s_endpgm
	.section	.rodata,"a",@progbits
	.p2align	6, 0x0
	.amdhsa_kernel _Z11rank_kernelIiLj4ELb0EL18RadixRankAlgorithm1ELj512ELj16ELj10EEvPKT_Pi
		.amdhsa_group_segment_fixed_size 16448
		.amdhsa_private_segment_fixed_size 0
		.amdhsa_kernarg_size 16
		.amdhsa_user_sgpr_count 15
		.amdhsa_user_sgpr_dispatch_ptr 0
		.amdhsa_user_sgpr_queue_ptr 0
		.amdhsa_user_sgpr_kernarg_segment_ptr 1
		.amdhsa_user_sgpr_dispatch_id 0
		.amdhsa_user_sgpr_private_segment_size 0
		.amdhsa_wavefront_size32 1
		.amdhsa_uses_dynamic_stack 0
		.amdhsa_enable_private_segment 0
		.amdhsa_system_sgpr_workgroup_id_x 1
		.amdhsa_system_sgpr_workgroup_id_y 0
		.amdhsa_system_sgpr_workgroup_id_z 0
		.amdhsa_system_sgpr_workgroup_info 0
		.amdhsa_system_vgpr_workitem_id 0
		.amdhsa_next_free_vgpr 66
		.amdhsa_next_free_sgpr 18
		.amdhsa_reserve_vcc 1
		.amdhsa_float_round_mode_32 0
		.amdhsa_float_round_mode_16_64 0
		.amdhsa_float_denorm_mode_32 3
		.amdhsa_float_denorm_mode_16_64 3
		.amdhsa_dx10_clamp 1
		.amdhsa_ieee_mode 1
		.amdhsa_fp16_overflow 0
		.amdhsa_workgroup_processor_mode 1
		.amdhsa_memory_ordered 1
		.amdhsa_forward_progress 0
		.amdhsa_shared_vgpr_count 0
		.amdhsa_exception_fp_ieee_invalid_op 0
		.amdhsa_exception_fp_denorm_src 0
		.amdhsa_exception_fp_ieee_div_zero 0
		.amdhsa_exception_fp_ieee_overflow 0
		.amdhsa_exception_fp_ieee_underflow 0
		.amdhsa_exception_fp_ieee_inexact 0
		.amdhsa_exception_int_div_zero 0
	.end_amdhsa_kernel
	.section	.text._Z11rank_kernelIiLj4ELb0EL18RadixRankAlgorithm1ELj512ELj16ELj10EEvPKT_Pi,"axG",@progbits,_Z11rank_kernelIiLj4ELb0EL18RadixRankAlgorithm1ELj512ELj16ELj10EEvPKT_Pi,comdat
.Lfunc_end40:
	.size	_Z11rank_kernelIiLj4ELb0EL18RadixRankAlgorithm1ELj512ELj16ELj10EEvPKT_Pi, .Lfunc_end40-_Z11rank_kernelIiLj4ELb0EL18RadixRankAlgorithm1ELj512ELj16ELj10EEvPKT_Pi
                                        ; -- End function
	.section	.AMDGPU.csdata,"",@progbits
; Kernel info:
; codeLenInByte = 2552
; NumSgprs: 20
; NumVgprs: 66
; ScratchSize: 0
; MemoryBound: 0
; FloatMode: 240
; IeeeMode: 1
; LDSByteSize: 16448 bytes/workgroup (compile time only)
; SGPRBlocks: 2
; VGPRBlocks: 8
; NumSGPRsForWavesPerEU: 20
; NumVGPRsForWavesPerEU: 66
; Occupancy: 16
; WaveLimiterHint : 0
; COMPUTE_PGM_RSRC2:SCRATCH_EN: 0
; COMPUTE_PGM_RSRC2:USER_SGPR: 15
; COMPUTE_PGM_RSRC2:TRAP_HANDLER: 0
; COMPUTE_PGM_RSRC2:TGID_X_EN: 1
; COMPUTE_PGM_RSRC2:TGID_Y_EN: 0
; COMPUTE_PGM_RSRC2:TGID_Z_EN: 0
; COMPUTE_PGM_RSRC2:TIDIG_COMP_CNT: 0
	.section	.text._Z11rank_kernelIiLj4ELb0EL18RadixRankAlgorithm2ELj512ELj16ELj10EEvPKT_Pi,"axG",@progbits,_Z11rank_kernelIiLj4ELb0EL18RadixRankAlgorithm2ELj512ELj16ELj10EEvPKT_Pi,comdat
	.protected	_Z11rank_kernelIiLj4ELb0EL18RadixRankAlgorithm2ELj512ELj16ELj10EEvPKT_Pi ; -- Begin function _Z11rank_kernelIiLj4ELb0EL18RadixRankAlgorithm2ELj512ELj16ELj10EEvPKT_Pi
	.globl	_Z11rank_kernelIiLj4ELb0EL18RadixRankAlgorithm2ELj512ELj16ELj10EEvPKT_Pi
	.p2align	8
	.type	_Z11rank_kernelIiLj4ELb0EL18RadixRankAlgorithm2ELj512ELj16ELj10EEvPKT_Pi,@function
_Z11rank_kernelIiLj4ELb0EL18RadixRankAlgorithm2ELj512ELj16ELj10EEvPKT_Pi: ; @_Z11rank_kernelIiLj4ELb0EL18RadixRankAlgorithm2ELj512ELj16ELj10EEvPKT_Pi
; %bb.0:
	s_clause 0x1
	s_load_b128 s[8:11], s[0:1], 0x0
	s_load_b32 s5, s[0:1], 0x1c
	v_and_b32_e32 v3, 0x3ff, v0
	s_mov_b32 s17, 0
	s_lshl_b32 s16, s15, 13
	v_mbcnt_lo_u32_b32 v4, -1, 0
	s_lshl_b64 s[12:13], s[16:17], 2
	v_lshlrev_b32_e32 v1, 6, v3
	v_bfe_u32 v5, v0, 10, 10
	v_bfe_u32 v22, v0, 20, 10
	v_and_b32_e32 v23, 15, v4
	v_add_nc_u32_e32 v25, -1, v4
	v_cmp_eq_u32_e32 vcc_lo, 0, v4
	v_lshlrev_b32_e32 v0, 4, v3
	v_lshlrev_b32_e32 v2, 2, v3
	v_cmp_lt_u32_e64 s2, 3, v23
	v_cmp_lt_u32_e64 s3, 7, v23
	;; [unrolled: 1-line block ×3, first 2 shown]
	v_and_b32_e32 v24, 16, v4
	s_waitcnt lgkmcnt(0)
	s_add_u32 s0, s8, s12
	s_addc_u32 s1, s9, s13
	s_clause 0x3
	global_load_b128 v[6:9], v1, s[0:1]
	global_load_b128 v[10:13], v1, s[0:1] offset:16
	global_load_b128 v[14:17], v1, s[0:1] offset:32
	;; [unrolled: 1-line block ×3, first 2 shown]
	s_lshr_b32 s4, s5, 16
	s_and_b32 s5, s5, 0xffff
	v_mad_u32_u24 v5, v22, s4, v5
	v_mov_b32_e32 v1, 0
	v_cmp_eq_u32_e64 s0, 0, v23
	v_cmp_lt_u32_e64 s1, 1, v23
	v_cmp_eq_u32_e64 s4, 0, v24
	v_mad_u64_u32 v[22:23], null, v5, s5, v[3:4]
	v_cmp_gt_i32_e64 s5, 0, v25
	v_or_b32_e32 v24, 31, v3
	v_lshrrev_b32_e32 v5, 3, v3
	s_delay_alu instid0(VALU_DEP_3) | instskip(SKIP_1) | instid1(VALU_DEP_4)
	v_cndmask_b32_e64 v4, v25, v4, s5
	v_cmp_gt_u32_e64 s5, 16, v3
	v_cmp_eq_u32_e64 s7, v24, v3
	s_delay_alu instid0(VALU_DEP_3) | instskip(SKIP_2) | instid1(VALU_DEP_2)
	v_lshlrev_b32_e32 v3, 2, v4
	v_and_b32_e32 v4, 60, v5
	v_lshrrev_b32_e32 v5, 5, v22
	v_add_nc_u32_e32 v22, -4, v4
	s_waitcnt vmcnt(3)
	v_xor_b32_e32 v6, 0x80000000, v6
	v_xor_b32_e32 v7, 0x80000000, v7
	v_xor_b32_e32 v8, 0x80000000, v8
	v_xor_b32_e32 v9, 0x80000000, v9
	s_waitcnt vmcnt(2)
	v_xor_b32_e32 v10, 0x80000000, v10
	v_xor_b32_e32 v11, 0x80000000, v11
	v_xor_b32_e32 v12, 0x80000000, v12
	v_xor_b32_e32 v13, 0x80000000, v13
	;; [unrolled: 5-line block ×4, first 2 shown]
	s_branch .LBB41_2
.LBB41_1:                               ;   in Loop: Header=BB41_2 Depth=1
	s_add_i32 s17, s17, 1
	s_delay_alu instid0(SALU_CYCLE_1)
	s_cmp_eq_u32 s17, 10
	s_cbranch_scc1 .LBB41_42
.LBB41_2:                               ; =>This Loop Header: Depth=1
                                        ;     Child Loop BB41_4 Depth 2
	s_mov_b32 s14, -4
	s_mov_b32 s15, 28
	s_branch .LBB41_4
.LBB41_3:                               ;   in Loop: Header=BB41_4 Depth=2
	s_or_b32 exec_lo, exec_lo, s8
	s_waitcnt lgkmcnt(0)
	v_add_nc_u32_e32 v70, v71, v70
	s_add_i32 s14, s14, 4
	s_add_i32 s15, s15, -4
	s_cmp_lt_u32 s14, 28
	ds_bpermute_b32 v70, v3, v70
	s_waitcnt lgkmcnt(0)
	v_cndmask_b32_e32 v70, v70, v71, vcc_lo
	ds_store_b32 v2, v70 offset:64
	s_waitcnt lgkmcnt(0)
	s_barrier
	buffer_gl0_inv
	s_cbranch_scc0 .LBB41_1
.LBB41_4:                               ;   Parent Loop BB41_2 Depth=1
                                        ; =>  This Inner Loop Header: Depth=2
	v_lshlrev_b32_e32 v23, s15, v6
	ds_store_b32 v2, v1 offset:64
	s_waitcnt lgkmcnt(0)
	s_barrier
	buffer_gl0_inv
	v_bfe_u32 v24, v23, 28, 1
	v_lshrrev_b32_e32 v26, 28, v23
	v_not_b32_e32 v29, v23
	; wave barrier
	s_delay_alu instid0(VALU_DEP_3) | instskip(NEXT) | instid1(VALU_DEP_1)
	v_add_co_u32 v24, s8, v24, -1
	v_cndmask_b32_e64 v25, 0, 1, s8
	s_delay_alu instid0(VALU_DEP_4) | instskip(SKIP_1) | instid1(VALU_DEP_3)
	v_lshlrev_b32_e32 v27, 30, v26
	v_lshlrev_b32_e32 v28, 29, v26
	v_cmp_ne_u32_e64 s8, 0, v25
	s_delay_alu instid0(VALU_DEP_3) | instskip(SKIP_1) | instid1(VALU_DEP_4)
	v_not_b32_e32 v25, v27
	v_cmp_gt_i32_e64 s9, 0, v27
	v_not_b32_e32 v27, v28
	s_delay_alu instid0(VALU_DEP_4) | instskip(NEXT) | instid1(VALU_DEP_4)
	v_xor_b32_e32 v24, s8, v24
	v_ashrrev_i32_e32 v25, 31, v25
	v_cmp_gt_i32_e64 s8, 0, v28
	s_delay_alu instid0(VALU_DEP_4) | instskip(NEXT) | instid1(VALU_DEP_4)
	v_ashrrev_i32_e32 v27, 31, v27
	v_and_b32_e32 v24, exec_lo, v24
	s_delay_alu instid0(VALU_DEP_4) | instskip(SKIP_3) | instid1(VALU_DEP_4)
	v_xor_b32_e32 v25, s9, v25
	v_cmp_gt_i32_e64 s9, 0, v23
	v_ashrrev_i32_e32 v23, 31, v29
	v_xor_b32_e32 v27, s8, v27
	v_and_b32_e32 v24, v24, v25
	s_delay_alu instid0(VALU_DEP_3) | instskip(NEXT) | instid1(VALU_DEP_2)
	v_xor_b32_e32 v23, s9, v23
	v_and_b32_e32 v24, v24, v27
	s_delay_alu instid0(VALU_DEP_1) | instskip(SKIP_1) | instid1(VALU_DEP_2)
	v_and_b32_e32 v25, v24, v23
	v_mad_u32_u24 v24, v26, 17, v5
	v_mbcnt_lo_u32_b32 v23, v25, 0
	v_cmp_ne_u32_e64 s9, 0, v25
	s_delay_alu instid0(VALU_DEP_3) | instskip(NEXT) | instid1(VALU_DEP_3)
	v_lshl_add_u32 v24, v24, 2, 64
	v_cmp_eq_u32_e64 s8, 0, v23
	s_delay_alu instid0(VALU_DEP_1) | instskip(NEXT) | instid1(SALU_CYCLE_1)
	s_and_b32 s9, s9, s8
	s_and_saveexec_b32 s8, s9
	s_cbranch_execz .LBB41_6
; %bb.5:                                ;   in Loop: Header=BB41_4 Depth=2
	v_bcnt_u32_b32 v25, v25, 0
	ds_store_b32 v24, v25
.LBB41_6:                               ;   in Loop: Header=BB41_4 Depth=2
	s_or_b32 exec_lo, exec_lo, s8
	v_lshlrev_b32_e32 v25, s15, v7
	; wave barrier
	s_delay_alu instid0(VALU_DEP_1) | instskip(SKIP_2) | instid1(VALU_DEP_3)
	v_bfe_u32 v26, v25, 28, 1
	v_lshrrev_b32_e32 v27, 28, v25
	v_not_b32_e32 v31, v25
	v_add_co_u32 v26, s8, v26, -1
	s_delay_alu instid0(VALU_DEP_1) | instskip(NEXT) | instid1(VALU_DEP_4)
	v_cndmask_b32_e64 v28, 0, 1, s8
	v_lshlrev_b32_e32 v29, 30, v27
	v_lshlrev_b32_e32 v30, 29, v27
	s_delay_alu instid0(VALU_DEP_3) | instskip(NEXT) | instid1(VALU_DEP_3)
	v_cmp_ne_u32_e64 s8, 0, v28
	v_not_b32_e32 v28, v29
	v_cmp_gt_i32_e64 s9, 0, v29
	s_delay_alu instid0(VALU_DEP_4) | instskip(NEXT) | instid1(VALU_DEP_4)
	v_not_b32_e32 v29, v30
	v_xor_b32_e32 v26, s8, v26
	s_delay_alu instid0(VALU_DEP_4) | instskip(SKIP_1) | instid1(VALU_DEP_4)
	v_ashrrev_i32_e32 v28, 31, v28
	v_cmp_gt_i32_e64 s8, 0, v30
	v_ashrrev_i32_e32 v29, 31, v29
	s_delay_alu instid0(VALU_DEP_4) | instskip(NEXT) | instid1(VALU_DEP_4)
	v_and_b32_e32 v26, exec_lo, v26
	v_xor_b32_e32 v28, s9, v28
	v_cmp_gt_i32_e64 s9, 0, v25
	v_mul_u32_u24_e32 v25, 17, v27
	v_ashrrev_i32_e32 v27, 31, v31
	v_xor_b32_e32 v29, s8, v29
	v_and_b32_e32 v26, v26, v28
	s_delay_alu instid0(VALU_DEP_4) | instskip(NEXT) | instid1(VALU_DEP_4)
	v_add_lshl_u32 v30, v5, v25, 2
	v_xor_b32_e32 v27, s9, v27
	s_delay_alu instid0(VALU_DEP_3) | instskip(SKIP_3) | instid1(VALU_DEP_2)
	v_and_b32_e32 v26, v26, v29
	ds_load_b32 v25, v30 offset:64
	; wave barrier
	v_and_b32_e32 v28, v26, v27
	v_add_nc_u32_e32 v27, 64, v30
	v_mbcnt_lo_u32_b32 v26, v28, 0
	v_cmp_ne_u32_e64 s9, 0, v28
	s_delay_alu instid0(VALU_DEP_2) | instskip(NEXT) | instid1(VALU_DEP_1)
	v_cmp_eq_u32_e64 s8, 0, v26
	s_and_b32 s9, s9, s8
	s_delay_alu instid0(SALU_CYCLE_1)
	s_and_saveexec_b32 s8, s9
	s_cbranch_execz .LBB41_8
; %bb.7:                                ;   in Loop: Header=BB41_4 Depth=2
	s_waitcnt lgkmcnt(0)
	v_bcnt_u32_b32 v28, v28, v25
	ds_store_b32 v27, v28
.LBB41_8:                               ;   in Loop: Header=BB41_4 Depth=2
	s_or_b32 exec_lo, exec_lo, s8
	v_lshlrev_b32_e32 v28, s15, v8
	; wave barrier
	s_delay_alu instid0(VALU_DEP_1) | instskip(SKIP_2) | instid1(VALU_DEP_3)
	v_bfe_u32 v29, v28, 28, 1
	v_lshrrev_b32_e32 v30, 28, v28
	v_not_b32_e32 v34, v28
	v_add_co_u32 v29, s8, v29, -1
	s_delay_alu instid0(VALU_DEP_1) | instskip(NEXT) | instid1(VALU_DEP_4)
	v_cndmask_b32_e64 v31, 0, 1, s8
	v_lshlrev_b32_e32 v32, 30, v30
	v_lshlrev_b32_e32 v33, 29, v30
	s_delay_alu instid0(VALU_DEP_3) | instskip(NEXT) | instid1(VALU_DEP_3)
	v_cmp_ne_u32_e64 s8, 0, v31
	v_not_b32_e32 v31, v32
	v_cmp_gt_i32_e64 s9, 0, v32
	s_delay_alu instid0(VALU_DEP_4) | instskip(NEXT) | instid1(VALU_DEP_4)
	v_not_b32_e32 v32, v33
	v_xor_b32_e32 v29, s8, v29
	s_delay_alu instid0(VALU_DEP_4) | instskip(SKIP_1) | instid1(VALU_DEP_4)
	v_ashrrev_i32_e32 v31, 31, v31
	v_cmp_gt_i32_e64 s8, 0, v33
	v_ashrrev_i32_e32 v32, 31, v32
	s_delay_alu instid0(VALU_DEP_4) | instskip(NEXT) | instid1(VALU_DEP_4)
	v_and_b32_e32 v29, exec_lo, v29
	v_xor_b32_e32 v31, s9, v31
	v_cmp_gt_i32_e64 s9, 0, v28
	v_mul_u32_u24_e32 v28, 17, v30
	v_ashrrev_i32_e32 v30, 31, v34
	v_xor_b32_e32 v32, s8, v32
	v_and_b32_e32 v29, v29, v31
	s_delay_alu instid0(VALU_DEP_4) | instskip(NEXT) | instid1(VALU_DEP_4)
	v_add_lshl_u32 v33, v5, v28, 2
	v_xor_b32_e32 v30, s9, v30
	s_delay_alu instid0(VALU_DEP_3) | instskip(SKIP_3) | instid1(VALU_DEP_2)
	v_and_b32_e32 v29, v29, v32
	ds_load_b32 v28, v33 offset:64
	; wave barrier
	v_and_b32_e32 v31, v29, v30
	v_add_nc_u32_e32 v30, 64, v33
	v_mbcnt_lo_u32_b32 v29, v31, 0
	v_cmp_ne_u32_e64 s9, 0, v31
	s_delay_alu instid0(VALU_DEP_2) | instskip(NEXT) | instid1(VALU_DEP_1)
	v_cmp_eq_u32_e64 s8, 0, v29
	s_and_b32 s9, s9, s8
	s_delay_alu instid0(SALU_CYCLE_1)
	s_and_saveexec_b32 s8, s9
	s_cbranch_execz .LBB41_10
; %bb.9:                                ;   in Loop: Header=BB41_4 Depth=2
	s_waitcnt lgkmcnt(0)
	v_bcnt_u32_b32 v31, v31, v28
	ds_store_b32 v30, v31
.LBB41_10:                              ;   in Loop: Header=BB41_4 Depth=2
	s_or_b32 exec_lo, exec_lo, s8
	v_lshlrev_b32_e32 v31, s15, v9
	; wave barrier
	s_delay_alu instid0(VALU_DEP_1) | instskip(SKIP_2) | instid1(VALU_DEP_3)
	v_bfe_u32 v32, v31, 28, 1
	v_lshrrev_b32_e32 v33, 28, v31
	v_not_b32_e32 v37, v31
	v_add_co_u32 v32, s8, v32, -1
	s_delay_alu instid0(VALU_DEP_1) | instskip(NEXT) | instid1(VALU_DEP_4)
	v_cndmask_b32_e64 v34, 0, 1, s8
	v_lshlrev_b32_e32 v35, 30, v33
	v_lshlrev_b32_e32 v36, 29, v33
	s_delay_alu instid0(VALU_DEP_3) | instskip(NEXT) | instid1(VALU_DEP_3)
	v_cmp_ne_u32_e64 s8, 0, v34
	v_not_b32_e32 v34, v35
	v_cmp_gt_i32_e64 s9, 0, v35
	s_delay_alu instid0(VALU_DEP_4) | instskip(NEXT) | instid1(VALU_DEP_4)
	v_not_b32_e32 v35, v36
	v_xor_b32_e32 v32, s8, v32
	s_delay_alu instid0(VALU_DEP_4) | instskip(SKIP_1) | instid1(VALU_DEP_4)
	v_ashrrev_i32_e32 v34, 31, v34
	v_cmp_gt_i32_e64 s8, 0, v36
	v_ashrrev_i32_e32 v35, 31, v35
	s_delay_alu instid0(VALU_DEP_4) | instskip(NEXT) | instid1(VALU_DEP_4)
	v_and_b32_e32 v32, exec_lo, v32
	v_xor_b32_e32 v34, s9, v34
	v_cmp_gt_i32_e64 s9, 0, v31
	v_mul_u32_u24_e32 v31, 17, v33
	v_ashrrev_i32_e32 v33, 31, v37
	v_xor_b32_e32 v35, s8, v35
	v_and_b32_e32 v32, v32, v34
	s_delay_alu instid0(VALU_DEP_4) | instskip(NEXT) | instid1(VALU_DEP_4)
	v_add_lshl_u32 v36, v5, v31, 2
	v_xor_b32_e32 v33, s9, v33
	s_delay_alu instid0(VALU_DEP_3) | instskip(SKIP_3) | instid1(VALU_DEP_2)
	v_and_b32_e32 v32, v32, v35
	ds_load_b32 v31, v36 offset:64
	; wave barrier
	v_and_b32_e32 v34, v32, v33
	v_add_nc_u32_e32 v33, 64, v36
	v_mbcnt_lo_u32_b32 v32, v34, 0
	v_cmp_ne_u32_e64 s9, 0, v34
	s_delay_alu instid0(VALU_DEP_2) | instskip(NEXT) | instid1(VALU_DEP_1)
	v_cmp_eq_u32_e64 s8, 0, v32
	s_and_b32 s9, s9, s8
	s_delay_alu instid0(SALU_CYCLE_1)
	s_and_saveexec_b32 s8, s9
	s_cbranch_execz .LBB41_12
; %bb.11:                               ;   in Loop: Header=BB41_4 Depth=2
	s_waitcnt lgkmcnt(0)
	v_bcnt_u32_b32 v34, v34, v31
	ds_store_b32 v33, v34
.LBB41_12:                              ;   in Loop: Header=BB41_4 Depth=2
	s_or_b32 exec_lo, exec_lo, s8
	v_lshlrev_b32_e32 v34, s15, v10
	; wave barrier
	s_delay_alu instid0(VALU_DEP_1) | instskip(SKIP_2) | instid1(VALU_DEP_3)
	v_bfe_u32 v35, v34, 28, 1
	v_lshrrev_b32_e32 v36, 28, v34
	v_not_b32_e32 v40, v34
	v_add_co_u32 v35, s8, v35, -1
	s_delay_alu instid0(VALU_DEP_1) | instskip(NEXT) | instid1(VALU_DEP_4)
	v_cndmask_b32_e64 v37, 0, 1, s8
	v_lshlrev_b32_e32 v38, 30, v36
	v_lshlrev_b32_e32 v39, 29, v36
	s_delay_alu instid0(VALU_DEP_3) | instskip(NEXT) | instid1(VALU_DEP_3)
	v_cmp_ne_u32_e64 s8, 0, v37
	v_not_b32_e32 v37, v38
	v_cmp_gt_i32_e64 s9, 0, v38
	s_delay_alu instid0(VALU_DEP_4) | instskip(NEXT) | instid1(VALU_DEP_4)
	v_not_b32_e32 v38, v39
	v_xor_b32_e32 v35, s8, v35
	s_delay_alu instid0(VALU_DEP_4) | instskip(SKIP_1) | instid1(VALU_DEP_4)
	v_ashrrev_i32_e32 v37, 31, v37
	v_cmp_gt_i32_e64 s8, 0, v39
	v_ashrrev_i32_e32 v38, 31, v38
	s_delay_alu instid0(VALU_DEP_4) | instskip(NEXT) | instid1(VALU_DEP_4)
	v_and_b32_e32 v35, exec_lo, v35
	v_xor_b32_e32 v37, s9, v37
	v_cmp_gt_i32_e64 s9, 0, v34
	v_mul_u32_u24_e32 v34, 17, v36
	v_ashrrev_i32_e32 v36, 31, v40
	v_xor_b32_e32 v38, s8, v38
	v_and_b32_e32 v35, v35, v37
	s_delay_alu instid0(VALU_DEP_4) | instskip(NEXT) | instid1(VALU_DEP_4)
	v_add_lshl_u32 v39, v5, v34, 2
	v_xor_b32_e32 v36, s9, v36
	s_delay_alu instid0(VALU_DEP_3) | instskip(SKIP_3) | instid1(VALU_DEP_2)
	v_and_b32_e32 v35, v35, v38
	ds_load_b32 v34, v39 offset:64
	; wave barrier
	v_and_b32_e32 v37, v35, v36
	v_add_nc_u32_e32 v36, 64, v39
	v_mbcnt_lo_u32_b32 v35, v37, 0
	v_cmp_ne_u32_e64 s9, 0, v37
	s_delay_alu instid0(VALU_DEP_2) | instskip(NEXT) | instid1(VALU_DEP_1)
	v_cmp_eq_u32_e64 s8, 0, v35
	s_and_b32 s9, s9, s8
	s_delay_alu instid0(SALU_CYCLE_1)
	s_and_saveexec_b32 s8, s9
	s_cbranch_execz .LBB41_14
; %bb.13:                               ;   in Loop: Header=BB41_4 Depth=2
	s_waitcnt lgkmcnt(0)
	v_bcnt_u32_b32 v37, v37, v34
	ds_store_b32 v36, v37
.LBB41_14:                              ;   in Loop: Header=BB41_4 Depth=2
	;; [unrolled: 53-line block ×13, first 2 shown]
	s_or_b32 exec_lo, exec_lo, s8
	; wave barrier
	s_waitcnt lgkmcnt(0)
	s_barrier
	buffer_gl0_inv
	ds_load_b32 v70, v2 offset:64
	s_waitcnt lgkmcnt(0)
	v_mov_b32_dpp v71, v70 row_shr:1 row_mask:0xf bank_mask:0xf
	s_delay_alu instid0(VALU_DEP_1) | instskip(NEXT) | instid1(VALU_DEP_1)
	v_cndmask_b32_e64 v71, v71, 0, s0
	v_add_nc_u32_e32 v70, v71, v70
	s_delay_alu instid0(VALU_DEP_1) | instskip(NEXT) | instid1(VALU_DEP_1)
	v_mov_b32_dpp v71, v70 row_shr:2 row_mask:0xf bank_mask:0xf
	v_cndmask_b32_e64 v71, 0, v71, s1
	s_delay_alu instid0(VALU_DEP_1) | instskip(NEXT) | instid1(VALU_DEP_1)
	v_add_nc_u32_e32 v70, v70, v71
	v_mov_b32_dpp v71, v70 row_shr:4 row_mask:0xf bank_mask:0xf
	s_delay_alu instid0(VALU_DEP_1) | instskip(NEXT) | instid1(VALU_DEP_1)
	v_cndmask_b32_e64 v71, 0, v71, s2
	v_add_nc_u32_e32 v70, v70, v71
	s_delay_alu instid0(VALU_DEP_1) | instskip(NEXT) | instid1(VALU_DEP_1)
	v_mov_b32_dpp v71, v70 row_shr:8 row_mask:0xf bank_mask:0xf
	v_cndmask_b32_e64 v71, 0, v71, s3
	s_delay_alu instid0(VALU_DEP_1) | instskip(SKIP_3) | instid1(VALU_DEP_1)
	v_add_nc_u32_e32 v70, v70, v71
	ds_swizzle_b32 v71, v70 offset:swizzle(BROADCAST,32,15)
	s_waitcnt lgkmcnt(0)
	v_cndmask_b32_e64 v71, v71, 0, s4
	v_add_nc_u32_e32 v70, v70, v71
	s_and_saveexec_b32 s8, s7
	s_delay_alu instid0(SALU_CYCLE_1)
	s_xor_b32 s8, exec_lo, s8
	s_cbranch_execz .LBB41_38
; %bb.37:                               ;   in Loop: Header=BB41_4 Depth=2
	ds_store_b32 v4, v70
.LBB41_38:                              ;   in Loop: Header=BB41_4 Depth=2
	s_or_b32 exec_lo, exec_lo, s8
	s_waitcnt lgkmcnt(0)
	s_barrier
	buffer_gl0_inv
	s_and_saveexec_b32 s8, s5
	s_cbranch_execz .LBB41_40
; %bb.39:                               ;   in Loop: Header=BB41_4 Depth=2
	ds_load_b32 v71, v2
	s_waitcnt lgkmcnt(0)
	v_mov_b32_dpp v72, v71 row_shr:1 row_mask:0xf bank_mask:0xf
	s_delay_alu instid0(VALU_DEP_1) | instskip(NEXT) | instid1(VALU_DEP_1)
	v_cndmask_b32_e64 v72, v72, 0, s0
	v_add_nc_u32_e32 v71, v72, v71
	s_delay_alu instid0(VALU_DEP_1) | instskip(NEXT) | instid1(VALU_DEP_1)
	v_mov_b32_dpp v72, v71 row_shr:2 row_mask:0xf bank_mask:0xf
	v_cndmask_b32_e64 v72, 0, v72, s1
	s_delay_alu instid0(VALU_DEP_1) | instskip(NEXT) | instid1(VALU_DEP_1)
	v_add_nc_u32_e32 v71, v71, v72
	v_mov_b32_dpp v72, v71 row_shr:4 row_mask:0xf bank_mask:0xf
	s_delay_alu instid0(VALU_DEP_1) | instskip(NEXT) | instid1(VALU_DEP_1)
	v_cndmask_b32_e64 v72, 0, v72, s2
	v_add_nc_u32_e32 v71, v71, v72
	s_delay_alu instid0(VALU_DEP_1) | instskip(NEXT) | instid1(VALU_DEP_1)
	v_mov_b32_dpp v72, v71 row_shr:8 row_mask:0xf bank_mask:0xf
	v_cndmask_b32_e64 v72, 0, v72, s3
	s_delay_alu instid0(VALU_DEP_1)
	v_add_nc_u32_e32 v71, v71, v72
	ds_store_b32 v2, v71
.LBB41_40:                              ;   in Loop: Header=BB41_4 Depth=2
	s_or_b32 exec_lo, exec_lo, s8
	v_mov_b32_e32 v71, 0
	s_waitcnt lgkmcnt(0)
	s_barrier
	buffer_gl0_inv
	s_and_saveexec_b32 s8, s6
	s_cbranch_execz .LBB41_3
; %bb.41:                               ;   in Loop: Header=BB41_4 Depth=2
	ds_load_b32 v71, v22
	s_branch .LBB41_3
.LBB41_42:
	ds_load_b32 v1, v69
	ds_load_b32 v2, v66
	;; [unrolled: 1-line block ×16, first 2 shown]
	v_lshlrev_b32_e32 v0, 2, v0
	s_add_u32 s0, s10, s12
	s_addc_u32 s1, s11, s13
	s_waitcnt lgkmcnt(15)
	v_add3_u32 v4, v68, v67, v1
	s_waitcnt lgkmcnt(14)
	v_add3_u32 v3, v65, v64, v2
	;; [unrolled: 2-line block ×14, first 2 shown]
	s_waitcnt lgkmcnt(1)
	v_add_nc_u32_e32 v13, v19, v23
	s_waitcnt lgkmcnt(0)
	v_add3_u32 v9, v35, v34, v20
	s_clause 0x3
	global_store_b128 v0, v[13:16], s[0:1]
	global_store_b128 v0, v[9:12], s[0:1] offset:16
	global_store_b128 v0, v[5:8], s[0:1] offset:32
	;; [unrolled: 1-line block ×3, first 2 shown]
	s_nop 0
	s_sendmsg sendmsg(MSG_DEALLOC_VGPRS)
	s_endpgm
	.section	.rodata,"a",@progbits
	.p2align	6, 0x0
	.amdhsa_kernel _Z11rank_kernelIiLj4ELb0EL18RadixRankAlgorithm2ELj512ELj16ELj10EEvPKT_Pi
		.amdhsa_group_segment_fixed_size 2112
		.amdhsa_private_segment_fixed_size 0
		.amdhsa_kernarg_size 272
		.amdhsa_user_sgpr_count 15
		.amdhsa_user_sgpr_dispatch_ptr 0
		.amdhsa_user_sgpr_queue_ptr 0
		.amdhsa_user_sgpr_kernarg_segment_ptr 1
		.amdhsa_user_sgpr_dispatch_id 0
		.amdhsa_user_sgpr_private_segment_size 0
		.amdhsa_wavefront_size32 1
		.amdhsa_uses_dynamic_stack 0
		.amdhsa_enable_private_segment 0
		.amdhsa_system_sgpr_workgroup_id_x 1
		.amdhsa_system_sgpr_workgroup_id_y 0
		.amdhsa_system_sgpr_workgroup_id_z 0
		.amdhsa_system_sgpr_workgroup_info 0
		.amdhsa_system_vgpr_workitem_id 2
		.amdhsa_next_free_vgpr 74
		.amdhsa_next_free_sgpr 18
		.amdhsa_reserve_vcc 1
		.amdhsa_float_round_mode_32 0
		.amdhsa_float_round_mode_16_64 0
		.amdhsa_float_denorm_mode_32 3
		.amdhsa_float_denorm_mode_16_64 3
		.amdhsa_dx10_clamp 1
		.amdhsa_ieee_mode 1
		.amdhsa_fp16_overflow 0
		.amdhsa_workgroup_processor_mode 1
		.amdhsa_memory_ordered 1
		.amdhsa_forward_progress 0
		.amdhsa_shared_vgpr_count 0
		.amdhsa_exception_fp_ieee_invalid_op 0
		.amdhsa_exception_fp_denorm_src 0
		.amdhsa_exception_fp_ieee_div_zero 0
		.amdhsa_exception_fp_ieee_overflow 0
		.amdhsa_exception_fp_ieee_underflow 0
		.amdhsa_exception_fp_ieee_inexact 0
		.amdhsa_exception_int_div_zero 0
	.end_amdhsa_kernel
	.section	.text._Z11rank_kernelIiLj4ELb0EL18RadixRankAlgorithm2ELj512ELj16ELj10EEvPKT_Pi,"axG",@progbits,_Z11rank_kernelIiLj4ELb0EL18RadixRankAlgorithm2ELj512ELj16ELj10EEvPKT_Pi,comdat
.Lfunc_end41:
	.size	_Z11rank_kernelIiLj4ELb0EL18RadixRankAlgorithm2ELj512ELj16ELj10EEvPKT_Pi, .Lfunc_end41-_Z11rank_kernelIiLj4ELb0EL18RadixRankAlgorithm2ELj512ELj16ELj10EEvPKT_Pi
                                        ; -- End function
	.section	.AMDGPU.csdata,"",@progbits
; Kernel info:
; codeLenInByte = 5324
; NumSgprs: 20
; NumVgprs: 74
; ScratchSize: 0
; MemoryBound: 0
; FloatMode: 240
; IeeeMode: 1
; LDSByteSize: 2112 bytes/workgroup (compile time only)
; SGPRBlocks: 2
; VGPRBlocks: 9
; NumSGPRsForWavesPerEU: 20
; NumVGPRsForWavesPerEU: 74
; Occupancy: 16
; WaveLimiterHint : 0
; COMPUTE_PGM_RSRC2:SCRATCH_EN: 0
; COMPUTE_PGM_RSRC2:USER_SGPR: 15
; COMPUTE_PGM_RSRC2:TRAP_HANDLER: 0
; COMPUTE_PGM_RSRC2:TGID_X_EN: 1
; COMPUTE_PGM_RSRC2:TGID_Y_EN: 0
; COMPUTE_PGM_RSRC2:TGID_Z_EN: 0
; COMPUTE_PGM_RSRC2:TIDIG_COMP_CNT: 2
	.section	.text._Z11rank_kernelIiLj4ELb0EL18RadixRankAlgorithm0ELj512ELj32ELj10EEvPKT_Pi,"axG",@progbits,_Z11rank_kernelIiLj4ELb0EL18RadixRankAlgorithm0ELj512ELj32ELj10EEvPKT_Pi,comdat
	.protected	_Z11rank_kernelIiLj4ELb0EL18RadixRankAlgorithm0ELj512ELj32ELj10EEvPKT_Pi ; -- Begin function _Z11rank_kernelIiLj4ELb0EL18RadixRankAlgorithm0ELj512ELj32ELj10EEvPKT_Pi
	.globl	_Z11rank_kernelIiLj4ELb0EL18RadixRankAlgorithm0ELj512ELj32ELj10EEvPKT_Pi
	.p2align	8
	.type	_Z11rank_kernelIiLj4ELb0EL18RadixRankAlgorithm0ELj512ELj32ELj10EEvPKT_Pi,@function
_Z11rank_kernelIiLj4ELb0EL18RadixRankAlgorithm0ELj512ELj32ELj10EEvPKT_Pi: ; @_Z11rank_kernelIiLj4ELb0EL18RadixRankAlgorithm0ELj512ELj32ELj10EEvPKT_Pi
; %bb.0:
	s_load_b128 s[8:11], s[0:1], 0x0
	s_mov_b32 s17, 0
	s_lshl_b32 s16, s15, 14
	v_dual_mov_b32 v2, 0 :: v_dual_lshlrev_b32 v1, 7, v0
	s_lshl_b64 s[12:13], s[16:17], 2
	v_mbcnt_lo_u32_b32 v4, -1, 0
	v_or_b32_e32 v23, 31, v0
	v_lshrrev_b32_e32 v41, 3, v0
	v_cmp_gt_u32_e32 vcc_lo, 16, v0
	v_lshlrev_b32_e32 v3, 2, v0
	v_add_nc_u32_e32 v36, -1, v4
	v_and_b32_e32 v5, 15, v4
	v_and_b32_e32 v10, 16, v4
	v_cmp_eq_u32_e64 s7, v23, v0
	s_delay_alu instid0(VALU_DEP_4) | instskip(NEXT) | instid1(VALU_DEP_4)
	v_cmp_gt_i32_e64 s5, 0, v36
	v_cmp_eq_u32_e64 s2, 0, v5
	v_cmp_lt_u32_e64 s3, 1, v5
	v_cmp_lt_u32_e64 s4, 3, v5
	s_waitcnt lgkmcnt(0)
	s_add_u32 s0, s8, s12
	s_addc_u32 s1, s9, s13
	v_cndmask_b32_e64 v36, v36, v4, s5
	s_clause 0x7
	global_load_b128 v[6:9], v1, s[0:1]
	global_load_b128 v[11:14], v1, s[0:1] offset:16
	global_load_b128 v[15:18], v1, s[0:1] offset:32
	;; [unrolled: 1-line block ×7, first 2 shown]
	v_lshlrev_b32_e32 v1, 5, v0
	v_cmp_lt_u32_e64 s0, 31, v0
	v_cmp_eq_u32_e64 s1, 0, v4
	v_cmp_lt_u32_e64 s5, 7, v5
	v_cmp_eq_u32_e64 s6, 0, v10
	v_and_b32_e32 v4, 60, v41
	v_lshlrev_b32_e32 v5, 2, v36
	v_or_b32_e32 v41, 0xfffffe00, v0
	s_waitcnt vmcnt(7)
	v_xor_b32_e32 v6, 0x80000000, v6
	v_xor_b32_e32 v7, 0x80000000, v7
	v_xor_b32_e32 v8, 0x80000000, v8
	v_xor_b32_e32 v9, 0x80000000, v9
	s_waitcnt vmcnt(6)
	v_xor_b32_e32 v10, 0x80000000, v11
	v_xor_b32_e32 v11, 0x80000000, v12
	v_xor_b32_e32 v13, 0x80000000, v13
	v_xor_b32_e32 v14, 0x80000000, v14
	;; [unrolled: 5-line block ×8, first 2 shown]
	s_branch .LBB42_2
.LBB42_1:                               ;   in Loop: Header=BB42_2 Depth=1
	s_add_i32 s17, s17, 1
	s_delay_alu instid0(SALU_CYCLE_1)
	s_cmp_eq_u32 s17, 10
	s_cbranch_scc1 .LBB42_12
.LBB42_2:                               ; =>This Loop Header: Depth=1
                                        ;     Child Loop BB42_4 Depth 2
                                        ;       Child Loop BB42_5 Depth 3
	s_mov_b32 s9, 0
	s_branch .LBB42_4
.LBB42_3:                               ;   in Loop: Header=BB42_4 Depth=2
	s_or_b32 exec_lo, exec_lo, s8
	s_waitcnt lgkmcnt(0)
	v_add_nc_u32_e32 v103, v104, v103
	ds_load_b32 v109, v2 offset:16444
	ds_load_2addr_b32 v[105:106], v1 offset1:1
	s_add_i32 s8, s9, 4
	s_cmp_lt_u32 s9, 28
	s_mov_b32 s9, s8
	ds_bpermute_b32 v103, v5, v103
	s_waitcnt lgkmcnt(0)
	v_cndmask_b32_e64 v110, v103, v104, s1
	ds_load_2addr_b32 v[103:104], v1 offset0:2 offset1:3
	ds_load_2addr_b32 v[107:108], v1 offset0:4 offset1:5
	v_lshl_add_u32 v109, v109, 16, v110
	ds_load_b32 v110, v1 offset:24
	v_add_nc_u32_e32 v105, v109, v105
	s_delay_alu instid0(VALU_DEP_1) | instskip(SKIP_1) | instid1(VALU_DEP_1)
	v_add_nc_u32_e32 v106, v106, v105
	s_waitcnt lgkmcnt(2)
	v_add_nc_u32_e32 v103, v103, v106
	s_delay_alu instid0(VALU_DEP_1) | instskip(SKIP_1) | instid1(VALU_DEP_1)
	v_add_nc_u32_e32 v104, v104, v103
	s_waitcnt lgkmcnt(1)
	;; [unrolled: 4-line block ×3, first 2 shown]
	v_add_nc_u32_e32 v110, v110, v108
	ds_store_2addr_b32 v1, v109, v105 offset1:1
	ds_store_2addr_b32 v1, v106, v103 offset0:2 offset1:3
	ds_store_2addr_b32 v1, v104, v107 offset0:4 offset1:5
	;; [unrolled: 1-line block ×3, first 2 shown]
	s_waitcnt lgkmcnt(0)
	s_barrier
	buffer_gl0_inv
	s_cbranch_scc0 .LBB42_1
.LBB42_4:                               ;   Parent Loop BB42_2 Depth=1
                                        ; =>  This Loop Header: Depth=2
                                        ;       Child Loop BB42_5 Depth 3
	v_dual_mov_b32 v12, v41 :: v_dual_mov_b32 v23, v3
	s_mov_b32 s14, 0
.LBB42_5:                               ;   Parent Loop BB42_2 Depth=1
                                        ;     Parent Loop BB42_4 Depth=2
                                        ; =>    This Inner Loop Header: Depth=3
	s_delay_alu instid0(VALU_DEP_1) | instskip(SKIP_3) | instid1(VALU_DEP_1)
	v_add_nc_u32_e32 v12, 0x200, v12
	ds_store_b32 v23, v2
	v_add_nc_u32_e32 v23, 0x800, v23
	v_cmp_lt_u32_e64 s8, 0xdff, v12
	s_or_b32 s14, s8, s14
	s_delay_alu instid0(SALU_CYCLE_1)
	s_and_not1_b32 exec_lo, exec_lo, s14
	s_cbranch_execnz .LBB42_5
; %bb.6:                                ;   in Loop: Header=BB42_4 Depth=2
	s_or_b32 exec_lo, exec_lo, s14
	s_sub_i32 s8, 28, s9
	s_delay_alu instid0(SALU_CYCLE_1) | instskip(SKIP_1) | instid1(VALU_DEP_2)
	v_lshlrev_b32_e32 v12, s8, v6
	v_lshlrev_b32_e32 v69, s8, v22
	v_lshrrev_b32_e32 v23, 19, v12
	s_delay_alu instid0(VALU_DEP_2) | instskip(NEXT) | instid1(VALU_DEP_2)
	v_lshrrev_b32_e32 v70, 19, v69
	v_and_or_b32 v23, 0xe00, v23, v0
	s_delay_alu instid0(VALU_DEP_2) | instskip(NEXT) | instid1(VALU_DEP_2)
	v_and_or_b32 v70, 0xe00, v70, v0
	v_alignbit_b32 v12, v23, v12, 31
	v_lshlrev_b32_e32 v23, s8, v7
	s_delay_alu instid0(VALU_DEP_3) | instskip(NEXT) | instid1(VALU_DEP_3)
	v_alignbit_b32 v69, v70, v69, 31
	v_lshlrev_b32_e32 v12, 1, v12
	s_delay_alu instid0(VALU_DEP_3) | instskip(NEXT) | instid1(VALU_DEP_3)
	v_lshrrev_b32_e32 v35, 19, v23
	v_lshlrev_b32_e32 v69, 1, v69
	ds_load_u16 v45, v12
	v_and_or_b32 v35, 0xe00, v35, v0
	s_delay_alu instid0(VALU_DEP_1) | instskip(NEXT) | instid1(VALU_DEP_1)
	v_alignbit_b32 v23, v35, v23, 31
	v_lshlrev_b32_e32 v23, 1, v23
	s_waitcnt lgkmcnt(0)
	v_add_nc_u16 v35, v45, 1
	ds_store_b16 v12, v35
	ds_load_u16 v48, v23
	v_lshlrev_b32_e32 v35, s8, v8
	s_delay_alu instid0(VALU_DEP_1) | instskip(NEXT) | instid1(VALU_DEP_1)
	v_lshrrev_b32_e32 v42, 19, v35
	v_and_or_b32 v42, 0xe00, v42, v0
	s_delay_alu instid0(VALU_DEP_1) | instskip(SKIP_2) | instid1(VALU_DEP_2)
	v_alignbit_b32 v35, v42, v35, 31
	s_waitcnt lgkmcnt(0)
	v_add_nc_u16 v42, v48, 1
	v_lshlrev_b32_e32 v35, 1, v35
	ds_store_b16 v23, v42
	ds_load_u16 v50, v35
	v_lshlrev_b32_e32 v42, s8, v9
	s_delay_alu instid0(VALU_DEP_1) | instskip(NEXT) | instid1(VALU_DEP_1)
	v_lshrrev_b32_e32 v43, 19, v42
	v_and_or_b32 v43, 0xe00, v43, v0
	s_delay_alu instid0(VALU_DEP_1) | instskip(SKIP_2) | instid1(VALU_DEP_2)
	v_alignbit_b32 v42, v43, v42, 31
	s_waitcnt lgkmcnt(0)
	v_add_nc_u16 v43, v50, 1
	v_lshlrev_b32_e32 v42, 1, v42
	;; [unrolled: 11-line block ×6, first 2 shown]
	v_lshlrev_b32_e32 v47, s8, v15
	ds_store_b16 v46, v51
	ds_load_u16 v60, v49
	v_lshrrev_b32_e32 v51, 19, v47
	s_delay_alu instid0(VALU_DEP_1) | instskip(NEXT) | instid1(VALU_DEP_1)
	v_and_or_b32 v51, 0xe00, v51, v0
	v_alignbit_b32 v47, v51, v47, 31
	s_delay_alu instid0(VALU_DEP_1)
	v_lshlrev_b32_e32 v47, 1, v47
	s_waitcnt lgkmcnt(0)
	v_add_nc_u16 v51, v60, 1
	ds_store_b16 v49, v51
	ds_load_u16 v61, v47
	v_lshlrev_b32_e32 v51, s8, v16
	s_delay_alu instid0(VALU_DEP_1) | instskip(NEXT) | instid1(VALU_DEP_1)
	v_lshrrev_b32_e32 v53, 19, v51
	v_and_or_b32 v53, 0xe00, v53, v0
	s_delay_alu instid0(VALU_DEP_1) | instskip(SKIP_2) | instid1(VALU_DEP_2)
	v_alignbit_b32 v51, v53, v51, 31
	s_waitcnt lgkmcnt(0)
	v_add_nc_u16 v53, v61, 1
	v_lshlrev_b32_e32 v51, 1, v51
	ds_store_b16 v47, v53
	ds_load_u16 v63, v51
	v_lshlrev_b32_e32 v53, s8, v17
	s_delay_alu instid0(VALU_DEP_1) | instskip(NEXT) | instid1(VALU_DEP_1)
	v_lshrrev_b32_e32 v55, 19, v53
	v_and_or_b32 v55, 0xe00, v55, v0
	s_delay_alu instid0(VALU_DEP_1) | instskip(SKIP_2) | instid1(VALU_DEP_2)
	v_alignbit_b32 v53, v55, v53, 31
	s_waitcnt lgkmcnt(0)
	v_add_nc_u16 v55, v63, 1
	v_lshlrev_b32_e32 v53, 1, v53
	;; [unrolled: 11-line block ×6, first 2 shown]
	ds_store_b16 v59, v68
	ds_load_u16 v68, v62
	s_waitcnt lgkmcnt(0)
	v_add_nc_u16 v70, v68, 1
	ds_store_b16 v62, v70
	ds_load_u16 v71, v69
	v_lshlrev_b32_e32 v70, s8, v24
	s_delay_alu instid0(VALU_DEP_1) | instskip(NEXT) | instid1(VALU_DEP_1)
	v_lshrrev_b32_e32 v72, 19, v70
	v_and_or_b32 v72, 0xe00, v72, v0
	s_delay_alu instid0(VALU_DEP_1) | instskip(SKIP_2) | instid1(VALU_DEP_2)
	v_alignbit_b32 v70, v72, v70, 31
	s_waitcnt lgkmcnt(0)
	v_add_nc_u16 v72, v71, 1
	v_lshlrev_b32_e32 v70, 1, v70
	ds_store_b16 v69, v72
	ds_load_u16 v74, v70
	v_lshlrev_b32_e32 v72, s8, v25
	s_delay_alu instid0(VALU_DEP_1) | instskip(NEXT) | instid1(VALU_DEP_1)
	v_lshrrev_b32_e32 v73, 19, v72
	v_and_or_b32 v73, 0xe00, v73, v0
	s_delay_alu instid0(VALU_DEP_1) | instskip(SKIP_2) | instid1(VALU_DEP_2)
	v_alignbit_b32 v72, v73, v72, 31
	s_waitcnt lgkmcnt(0)
	v_add_nc_u16 v73, v74, 1
	v_lshlrev_b32_e32 v72, 1, v72
	;; [unrolled: 11-line block ×8, first 2 shown]
	v_lshlrev_b32_e32 v80, s8, v32
	ds_store_b16 v79, v82
	ds_load_u16 v92, v81
	v_lshrrev_b32_e32 v82, 19, v80
	s_delay_alu instid0(VALU_DEP_1) | instskip(NEXT) | instid1(VALU_DEP_1)
	v_and_or_b32 v82, 0xe00, v82, v0
	v_alignbit_b32 v80, v82, v80, 31
	s_delay_alu instid0(VALU_DEP_1)
	v_lshlrev_b32_e32 v80, 1, v80
	s_waitcnt lgkmcnt(0)
	v_add_nc_u16 v82, v92, 1
	ds_store_b16 v81, v82
	ds_load_u16 v94, v80
	v_lshlrev_b32_e32 v82, s8, v33
	s_delay_alu instid0(VALU_DEP_1) | instskip(NEXT) | instid1(VALU_DEP_1)
	v_lshrrev_b32_e32 v84, 19, v82
	v_and_or_b32 v84, 0xe00, v84, v0
	s_delay_alu instid0(VALU_DEP_1) | instskip(SKIP_2) | instid1(VALU_DEP_2)
	v_alignbit_b32 v82, v84, v82, 31
	s_waitcnt lgkmcnt(0)
	v_add_nc_u16 v84, v94, 1
	v_lshlrev_b32_e32 v82, 1, v82
	ds_store_b16 v80, v84
	ds_load_u16 v96, v82
	v_lshlrev_b32_e32 v84, s8, v34
	s_delay_alu instid0(VALU_DEP_1) | instskip(NEXT) | instid1(VALU_DEP_1)
	v_lshrrev_b32_e32 v86, 19, v84
	v_and_or_b32 v86, 0xe00, v86, v0
	s_delay_alu instid0(VALU_DEP_1) | instskip(SKIP_2) | instid1(VALU_DEP_2)
	v_alignbit_b32 v84, v86, v84, 31
	s_waitcnt lgkmcnt(0)
	v_add_nc_u16 v86, v96, 1
	v_lshlrev_b32_e32 v84, 1, v84
	;; [unrolled: 11-line block ×7, first 2 shown]
	ds_store_b16 v93, v102
	ds_load_u16 v102, v95
	s_waitcnt lgkmcnt(0)
	v_add_nc_u16 v103, v102, 1
	ds_store_b16 v95, v103
	s_waitcnt lgkmcnt(0)
	s_barrier
	buffer_gl0_inv
	ds_load_2addr_b32 v[103:104], v1 offset1:1
	ds_load_2addr_b32 v[105:106], v1 offset0:2 offset1:3
	ds_load_2addr_b32 v[107:108], v1 offset0:4 offset1:5
	;; [unrolled: 1-line block ×3, first 2 shown]
	s_waitcnt lgkmcnt(3)
	v_add_nc_u32_e32 v103, v104, v103
	s_waitcnt lgkmcnt(2)
	s_delay_alu instid0(VALU_DEP_1) | instskip(SKIP_1) | instid1(VALU_DEP_1)
	v_add3_u32 v103, v103, v105, v106
	s_waitcnt lgkmcnt(1)
	v_add3_u32 v103, v103, v107, v108
	s_waitcnt lgkmcnt(0)
	s_delay_alu instid0(VALU_DEP_1) | instskip(NEXT) | instid1(VALU_DEP_1)
	v_add3_u32 v103, v103, v109, v110
	v_mov_b32_dpp v104, v103 row_shr:1 row_mask:0xf bank_mask:0xf
	s_delay_alu instid0(VALU_DEP_1) | instskip(NEXT) | instid1(VALU_DEP_1)
	v_cndmask_b32_e64 v104, v104, 0, s2
	v_add_nc_u32_e32 v103, v104, v103
	s_delay_alu instid0(VALU_DEP_1) | instskip(NEXT) | instid1(VALU_DEP_1)
	v_mov_b32_dpp v104, v103 row_shr:2 row_mask:0xf bank_mask:0xf
	v_cndmask_b32_e64 v104, 0, v104, s3
	s_delay_alu instid0(VALU_DEP_1) | instskip(NEXT) | instid1(VALU_DEP_1)
	v_add_nc_u32_e32 v103, v103, v104
	v_mov_b32_dpp v104, v103 row_shr:4 row_mask:0xf bank_mask:0xf
	s_delay_alu instid0(VALU_DEP_1) | instskip(NEXT) | instid1(VALU_DEP_1)
	v_cndmask_b32_e64 v104, 0, v104, s4
	v_add_nc_u32_e32 v103, v103, v104
	s_delay_alu instid0(VALU_DEP_1) | instskip(NEXT) | instid1(VALU_DEP_1)
	v_mov_b32_dpp v104, v103 row_shr:8 row_mask:0xf bank_mask:0xf
	v_cndmask_b32_e64 v104, 0, v104, s5
	s_delay_alu instid0(VALU_DEP_1) | instskip(SKIP_3) | instid1(VALU_DEP_1)
	v_add_nc_u32_e32 v103, v103, v104
	ds_swizzle_b32 v104, v103 offset:swizzle(BROADCAST,32,15)
	s_waitcnt lgkmcnt(0)
	v_cndmask_b32_e64 v104, v104, 0, s6
	v_add_nc_u32_e32 v103, v103, v104
	s_and_saveexec_b32 s8, s7
	s_cbranch_execz .LBB42_8
; %bb.7:                                ;   in Loop: Header=BB42_4 Depth=2
	ds_store_b32 v4, v103 offset:16384
.LBB42_8:                               ;   in Loop: Header=BB42_4 Depth=2
	s_or_b32 exec_lo, exec_lo, s8
	s_waitcnt lgkmcnt(0)
	s_barrier
	buffer_gl0_inv
	s_and_saveexec_b32 s8, vcc_lo
	s_cbranch_execz .LBB42_10
; %bb.9:                                ;   in Loop: Header=BB42_4 Depth=2
	ds_load_b32 v104, v3 offset:16384
	s_waitcnt lgkmcnt(0)
	v_mov_b32_dpp v105, v104 row_shr:1 row_mask:0xf bank_mask:0xf
	s_delay_alu instid0(VALU_DEP_1) | instskip(NEXT) | instid1(VALU_DEP_1)
	v_cndmask_b32_e64 v105, v105, 0, s2
	v_add_nc_u32_e32 v104, v105, v104
	s_delay_alu instid0(VALU_DEP_1) | instskip(NEXT) | instid1(VALU_DEP_1)
	v_mov_b32_dpp v105, v104 row_shr:2 row_mask:0xf bank_mask:0xf
	v_cndmask_b32_e64 v105, 0, v105, s3
	s_delay_alu instid0(VALU_DEP_1) | instskip(NEXT) | instid1(VALU_DEP_1)
	v_add_nc_u32_e32 v104, v104, v105
	v_mov_b32_dpp v105, v104 row_shr:4 row_mask:0xf bank_mask:0xf
	s_delay_alu instid0(VALU_DEP_1) | instskip(NEXT) | instid1(VALU_DEP_1)
	v_cndmask_b32_e64 v105, 0, v105, s4
	v_add_nc_u32_e32 v104, v104, v105
	s_delay_alu instid0(VALU_DEP_1) | instskip(NEXT) | instid1(VALU_DEP_1)
	v_mov_b32_dpp v105, v104 row_shr:8 row_mask:0xf bank_mask:0xf
	v_cndmask_b32_e64 v105, 0, v105, s5
	s_delay_alu instid0(VALU_DEP_1)
	v_add_nc_u32_e32 v104, v104, v105
	ds_store_b32 v3, v104 offset:16384
.LBB42_10:                              ;   in Loop: Header=BB42_4 Depth=2
	s_or_b32 exec_lo, exec_lo, s8
	v_mov_b32_e32 v104, 0
	s_waitcnt lgkmcnt(0)
	s_barrier
	buffer_gl0_inv
	s_and_saveexec_b32 s8, s0
	s_cbranch_execz .LBB42_3
; %bb.11:                               ;   in Loop: Header=BB42_4 Depth=2
	ds_load_b32 v104, v4 offset:16380
	s_branch .LBB42_3
.LBB42_12:
	v_and_b32_e32 v0, 0xffff, v45
	v_and_b32_e32 v3, 0xffff, v48
	v_and_b32_e32 v4, 0xffff, v50
	v_and_b32_e32 v5, 0xffff, v52
	v_and_b32_e32 v6, 0xffff, v54
	v_and_b32_e32 v7, 0xffff, v56
	v_and_b32_e32 v8, 0xffff, v58
	v_and_b32_e32 v9, 0xffff, v60
	v_and_b32_e32 v10, 0xffff, v61
	v_and_b32_e32 v11, 0xffff, v63
	v_and_b32_e32 v13, 0xffff, v64
	ds_load_u16 v37, v49
	ds_load_u16 v38, v46
	;; [unrolled: 1-line block ×32, first 2 shown]
	v_and_b32_e32 v14, 0xffff, v65
	v_and_b32_e32 v15, 0xffff, v66
	;; [unrolled: 1-line block ×21, first 2 shown]
	s_waitcnt lgkmcnt(24)
	v_add_nc_u32_e32 v2, v2, v0
	v_add_nc_u32_e32 v3, v23, v3
	;; [unrolled: 1-line block ×4, first 2 shown]
	v_lshlrev_b32_e32 v0, 2, v1
	v_add_nc_u32_e32 v6, v40, v6
	v_add_nc_u32_e32 v7, v39, v7
	;; [unrolled: 1-line block ×4, first 2 shown]
	s_waitcnt lgkmcnt(16)
	v_add_nc_u32_e32 v10, v47, v10
	v_add_nc_u32_e32 v11, v48, v11
	;; [unrolled: 1-line block ×4, first 2 shown]
	s_add_u32 s0, s10, s12
	v_add_nc_u32_e32 v14, v45, v15
	v_add_nc_u32_e32 v15, v44, v16
	;; [unrolled: 1-line block ×4, first 2 shown]
	s_addc_u32 s1, s11, s13
	s_waitcnt lgkmcnt(8)
	v_add_nc_u32_e32 v18, v56, v19
	v_add_nc_u32_e32 v19, v55, v20
	;; [unrolled: 1-line block ×8, first 2 shown]
	s_waitcnt lgkmcnt(0)
	v_add_nc_u32_e32 v26, v64, v28
	v_add_nc_u32_e32 v27, v63, v29
	;; [unrolled: 1-line block ×8, first 2 shown]
	s_clause 0x7
	global_store_b128 v0, v[2:5], s[0:1]
	global_store_b128 v0, v[6:9], s[0:1] offset:16
	global_store_b128 v0, v[10:13], s[0:1] offset:32
	;; [unrolled: 1-line block ×7, first 2 shown]
	s_nop 0
	s_sendmsg sendmsg(MSG_DEALLOC_VGPRS)
	s_endpgm
	.section	.rodata,"a",@progbits
	.p2align	6, 0x0
	.amdhsa_kernel _Z11rank_kernelIiLj4ELb0EL18RadixRankAlgorithm0ELj512ELj32ELj10EEvPKT_Pi
		.amdhsa_group_segment_fixed_size 16448
		.amdhsa_private_segment_fixed_size 0
		.amdhsa_kernarg_size 16
		.amdhsa_user_sgpr_count 15
		.amdhsa_user_sgpr_dispatch_ptr 0
		.amdhsa_user_sgpr_queue_ptr 0
		.amdhsa_user_sgpr_kernarg_segment_ptr 1
		.amdhsa_user_sgpr_dispatch_id 0
		.amdhsa_user_sgpr_private_segment_size 0
		.amdhsa_wavefront_size32 1
		.amdhsa_uses_dynamic_stack 0
		.amdhsa_enable_private_segment 0
		.amdhsa_system_sgpr_workgroup_id_x 1
		.amdhsa_system_sgpr_workgroup_id_y 0
		.amdhsa_system_sgpr_workgroup_id_z 0
		.amdhsa_system_sgpr_workgroup_info 0
		.amdhsa_system_vgpr_workitem_id 0
		.amdhsa_next_free_vgpr 111
		.amdhsa_next_free_sgpr 18
		.amdhsa_reserve_vcc 1
		.amdhsa_float_round_mode_32 0
		.amdhsa_float_round_mode_16_64 0
		.amdhsa_float_denorm_mode_32 3
		.amdhsa_float_denorm_mode_16_64 3
		.amdhsa_dx10_clamp 1
		.amdhsa_ieee_mode 1
		.amdhsa_fp16_overflow 0
		.amdhsa_workgroup_processor_mode 1
		.amdhsa_memory_ordered 1
		.amdhsa_forward_progress 0
		.amdhsa_shared_vgpr_count 0
		.amdhsa_exception_fp_ieee_invalid_op 0
		.amdhsa_exception_fp_denorm_src 0
		.amdhsa_exception_fp_ieee_div_zero 0
		.amdhsa_exception_fp_ieee_overflow 0
		.amdhsa_exception_fp_ieee_underflow 0
		.amdhsa_exception_fp_ieee_inexact 0
		.amdhsa_exception_int_div_zero 0
	.end_amdhsa_kernel
	.section	.text._Z11rank_kernelIiLj4ELb0EL18RadixRankAlgorithm0ELj512ELj32ELj10EEvPKT_Pi,"axG",@progbits,_Z11rank_kernelIiLj4ELb0EL18RadixRankAlgorithm0ELj512ELj32ELj10EEvPKT_Pi,comdat
.Lfunc_end42:
	.size	_Z11rank_kernelIiLj4ELb0EL18RadixRankAlgorithm0ELj512ELj32ELj10EEvPKT_Pi, .Lfunc_end42-_Z11rank_kernelIiLj4ELb0EL18RadixRankAlgorithm0ELj512ELj32ELj10EEvPKT_Pi
                                        ; -- End function
	.section	.AMDGPU.csdata,"",@progbits
; Kernel info:
; codeLenInByte = 4200
; NumSgprs: 20
; NumVgprs: 111
; ScratchSize: 0
; MemoryBound: 0
; FloatMode: 240
; IeeeMode: 1
; LDSByteSize: 16448 bytes/workgroup (compile time only)
; SGPRBlocks: 2
; VGPRBlocks: 13
; NumSGPRsForWavesPerEU: 20
; NumVGPRsForWavesPerEU: 111
; Occupancy: 12
; WaveLimiterHint : 0
; COMPUTE_PGM_RSRC2:SCRATCH_EN: 0
; COMPUTE_PGM_RSRC2:USER_SGPR: 15
; COMPUTE_PGM_RSRC2:TRAP_HANDLER: 0
; COMPUTE_PGM_RSRC2:TGID_X_EN: 1
; COMPUTE_PGM_RSRC2:TGID_Y_EN: 0
; COMPUTE_PGM_RSRC2:TGID_Z_EN: 0
; COMPUTE_PGM_RSRC2:TIDIG_COMP_CNT: 0
	.section	.text._Z11rank_kernelIiLj4ELb0EL18RadixRankAlgorithm1ELj512ELj32ELj10EEvPKT_Pi,"axG",@progbits,_Z11rank_kernelIiLj4ELb0EL18RadixRankAlgorithm1ELj512ELj32ELj10EEvPKT_Pi,comdat
	.protected	_Z11rank_kernelIiLj4ELb0EL18RadixRankAlgorithm1ELj512ELj32ELj10EEvPKT_Pi ; -- Begin function _Z11rank_kernelIiLj4ELb0EL18RadixRankAlgorithm1ELj512ELj32ELj10EEvPKT_Pi
	.globl	_Z11rank_kernelIiLj4ELb0EL18RadixRankAlgorithm1ELj512ELj32ELj10EEvPKT_Pi
	.p2align	8
	.type	_Z11rank_kernelIiLj4ELb0EL18RadixRankAlgorithm1ELj512ELj32ELj10EEvPKT_Pi,@function
_Z11rank_kernelIiLj4ELb0EL18RadixRankAlgorithm1ELj512ELj32ELj10EEvPKT_Pi: ; @_Z11rank_kernelIiLj4ELb0EL18RadixRankAlgorithm1ELj512ELj32ELj10EEvPKT_Pi
; %bb.0:
	s_load_b128 s[8:11], s[0:1], 0x0
	s_mov_b32 s17, 0
	s_lshl_b32 s16, s15, 14
	v_dual_mov_b32 v10, 0 :: v_dual_lshlrev_b32 v9, 7, v0
	s_lshl_b64 s[12:13], s[16:17], 2
	v_mbcnt_lo_u32_b32 v12, -1, 0
	v_or_b32_e32 v15, 31, v0
	v_lshrrev_b32_e32 v17, 3, v0
	v_cmp_gt_u32_e32 vcc_lo, 16, v0
	v_lshlrev_b32_e32 v11, 2, v0
	v_add_nc_u32_e32 v16, -1, v12
	v_and_b32_e32 v13, 15, v12
	v_and_b32_e32 v14, 16, v12
	v_cmp_eq_u32_e64 s7, v15, v0
	v_or_b32_e32 v49, 0xfffffe00, v0
	v_cmp_gt_i32_e64 s5, 0, v16
	v_cmp_eq_u32_e64 s2, 0, v13
	v_cmp_lt_u32_e64 s3, 1, v13
	v_cmp_lt_u32_e64 s4, 3, v13
	s_waitcnt lgkmcnt(0)
	s_add_u32 s0, s8, s12
	s_addc_u32 s1, s9, s13
	v_cndmask_b32_e64 v16, v16, v12, s5
	s_clause 0x7
	global_load_b128 v[1:4], v9, s[0:1]
	global_load_b128 v[5:8], v9, s[0:1] offset:16
	global_load_b128 v[23:26], v9, s[0:1] offset:32
	;; [unrolled: 1-line block ×7, first 2 shown]
	v_lshlrev_b32_e32 v9, 5, v0
	v_cmp_lt_u32_e64 s0, 31, v0
	v_cmp_eq_u32_e64 s1, 0, v12
	v_cmp_lt_u32_e64 s5, 7, v13
	v_cmp_eq_u32_e64 s6, 0, v14
	v_and_b32_e32 v12, 60, v17
	v_lshlrev_b32_e32 v13, 2, v16
	s_waitcnt vmcnt(7)
	v_xor_b32_e32 v14, 0x80000000, v1
	v_xor_b32_e32 v15, 0x80000000, v2
	v_xor_b32_e32 v16, 0x80000000, v3
	v_xor_b32_e32 v17, 0x80000000, v4
	s_waitcnt vmcnt(6)
	v_xor_b32_e32 v18, 0x80000000, v5
	v_xor_b32_e32 v19, 0x80000000, v6
	v_xor_b32_e32 v21, 0x80000000, v7
	v_xor_b32_e32 v22, 0x80000000, v8
	;; [unrolled: 5-line block ×8, first 2 shown]
	s_branch .LBB43_2
.LBB43_1:                               ;   in Loop: Header=BB43_2 Depth=1
	s_add_i32 s17, s17, 1
	s_delay_alu instid0(SALU_CYCLE_1)
	s_cmp_eq_u32 s17, 10
	s_cbranch_scc1 .LBB43_12
.LBB43_2:                               ; =>This Loop Header: Depth=1
                                        ;     Child Loop BB43_4 Depth 2
                                        ;       Child Loop BB43_5 Depth 3
	s_mov_b32 s9, 0
	s_branch .LBB43_4
.LBB43_3:                               ;   in Loop: Header=BB43_4 Depth=2
	s_or_b32 exec_lo, exec_lo, s8
	s_waitcnt lgkmcnt(0)
	v_add_nc_u32_e32 v2, v111, v2
	ds_load_b32 v112, v10 offset:16444
	s_add_i32 s8, s9, 4
	s_cmp_lt_u32 s9, 28
	s_mov_b32 s9, s8
	ds_bpermute_b32 v2, v13, v2
	s_waitcnt lgkmcnt(0)
	v_cndmask_b32_e64 v2, v2, v111, s1
	s_delay_alu instid0(VALU_DEP_1) | instskip(NEXT) | instid1(VALU_DEP_1)
	v_lshl_add_u32 v2, v112, 16, v2
	v_add_nc_u32_e32 v3, v2, v3
	s_delay_alu instid0(VALU_DEP_1) | instskip(NEXT) | instid1(VALU_DEP_1)
	v_add_nc_u32_e32 v4, v3, v4
	v_add_nc_u32_e32 v5, v4, v5
	s_delay_alu instid0(VALU_DEP_1) | instskip(NEXT) | instid1(VALU_DEP_1)
	v_add_nc_u32_e32 v6, v5, v6
	;; [unrolled: 3-line block ×3, first 2 shown]
	v_add_nc_u32_e32 v1, v8, v1
	ds_store_2addr_b32 v9, v2, v3 offset1:1
	ds_store_2addr_b32 v9, v4, v5 offset0:2 offset1:3
	ds_store_2addr_b32 v9, v6, v7 offset0:4 offset1:5
	;; [unrolled: 1-line block ×3, first 2 shown]
	s_waitcnt lgkmcnt(0)
	s_barrier
	buffer_gl0_inv
	s_cbranch_scc0 .LBB43_1
.LBB43_4:                               ;   Parent Loop BB43_2 Depth=1
                                        ; =>  This Loop Header: Depth=2
                                        ;       Child Loop BB43_5 Depth 3
	v_dual_mov_b32 v1, v49 :: v_dual_mov_b32 v2, v11
	s_mov_b32 s14, 0
.LBB43_5:                               ;   Parent Loop BB43_2 Depth=1
                                        ;     Parent Loop BB43_4 Depth=2
                                        ; =>    This Inner Loop Header: Depth=3
	s_delay_alu instid0(VALU_DEP_1) | instskip(SKIP_3) | instid1(VALU_DEP_1)
	v_add_nc_u32_e32 v1, 0x200, v1
	ds_store_b32 v2, v10
	v_add_nc_u32_e32 v2, 0x800, v2
	v_cmp_lt_u32_e64 s8, 0xdff, v1
	s_or_b32 s14, s8, s14
	s_delay_alu instid0(SALU_CYCLE_1)
	s_and_not1_b32 exec_lo, exec_lo, s14
	s_cbranch_execnz .LBB43_5
; %bb.6:                                ;   in Loop: Header=BB43_4 Depth=2
	s_or_b32 exec_lo, exec_lo, s14
	s_sub_i32 s8, 28, s9
	s_delay_alu instid0(SALU_CYCLE_1) | instskip(NEXT) | instid1(VALU_DEP_1)
	v_lshlrev_b32_e32 v1, s8, v14
	v_lshrrev_b32_e32 v2, 19, v1
	s_delay_alu instid0(VALU_DEP_1) | instskip(NEXT) | instid1(VALU_DEP_1)
	v_and_or_b32 v2, 0xe00, v2, v0
	v_alignbit_b32 v1, v2, v1, 31
	s_delay_alu instid0(VALU_DEP_1) | instskip(SKIP_3) | instid1(VALU_DEP_1)
	v_lshlrev_b32_e32 v20, 1, v1
	v_lshlrev_b32_e32 v1, s8, v15
	ds_load_u16 v53, v20
	v_lshrrev_b32_e32 v2, 19, v1
	v_and_or_b32 v2, 0xe00, v2, v0
	s_delay_alu instid0(VALU_DEP_1) | instskip(NEXT) | instid1(VALU_DEP_1)
	v_alignbit_b32 v1, v2, v1, 31
	v_lshlrev_b32_e32 v31, 1, v1
	v_lshlrev_b32_e32 v1, s8, v16
	s_waitcnt lgkmcnt(0)
	v_add_nc_u16 v2, v53, 1
	ds_store_b16 v20, v2
	ds_load_u16 v56, v31
	v_lshrrev_b32_e32 v2, 19, v1
	s_delay_alu instid0(VALU_DEP_1) | instskip(NEXT) | instid1(VALU_DEP_1)
	v_and_or_b32 v2, 0xe00, v2, v0
	v_alignbit_b32 v1, v2, v1, 31
	s_delay_alu instid0(VALU_DEP_1)
	v_lshlrev_b32_e32 v43, 1, v1
	v_lshlrev_b32_e32 v1, s8, v17
	s_waitcnt lgkmcnt(0)
	v_add_nc_u16 v2, v56, 1
	ds_store_b16 v31, v2
	ds_load_u16 v58, v43
	v_lshrrev_b32_e32 v2, 19, v1
	s_delay_alu instid0(VALU_DEP_1) | instskip(NEXT) | instid1(VALU_DEP_1)
	v_and_or_b32 v2, 0xe00, v2, v0
	v_alignbit_b32 v1, v2, v1, 31
	s_delay_alu instid0(VALU_DEP_1)
	;; [unrolled: 11-line block ×30, first 2 shown]
	v_lshlrev_b32_e32 v103, 1, v1
	s_waitcnt lgkmcnt(0)
	v_add_nc_u16 v2, v109, 1
	ds_store_b16 v101, v2
	ds_load_u16 v110, v103
	s_waitcnt lgkmcnt(0)
	v_add_nc_u16 v1, v110, 1
	ds_store_b16 v103, v1
	s_waitcnt lgkmcnt(0)
	s_barrier
	buffer_gl0_inv
	ds_load_2addr_b32 v[3:4], v9 offset1:1
	ds_load_2addr_b32 v[5:6], v9 offset0:2 offset1:3
	ds_load_2addr_b32 v[7:8], v9 offset0:4 offset1:5
	;; [unrolled: 1-line block ×3, first 2 shown]
	s_waitcnt lgkmcnt(3)
	v_add_nc_u32_e32 v111, v4, v3
	s_waitcnt lgkmcnt(2)
	s_delay_alu instid0(VALU_DEP_1) | instskip(SKIP_1) | instid1(VALU_DEP_1)
	v_add3_u32 v111, v111, v5, v6
	s_waitcnt lgkmcnt(1)
	v_add3_u32 v111, v111, v7, v8
	s_waitcnt lgkmcnt(0)
	s_delay_alu instid0(VALU_DEP_1) | instskip(NEXT) | instid1(VALU_DEP_1)
	v_add3_u32 v2, v111, v1, v2
	v_mov_b32_dpp v111, v2 row_shr:1 row_mask:0xf bank_mask:0xf
	s_delay_alu instid0(VALU_DEP_1) | instskip(NEXT) | instid1(VALU_DEP_1)
	v_cndmask_b32_e64 v111, v111, 0, s2
	v_add_nc_u32_e32 v2, v111, v2
	s_delay_alu instid0(VALU_DEP_1) | instskip(NEXT) | instid1(VALU_DEP_1)
	v_mov_b32_dpp v111, v2 row_shr:2 row_mask:0xf bank_mask:0xf
	v_cndmask_b32_e64 v111, 0, v111, s3
	s_delay_alu instid0(VALU_DEP_1) | instskip(NEXT) | instid1(VALU_DEP_1)
	v_add_nc_u32_e32 v2, v2, v111
	v_mov_b32_dpp v111, v2 row_shr:4 row_mask:0xf bank_mask:0xf
	s_delay_alu instid0(VALU_DEP_1) | instskip(NEXT) | instid1(VALU_DEP_1)
	v_cndmask_b32_e64 v111, 0, v111, s4
	v_add_nc_u32_e32 v2, v2, v111
	s_delay_alu instid0(VALU_DEP_1) | instskip(NEXT) | instid1(VALU_DEP_1)
	v_mov_b32_dpp v111, v2 row_shr:8 row_mask:0xf bank_mask:0xf
	v_cndmask_b32_e64 v111, 0, v111, s5
	s_delay_alu instid0(VALU_DEP_1) | instskip(SKIP_3) | instid1(VALU_DEP_1)
	v_add_nc_u32_e32 v2, v2, v111
	ds_swizzle_b32 v111, v2 offset:swizzle(BROADCAST,32,15)
	s_waitcnt lgkmcnt(0)
	v_cndmask_b32_e64 v111, v111, 0, s6
	v_add_nc_u32_e32 v2, v2, v111
	s_and_saveexec_b32 s8, s7
	s_cbranch_execz .LBB43_8
; %bb.7:                                ;   in Loop: Header=BB43_4 Depth=2
	ds_store_b32 v12, v2 offset:16384
.LBB43_8:                               ;   in Loop: Header=BB43_4 Depth=2
	s_or_b32 exec_lo, exec_lo, s8
	s_waitcnt lgkmcnt(0)
	s_barrier
	buffer_gl0_inv
	s_and_saveexec_b32 s8, vcc_lo
	s_cbranch_execz .LBB43_10
; %bb.9:                                ;   in Loop: Header=BB43_4 Depth=2
	ds_load_b32 v111, v11 offset:16384
	s_waitcnt lgkmcnt(0)
	v_mov_b32_dpp v112, v111 row_shr:1 row_mask:0xf bank_mask:0xf
	s_delay_alu instid0(VALU_DEP_1) | instskip(NEXT) | instid1(VALU_DEP_1)
	v_cndmask_b32_e64 v112, v112, 0, s2
	v_add_nc_u32_e32 v111, v112, v111
	s_delay_alu instid0(VALU_DEP_1) | instskip(NEXT) | instid1(VALU_DEP_1)
	v_mov_b32_dpp v112, v111 row_shr:2 row_mask:0xf bank_mask:0xf
	v_cndmask_b32_e64 v112, 0, v112, s3
	s_delay_alu instid0(VALU_DEP_1) | instskip(NEXT) | instid1(VALU_DEP_1)
	v_add_nc_u32_e32 v111, v111, v112
	v_mov_b32_dpp v112, v111 row_shr:4 row_mask:0xf bank_mask:0xf
	s_delay_alu instid0(VALU_DEP_1) | instskip(NEXT) | instid1(VALU_DEP_1)
	v_cndmask_b32_e64 v112, 0, v112, s4
	v_add_nc_u32_e32 v111, v111, v112
	s_delay_alu instid0(VALU_DEP_1) | instskip(NEXT) | instid1(VALU_DEP_1)
	v_mov_b32_dpp v112, v111 row_shr:8 row_mask:0xf bank_mask:0xf
	v_cndmask_b32_e64 v112, 0, v112, s5
	s_delay_alu instid0(VALU_DEP_1)
	v_add_nc_u32_e32 v111, v111, v112
	ds_store_b32 v11, v111 offset:16384
.LBB43_10:                              ;   in Loop: Header=BB43_4 Depth=2
	s_or_b32 exec_lo, exec_lo, s8
	v_mov_b32_e32 v111, 0
	s_waitcnt lgkmcnt(0)
	s_barrier
	buffer_gl0_inv
	s_and_saveexec_b32 s8, s0
	s_cbranch_execz .LBB43_3
; %bb.11:                               ;   in Loop: Header=BB43_4 Depth=2
	ds_load_b32 v111, v12 offset:16380
	s_branch .LBB43_3
.LBB43_12:
	v_and_b32_e32 v0, 0xffff, v53
	v_and_b32_e32 v1, 0xffff, v56
	;; [unrolled: 1-line block ×6, first 2 shown]
	ds_load_u16 v10, v57
	ds_load_u16 v36, v54
	;; [unrolled: 1-line block ×32, first 2 shown]
	v_and_b32_e32 v7, 0xffff, v68
	v_and_b32_e32 v8, 0xffff, v69
	;; [unrolled: 1-line block ×26, first 2 shown]
	s_waitcnt lgkmcnt(24)
	v_add_nc_u32_e32 v0, v20, v0
	v_add_nc_u32_e32 v1, v31, v1
	;; [unrolled: 1-line block ×5, first 2 shown]
	s_waitcnt lgkmcnt(16)
	v_add_nc_u32_e32 v10, v48, v8
	v_lshlrev_b32_e32 v8, 2, v9
	v_add_nc_u32_e32 v4, v38, v4
	v_add_nc_u32_e32 v5, v37, v5
	;; [unrolled: 1-line block ×6, first 2 shown]
	s_add_u32 s0, s10, s12
	v_add_nc_u32_e32 v14, v44, v14
	v_add_nc_u32_e32 v15, v43, v15
	v_add_nc_u32_e32 v16, v42, v16
	v_add_nc_u32_e32 v17, v41, v17
	s_addc_u32 s1, s11, s13
	s_waitcnt lgkmcnt(8)
	v_add_nc_u32_e32 v18, v56, v18
	v_add_nc_u32_e32 v19, v55, v19
	;; [unrolled: 1-line block ×8, first 2 shown]
	s_waitcnt lgkmcnt(0)
	v_add_nc_u32_e32 v26, v64, v27
	v_add_nc_u32_e32 v27, v63, v28
	;; [unrolled: 1-line block ×8, first 2 shown]
	s_clause 0x7
	global_store_b128 v8, v[0:3], s[0:1]
	global_store_b128 v8, v[4:7], s[0:1] offset:16
	global_store_b128 v8, v[10:13], s[0:1] offset:32
	;; [unrolled: 1-line block ×7, first 2 shown]
	s_nop 0
	s_sendmsg sendmsg(MSG_DEALLOC_VGPRS)
	s_endpgm
	.section	.rodata,"a",@progbits
	.p2align	6, 0x0
	.amdhsa_kernel _Z11rank_kernelIiLj4ELb0EL18RadixRankAlgorithm1ELj512ELj32ELj10EEvPKT_Pi
		.amdhsa_group_segment_fixed_size 16448
		.amdhsa_private_segment_fixed_size 0
		.amdhsa_kernarg_size 16
		.amdhsa_user_sgpr_count 15
		.amdhsa_user_sgpr_dispatch_ptr 0
		.amdhsa_user_sgpr_queue_ptr 0
		.amdhsa_user_sgpr_kernarg_segment_ptr 1
		.amdhsa_user_sgpr_dispatch_id 0
		.amdhsa_user_sgpr_private_segment_size 0
		.amdhsa_wavefront_size32 1
		.amdhsa_uses_dynamic_stack 0
		.amdhsa_enable_private_segment 0
		.amdhsa_system_sgpr_workgroup_id_x 1
		.amdhsa_system_sgpr_workgroup_id_y 0
		.amdhsa_system_sgpr_workgroup_id_z 0
		.amdhsa_system_sgpr_workgroup_info 0
		.amdhsa_system_vgpr_workitem_id 0
		.amdhsa_next_free_vgpr 113
		.amdhsa_next_free_sgpr 18
		.amdhsa_reserve_vcc 1
		.amdhsa_float_round_mode_32 0
		.amdhsa_float_round_mode_16_64 0
		.amdhsa_float_denorm_mode_32 3
		.amdhsa_float_denorm_mode_16_64 3
		.amdhsa_dx10_clamp 1
		.amdhsa_ieee_mode 1
		.amdhsa_fp16_overflow 0
		.amdhsa_workgroup_processor_mode 1
		.amdhsa_memory_ordered 1
		.amdhsa_forward_progress 0
		.amdhsa_shared_vgpr_count 0
		.amdhsa_exception_fp_ieee_invalid_op 0
		.amdhsa_exception_fp_denorm_src 0
		.amdhsa_exception_fp_ieee_div_zero 0
		.amdhsa_exception_fp_ieee_overflow 0
		.amdhsa_exception_fp_ieee_underflow 0
		.amdhsa_exception_fp_ieee_inexact 0
		.amdhsa_exception_int_div_zero 0
	.end_amdhsa_kernel
	.section	.text._Z11rank_kernelIiLj4ELb0EL18RadixRankAlgorithm1ELj512ELj32ELj10EEvPKT_Pi,"axG",@progbits,_Z11rank_kernelIiLj4ELb0EL18RadixRankAlgorithm1ELj512ELj32ELj10EEvPKT_Pi,comdat
.Lfunc_end43:
	.size	_Z11rank_kernelIiLj4ELb0EL18RadixRankAlgorithm1ELj512ELj32ELj10EEvPKT_Pi, .Lfunc_end43-_Z11rank_kernelIiLj4ELb0EL18RadixRankAlgorithm1ELj512ELj32ELj10EEvPKT_Pi
                                        ; -- End function
	.section	.AMDGPU.csdata,"",@progbits
; Kernel info:
; codeLenInByte = 4156
; NumSgprs: 20
; NumVgprs: 113
; ScratchSize: 0
; MemoryBound: 0
; FloatMode: 240
; IeeeMode: 1
; LDSByteSize: 16448 bytes/workgroup (compile time only)
; SGPRBlocks: 2
; VGPRBlocks: 14
; NumSGPRsForWavesPerEU: 20
; NumVGPRsForWavesPerEU: 113
; Occupancy: 12
; WaveLimiterHint : 0
; COMPUTE_PGM_RSRC2:SCRATCH_EN: 0
; COMPUTE_PGM_RSRC2:USER_SGPR: 15
; COMPUTE_PGM_RSRC2:TRAP_HANDLER: 0
; COMPUTE_PGM_RSRC2:TGID_X_EN: 1
; COMPUTE_PGM_RSRC2:TGID_Y_EN: 0
; COMPUTE_PGM_RSRC2:TGID_Z_EN: 0
; COMPUTE_PGM_RSRC2:TIDIG_COMP_CNT: 0
	.section	.text._Z11rank_kernelIiLj4ELb0EL18RadixRankAlgorithm2ELj512ELj32ELj10EEvPKT_Pi,"axG",@progbits,_Z11rank_kernelIiLj4ELb0EL18RadixRankAlgorithm2ELj512ELj32ELj10EEvPKT_Pi,comdat
	.protected	_Z11rank_kernelIiLj4ELb0EL18RadixRankAlgorithm2ELj512ELj32ELj10EEvPKT_Pi ; -- Begin function _Z11rank_kernelIiLj4ELb0EL18RadixRankAlgorithm2ELj512ELj32ELj10EEvPKT_Pi
	.globl	_Z11rank_kernelIiLj4ELb0EL18RadixRankAlgorithm2ELj512ELj32ELj10EEvPKT_Pi
	.p2align	8
	.type	_Z11rank_kernelIiLj4ELb0EL18RadixRankAlgorithm2ELj512ELj32ELj10EEvPKT_Pi,@function
_Z11rank_kernelIiLj4ELb0EL18RadixRankAlgorithm2ELj512ELj32ELj10EEvPKT_Pi: ; @_Z11rank_kernelIiLj4ELb0EL18RadixRankAlgorithm2ELj512ELj32ELj10EEvPKT_Pi
; %bb.0:
	s_clause 0x1
	s_load_b128 s[8:11], s[0:1], 0x0
	s_load_b32 s5, s[0:1], 0x1c
	v_and_b32_e32 v3, 0x3ff, v0
	s_mov_b32 s17, 0
	s_lshl_b32 s16, s15, 14
	v_mbcnt_lo_u32_b32 v4, -1, 0
	s_lshl_b64 s[12:13], s[16:17], 2
	v_lshlrev_b32_e32 v1, 7, v3
	v_bfe_u32 v5, v0, 10, 10
	v_bfe_u32 v38, v0, 20, 10
	v_and_b32_e32 v39, 15, v4
	v_add_nc_u32_e32 v41, -1, v4
	v_cmp_eq_u32_e32 vcc_lo, 0, v4
	v_lshlrev_b32_e32 v0, 5, v3
	v_lshlrev_b32_e32 v2, 2, v3
	v_cmp_lt_u32_e64 s2, 3, v39
	v_cmp_lt_u32_e64 s3, 7, v39
	;; [unrolled: 1-line block ×3, first 2 shown]
	v_and_b32_e32 v40, 16, v4
	s_waitcnt lgkmcnt(0)
	s_add_u32 s0, s8, s12
	s_addc_u32 s1, s9, s13
	s_clause 0x7
	global_load_b128 v[6:9], v1, s[0:1]
	global_load_b128 v[10:13], v1, s[0:1] offset:16
	global_load_b128 v[14:17], v1, s[0:1] offset:32
	;; [unrolled: 1-line block ×7, first 2 shown]
	s_lshr_b32 s4, s5, 16
	s_and_b32 s5, s5, 0xffff
	v_mad_u32_u24 v5, v38, s4, v5
	v_mov_b32_e32 v1, 0
	v_cmp_eq_u32_e64 s0, 0, v39
	v_cmp_lt_u32_e64 s1, 1, v39
	v_cmp_eq_u32_e64 s4, 0, v40
	v_mad_u64_u32 v[38:39], null, v5, s5, v[3:4]
	v_cmp_gt_i32_e64 s5, 0, v41
	v_or_b32_e32 v40, 31, v3
	v_lshrrev_b32_e32 v5, 3, v3
	s_delay_alu instid0(VALU_DEP_3) | instskip(SKIP_1) | instid1(VALU_DEP_4)
	v_cndmask_b32_e64 v4, v41, v4, s5
	v_cmp_gt_u32_e64 s5, 16, v3
	v_cmp_eq_u32_e64 s7, v40, v3
	s_delay_alu instid0(VALU_DEP_3) | instskip(SKIP_2) | instid1(VALU_DEP_2)
	v_lshlrev_b32_e32 v3, 2, v4
	v_and_b32_e32 v4, 60, v5
	v_lshrrev_b32_e32 v5, 5, v38
	v_add_nc_u32_e32 v38, -4, v4
	s_waitcnt vmcnt(7)
	v_xor_b32_e32 v6, 0x80000000, v6
	v_xor_b32_e32 v7, 0x80000000, v7
	v_xor_b32_e32 v8, 0x80000000, v8
	v_xor_b32_e32 v9, 0x80000000, v9
	s_waitcnt vmcnt(6)
	v_xor_b32_e32 v10, 0x80000000, v10
	v_xor_b32_e32 v11, 0x80000000, v11
	v_xor_b32_e32 v12, 0x80000000, v12
	v_xor_b32_e32 v13, 0x80000000, v13
	;; [unrolled: 5-line block ×8, first 2 shown]
	s_branch .LBB44_2
.LBB44_1:                               ;   in Loop: Header=BB44_2 Depth=1
	s_add_i32 s17, s17, 1
	s_delay_alu instid0(SALU_CYCLE_1)
	s_cmp_eq_u32 s17, 10
	s_cbranch_scc1 .LBB44_74
.LBB44_2:                               ; =>This Loop Header: Depth=1
                                        ;     Child Loop BB44_4 Depth 2
	s_mov_b32 s14, -4
	s_mov_b32 s15, 28
	s_branch .LBB44_4
.LBB44_3:                               ;   in Loop: Header=BB44_4 Depth=2
	s_or_b32 exec_lo, exec_lo, s8
	s_waitcnt lgkmcnt(0)
	v_add_nc_u32_e32 v134, v135, v134
	s_add_i32 s14, s14, 4
	s_add_i32 s15, s15, -4
	s_cmp_lt_u32 s14, 28
	ds_bpermute_b32 v134, v3, v134
	s_waitcnt lgkmcnt(0)
	v_cndmask_b32_e32 v134, v134, v135, vcc_lo
	ds_store_b32 v2, v134 offset:64
	s_waitcnt lgkmcnt(0)
	s_barrier
	buffer_gl0_inv
	s_cbranch_scc0 .LBB44_1
.LBB44_4:                               ;   Parent Loop BB44_2 Depth=1
                                        ; =>  This Inner Loop Header: Depth=2
	v_lshlrev_b32_e32 v39, s15, v6
	ds_store_b32 v2, v1 offset:64
	s_waitcnt lgkmcnt(0)
	s_barrier
	buffer_gl0_inv
	v_bfe_u32 v40, v39, 28, 1
	v_lshrrev_b32_e32 v42, 28, v39
	v_not_b32_e32 v45, v39
	; wave barrier
	s_delay_alu instid0(VALU_DEP_3) | instskip(NEXT) | instid1(VALU_DEP_1)
	v_add_co_u32 v40, s8, v40, -1
	v_cndmask_b32_e64 v41, 0, 1, s8
	s_delay_alu instid0(VALU_DEP_4) | instskip(SKIP_1) | instid1(VALU_DEP_3)
	v_lshlrev_b32_e32 v43, 30, v42
	v_lshlrev_b32_e32 v44, 29, v42
	v_cmp_ne_u32_e64 s8, 0, v41
	s_delay_alu instid0(VALU_DEP_3) | instskip(SKIP_1) | instid1(VALU_DEP_4)
	v_not_b32_e32 v41, v43
	v_cmp_gt_i32_e64 s9, 0, v43
	v_not_b32_e32 v43, v44
	s_delay_alu instid0(VALU_DEP_4) | instskip(NEXT) | instid1(VALU_DEP_4)
	v_xor_b32_e32 v40, s8, v40
	v_ashrrev_i32_e32 v41, 31, v41
	v_cmp_gt_i32_e64 s8, 0, v44
	s_delay_alu instid0(VALU_DEP_4) | instskip(NEXT) | instid1(VALU_DEP_4)
	v_ashrrev_i32_e32 v43, 31, v43
	v_and_b32_e32 v40, exec_lo, v40
	s_delay_alu instid0(VALU_DEP_4) | instskip(SKIP_3) | instid1(VALU_DEP_4)
	v_xor_b32_e32 v41, s9, v41
	v_cmp_gt_i32_e64 s9, 0, v39
	v_ashrrev_i32_e32 v39, 31, v45
	v_xor_b32_e32 v43, s8, v43
	v_and_b32_e32 v40, v40, v41
	s_delay_alu instid0(VALU_DEP_3) | instskip(NEXT) | instid1(VALU_DEP_2)
	v_xor_b32_e32 v39, s9, v39
	v_and_b32_e32 v40, v40, v43
	s_delay_alu instid0(VALU_DEP_1) | instskip(SKIP_1) | instid1(VALU_DEP_2)
	v_and_b32_e32 v41, v40, v39
	v_mad_u32_u24 v40, v42, 17, v5
	v_mbcnt_lo_u32_b32 v39, v41, 0
	v_cmp_ne_u32_e64 s9, 0, v41
	s_delay_alu instid0(VALU_DEP_3) | instskip(NEXT) | instid1(VALU_DEP_3)
	v_lshl_add_u32 v40, v40, 2, 64
	v_cmp_eq_u32_e64 s8, 0, v39
	s_delay_alu instid0(VALU_DEP_1) | instskip(NEXT) | instid1(SALU_CYCLE_1)
	s_and_b32 s9, s8, s9
	s_and_saveexec_b32 s8, s9
	s_cbranch_execz .LBB44_6
; %bb.5:                                ;   in Loop: Header=BB44_4 Depth=2
	v_bcnt_u32_b32 v41, v41, 0
	ds_store_b32 v40, v41
.LBB44_6:                               ;   in Loop: Header=BB44_4 Depth=2
	s_or_b32 exec_lo, exec_lo, s8
	v_lshlrev_b32_e32 v41, s15, v7
	; wave barrier
	s_delay_alu instid0(VALU_DEP_1) | instskip(SKIP_2) | instid1(VALU_DEP_3)
	v_bfe_u32 v42, v41, 28, 1
	v_lshrrev_b32_e32 v43, 28, v41
	v_not_b32_e32 v47, v41
	v_add_co_u32 v42, s8, v42, -1
	s_delay_alu instid0(VALU_DEP_1) | instskip(NEXT) | instid1(VALU_DEP_4)
	v_cndmask_b32_e64 v44, 0, 1, s8
	v_lshlrev_b32_e32 v45, 30, v43
	v_lshlrev_b32_e32 v46, 29, v43
	s_delay_alu instid0(VALU_DEP_3) | instskip(NEXT) | instid1(VALU_DEP_3)
	v_cmp_ne_u32_e64 s8, 0, v44
	v_not_b32_e32 v44, v45
	v_cmp_gt_i32_e64 s9, 0, v45
	s_delay_alu instid0(VALU_DEP_4) | instskip(NEXT) | instid1(VALU_DEP_4)
	v_not_b32_e32 v45, v46
	v_xor_b32_e32 v42, s8, v42
	s_delay_alu instid0(VALU_DEP_4) | instskip(SKIP_1) | instid1(VALU_DEP_4)
	v_ashrrev_i32_e32 v44, 31, v44
	v_cmp_gt_i32_e64 s8, 0, v46
	v_ashrrev_i32_e32 v45, 31, v45
	s_delay_alu instid0(VALU_DEP_4) | instskip(NEXT) | instid1(VALU_DEP_4)
	v_and_b32_e32 v42, exec_lo, v42
	v_xor_b32_e32 v44, s9, v44
	v_cmp_gt_i32_e64 s9, 0, v41
	v_mul_u32_u24_e32 v41, 17, v43
	v_ashrrev_i32_e32 v43, 31, v47
	v_xor_b32_e32 v45, s8, v45
	v_and_b32_e32 v42, v42, v44
	s_delay_alu instid0(VALU_DEP_4) | instskip(NEXT) | instid1(VALU_DEP_4)
	v_add_lshl_u32 v46, v41, v5, 2
	v_xor_b32_e32 v43, s9, v43
	s_delay_alu instid0(VALU_DEP_3) | instskip(SKIP_3) | instid1(VALU_DEP_2)
	v_and_b32_e32 v42, v42, v45
	ds_load_b32 v41, v46 offset:64
	; wave barrier
	v_and_b32_e32 v44, v42, v43
	v_add_nc_u32_e32 v43, 64, v46
	v_mbcnt_lo_u32_b32 v42, v44, 0
	v_cmp_ne_u32_e64 s9, 0, v44
	s_delay_alu instid0(VALU_DEP_2) | instskip(NEXT) | instid1(VALU_DEP_1)
	v_cmp_eq_u32_e64 s8, 0, v42
	s_and_b32 s9, s9, s8
	s_delay_alu instid0(SALU_CYCLE_1)
	s_and_saveexec_b32 s8, s9
	s_cbranch_execz .LBB44_8
; %bb.7:                                ;   in Loop: Header=BB44_4 Depth=2
	s_waitcnt lgkmcnt(0)
	v_bcnt_u32_b32 v44, v44, v41
	ds_store_b32 v43, v44
.LBB44_8:                               ;   in Loop: Header=BB44_4 Depth=2
	s_or_b32 exec_lo, exec_lo, s8
	v_lshlrev_b32_e32 v44, s15, v8
	; wave barrier
	s_delay_alu instid0(VALU_DEP_1) | instskip(SKIP_2) | instid1(VALU_DEP_3)
	v_bfe_u32 v45, v44, 28, 1
	v_lshrrev_b32_e32 v46, 28, v44
	v_not_b32_e32 v50, v44
	v_add_co_u32 v45, s8, v45, -1
	s_delay_alu instid0(VALU_DEP_1) | instskip(NEXT) | instid1(VALU_DEP_4)
	v_cndmask_b32_e64 v47, 0, 1, s8
	v_lshlrev_b32_e32 v48, 30, v46
	v_lshlrev_b32_e32 v49, 29, v46
	s_delay_alu instid0(VALU_DEP_3) | instskip(NEXT) | instid1(VALU_DEP_3)
	v_cmp_ne_u32_e64 s8, 0, v47
	v_not_b32_e32 v47, v48
	v_cmp_gt_i32_e64 s9, 0, v48
	s_delay_alu instid0(VALU_DEP_4) | instskip(NEXT) | instid1(VALU_DEP_4)
	v_not_b32_e32 v48, v49
	v_xor_b32_e32 v45, s8, v45
	s_delay_alu instid0(VALU_DEP_4) | instskip(SKIP_1) | instid1(VALU_DEP_4)
	v_ashrrev_i32_e32 v47, 31, v47
	v_cmp_gt_i32_e64 s8, 0, v49
	v_ashrrev_i32_e32 v48, 31, v48
	s_delay_alu instid0(VALU_DEP_4) | instskip(NEXT) | instid1(VALU_DEP_4)
	v_and_b32_e32 v45, exec_lo, v45
	v_xor_b32_e32 v47, s9, v47
	v_cmp_gt_i32_e64 s9, 0, v44
	v_mul_u32_u24_e32 v44, 17, v46
	v_ashrrev_i32_e32 v46, 31, v50
	v_xor_b32_e32 v48, s8, v48
	v_and_b32_e32 v45, v45, v47
	s_delay_alu instid0(VALU_DEP_4) | instskip(NEXT) | instid1(VALU_DEP_4)
	v_add_lshl_u32 v49, v44, v5, 2
	v_xor_b32_e32 v46, s9, v46
	s_delay_alu instid0(VALU_DEP_3) | instskip(SKIP_3) | instid1(VALU_DEP_2)
	v_and_b32_e32 v45, v45, v48
	ds_load_b32 v44, v49 offset:64
	; wave barrier
	v_and_b32_e32 v47, v45, v46
	v_add_nc_u32_e32 v46, 64, v49
	v_mbcnt_lo_u32_b32 v45, v47, 0
	v_cmp_ne_u32_e64 s9, 0, v47
	s_delay_alu instid0(VALU_DEP_2) | instskip(NEXT) | instid1(VALU_DEP_1)
	v_cmp_eq_u32_e64 s8, 0, v45
	s_and_b32 s9, s9, s8
	s_delay_alu instid0(SALU_CYCLE_1)
	s_and_saveexec_b32 s8, s9
	s_cbranch_execz .LBB44_10
; %bb.9:                                ;   in Loop: Header=BB44_4 Depth=2
	s_waitcnt lgkmcnt(0)
	v_bcnt_u32_b32 v47, v47, v44
	ds_store_b32 v46, v47
.LBB44_10:                              ;   in Loop: Header=BB44_4 Depth=2
	s_or_b32 exec_lo, exec_lo, s8
	v_lshlrev_b32_e32 v47, s15, v9
	; wave barrier
	s_delay_alu instid0(VALU_DEP_1) | instskip(SKIP_2) | instid1(VALU_DEP_3)
	v_bfe_u32 v48, v47, 28, 1
	v_lshrrev_b32_e32 v49, 28, v47
	v_not_b32_e32 v53, v47
	v_add_co_u32 v48, s8, v48, -1
	s_delay_alu instid0(VALU_DEP_1) | instskip(NEXT) | instid1(VALU_DEP_4)
	v_cndmask_b32_e64 v50, 0, 1, s8
	v_lshlrev_b32_e32 v51, 30, v49
	v_lshlrev_b32_e32 v52, 29, v49
	s_delay_alu instid0(VALU_DEP_3) | instskip(NEXT) | instid1(VALU_DEP_3)
	v_cmp_ne_u32_e64 s8, 0, v50
	v_not_b32_e32 v50, v51
	v_cmp_gt_i32_e64 s9, 0, v51
	s_delay_alu instid0(VALU_DEP_4) | instskip(NEXT) | instid1(VALU_DEP_4)
	v_not_b32_e32 v51, v52
	v_xor_b32_e32 v48, s8, v48
	s_delay_alu instid0(VALU_DEP_4) | instskip(SKIP_1) | instid1(VALU_DEP_4)
	v_ashrrev_i32_e32 v50, 31, v50
	v_cmp_gt_i32_e64 s8, 0, v52
	v_ashrrev_i32_e32 v51, 31, v51
	s_delay_alu instid0(VALU_DEP_4) | instskip(NEXT) | instid1(VALU_DEP_4)
	v_and_b32_e32 v48, exec_lo, v48
	v_xor_b32_e32 v50, s9, v50
	v_cmp_gt_i32_e64 s9, 0, v47
	v_mul_u32_u24_e32 v47, 17, v49
	v_ashrrev_i32_e32 v49, 31, v53
	v_xor_b32_e32 v51, s8, v51
	v_and_b32_e32 v48, v48, v50
	s_delay_alu instid0(VALU_DEP_4) | instskip(NEXT) | instid1(VALU_DEP_4)
	v_add_lshl_u32 v52, v47, v5, 2
	v_xor_b32_e32 v49, s9, v49
	s_delay_alu instid0(VALU_DEP_3) | instskip(SKIP_3) | instid1(VALU_DEP_2)
	v_and_b32_e32 v48, v48, v51
	ds_load_b32 v47, v52 offset:64
	; wave barrier
	v_and_b32_e32 v50, v48, v49
	v_add_nc_u32_e32 v49, 64, v52
	v_mbcnt_lo_u32_b32 v48, v50, 0
	v_cmp_ne_u32_e64 s9, 0, v50
	s_delay_alu instid0(VALU_DEP_2) | instskip(NEXT) | instid1(VALU_DEP_1)
	v_cmp_eq_u32_e64 s8, 0, v48
	s_and_b32 s9, s9, s8
	s_delay_alu instid0(SALU_CYCLE_1)
	s_and_saveexec_b32 s8, s9
	s_cbranch_execz .LBB44_12
; %bb.11:                               ;   in Loop: Header=BB44_4 Depth=2
	s_waitcnt lgkmcnt(0)
	v_bcnt_u32_b32 v50, v50, v47
	ds_store_b32 v49, v50
.LBB44_12:                              ;   in Loop: Header=BB44_4 Depth=2
	s_or_b32 exec_lo, exec_lo, s8
	v_lshlrev_b32_e32 v50, s15, v10
	; wave barrier
	s_delay_alu instid0(VALU_DEP_1) | instskip(SKIP_2) | instid1(VALU_DEP_3)
	v_bfe_u32 v51, v50, 28, 1
	v_lshrrev_b32_e32 v52, 28, v50
	v_not_b32_e32 v56, v50
	v_add_co_u32 v51, s8, v51, -1
	s_delay_alu instid0(VALU_DEP_1) | instskip(NEXT) | instid1(VALU_DEP_4)
	v_cndmask_b32_e64 v53, 0, 1, s8
	v_lshlrev_b32_e32 v54, 30, v52
	v_lshlrev_b32_e32 v55, 29, v52
	s_delay_alu instid0(VALU_DEP_3) | instskip(NEXT) | instid1(VALU_DEP_3)
	v_cmp_ne_u32_e64 s8, 0, v53
	v_not_b32_e32 v53, v54
	v_cmp_gt_i32_e64 s9, 0, v54
	s_delay_alu instid0(VALU_DEP_4) | instskip(NEXT) | instid1(VALU_DEP_4)
	v_not_b32_e32 v54, v55
	v_xor_b32_e32 v51, s8, v51
	s_delay_alu instid0(VALU_DEP_4) | instskip(SKIP_1) | instid1(VALU_DEP_4)
	v_ashrrev_i32_e32 v53, 31, v53
	v_cmp_gt_i32_e64 s8, 0, v55
	v_ashrrev_i32_e32 v54, 31, v54
	s_delay_alu instid0(VALU_DEP_4) | instskip(NEXT) | instid1(VALU_DEP_4)
	v_and_b32_e32 v51, exec_lo, v51
	v_xor_b32_e32 v53, s9, v53
	v_cmp_gt_i32_e64 s9, 0, v50
	v_mul_u32_u24_e32 v50, 17, v52
	v_ashrrev_i32_e32 v52, 31, v56
	v_xor_b32_e32 v54, s8, v54
	v_and_b32_e32 v51, v51, v53
	s_delay_alu instid0(VALU_DEP_4) | instskip(NEXT) | instid1(VALU_DEP_4)
	v_add_lshl_u32 v55, v50, v5, 2
	v_xor_b32_e32 v52, s9, v52
	s_delay_alu instid0(VALU_DEP_3) | instskip(SKIP_3) | instid1(VALU_DEP_2)
	v_and_b32_e32 v51, v51, v54
	ds_load_b32 v50, v55 offset:64
	; wave barrier
	v_and_b32_e32 v53, v51, v52
	v_add_nc_u32_e32 v52, 64, v55
	v_mbcnt_lo_u32_b32 v51, v53, 0
	v_cmp_ne_u32_e64 s9, 0, v53
	s_delay_alu instid0(VALU_DEP_2) | instskip(NEXT) | instid1(VALU_DEP_1)
	v_cmp_eq_u32_e64 s8, 0, v51
	s_and_b32 s9, s9, s8
	s_delay_alu instid0(SALU_CYCLE_1)
	s_and_saveexec_b32 s8, s9
	s_cbranch_execz .LBB44_14
; %bb.13:                               ;   in Loop: Header=BB44_4 Depth=2
	s_waitcnt lgkmcnt(0)
	v_bcnt_u32_b32 v53, v53, v50
	ds_store_b32 v52, v53
.LBB44_14:                              ;   in Loop: Header=BB44_4 Depth=2
	;; [unrolled: 53-line block ×29, first 2 shown]
	s_or_b32 exec_lo, exec_lo, s8
	; wave barrier
	s_waitcnt lgkmcnt(0)
	s_barrier
	buffer_gl0_inv
	ds_load_b32 v134, v2 offset:64
	s_waitcnt lgkmcnt(0)
	v_mov_b32_dpp v135, v134 row_shr:1 row_mask:0xf bank_mask:0xf
	s_delay_alu instid0(VALU_DEP_1) | instskip(NEXT) | instid1(VALU_DEP_1)
	v_cndmask_b32_e64 v135, v135, 0, s0
	v_add_nc_u32_e32 v134, v135, v134
	s_delay_alu instid0(VALU_DEP_1) | instskip(NEXT) | instid1(VALU_DEP_1)
	v_mov_b32_dpp v135, v134 row_shr:2 row_mask:0xf bank_mask:0xf
	v_cndmask_b32_e64 v135, 0, v135, s1
	s_delay_alu instid0(VALU_DEP_1) | instskip(NEXT) | instid1(VALU_DEP_1)
	v_add_nc_u32_e32 v134, v134, v135
	v_mov_b32_dpp v135, v134 row_shr:4 row_mask:0xf bank_mask:0xf
	s_delay_alu instid0(VALU_DEP_1) | instskip(NEXT) | instid1(VALU_DEP_1)
	v_cndmask_b32_e64 v135, 0, v135, s2
	v_add_nc_u32_e32 v134, v134, v135
	s_delay_alu instid0(VALU_DEP_1) | instskip(NEXT) | instid1(VALU_DEP_1)
	v_mov_b32_dpp v135, v134 row_shr:8 row_mask:0xf bank_mask:0xf
	v_cndmask_b32_e64 v135, 0, v135, s3
	s_delay_alu instid0(VALU_DEP_1) | instskip(SKIP_3) | instid1(VALU_DEP_1)
	v_add_nc_u32_e32 v134, v134, v135
	ds_swizzle_b32 v135, v134 offset:swizzle(BROADCAST,32,15)
	s_waitcnt lgkmcnt(0)
	v_cndmask_b32_e64 v135, v135, 0, s4
	v_add_nc_u32_e32 v134, v134, v135
	s_and_saveexec_b32 s8, s7
	s_delay_alu instid0(SALU_CYCLE_1)
	s_xor_b32 s8, exec_lo, s8
	s_cbranch_execz .LBB44_70
; %bb.69:                               ;   in Loop: Header=BB44_4 Depth=2
	ds_store_b32 v4, v134
.LBB44_70:                              ;   in Loop: Header=BB44_4 Depth=2
	s_or_b32 exec_lo, exec_lo, s8
	s_waitcnt lgkmcnt(0)
	s_barrier
	buffer_gl0_inv
	s_and_saveexec_b32 s8, s5
	s_cbranch_execz .LBB44_72
; %bb.71:                               ;   in Loop: Header=BB44_4 Depth=2
	ds_load_b32 v135, v2
	s_waitcnt lgkmcnt(0)
	v_mov_b32_dpp v136, v135 row_shr:1 row_mask:0xf bank_mask:0xf
	s_delay_alu instid0(VALU_DEP_1) | instskip(NEXT) | instid1(VALU_DEP_1)
	v_cndmask_b32_e64 v136, v136, 0, s0
	v_add_nc_u32_e32 v135, v136, v135
	s_delay_alu instid0(VALU_DEP_1) | instskip(NEXT) | instid1(VALU_DEP_1)
	v_mov_b32_dpp v136, v135 row_shr:2 row_mask:0xf bank_mask:0xf
	v_cndmask_b32_e64 v136, 0, v136, s1
	s_delay_alu instid0(VALU_DEP_1) | instskip(NEXT) | instid1(VALU_DEP_1)
	v_add_nc_u32_e32 v135, v135, v136
	v_mov_b32_dpp v136, v135 row_shr:4 row_mask:0xf bank_mask:0xf
	s_delay_alu instid0(VALU_DEP_1) | instskip(NEXT) | instid1(VALU_DEP_1)
	v_cndmask_b32_e64 v136, 0, v136, s2
	v_add_nc_u32_e32 v135, v135, v136
	s_delay_alu instid0(VALU_DEP_1) | instskip(NEXT) | instid1(VALU_DEP_1)
	v_mov_b32_dpp v136, v135 row_shr:8 row_mask:0xf bank_mask:0xf
	v_cndmask_b32_e64 v136, 0, v136, s3
	s_delay_alu instid0(VALU_DEP_1)
	v_add_nc_u32_e32 v135, v135, v136
	ds_store_b32 v2, v135
.LBB44_72:                              ;   in Loop: Header=BB44_4 Depth=2
	s_or_b32 exec_lo, exec_lo, s8
	v_mov_b32_e32 v135, 0
	s_waitcnt lgkmcnt(0)
	s_barrier
	buffer_gl0_inv
	s_and_saveexec_b32 s8, s6
	s_cbranch_execz .LBB44_3
; %bb.73:                               ;   in Loop: Header=BB44_4 Depth=2
	ds_load_b32 v135, v38
	s_branch .LBB44_3
.LBB44_74:
	ds_load_b32 v1, v43
	ds_load_b32 v3, v46
	;; [unrolled: 1-line block ×32, first 2 shown]
	v_lshlrev_b32_e32 v0, 2, v0
	s_add_u32 s0, s10, s12
	s_addc_u32 s1, s11, s13
	s_waitcnt lgkmcnt(31)
	v_add3_u32 v2, v42, v41, v1
	s_waitcnt lgkmcnt(30)
	v_add3_u32 v3, v45, v44, v3
	;; [unrolled: 2-line block ×3, first 2 shown]
	s_waitcnt lgkmcnt(28)
	v_add_nc_u32_e32 v1, v5, v39
	s_waitcnt lgkmcnt(27)
	v_add3_u32 v8, v60, v59, v8
	s_waitcnt lgkmcnt(26)
	v_add3_u32 v7, v57, v56, v7
	;; [unrolled: 2-line block ×13, first 2 shown]
	v_add3_u32 v18, v90, v89, v18
	v_add3_u32 v19, v93, v92, v19
	;; [unrolled: 1-line block ×7, first 2 shown]
	s_waitcnt lgkmcnt(0)
	v_add3_u32 v25, v111, v110, v33
	v_add3_u32 v26, v114, v113, v26
	;; [unrolled: 1-line block ×8, first 2 shown]
	s_clause 0x7
	global_store_b128 v0, v[1:4], s[0:1]
	global_store_b128 v0, v[5:8], s[0:1] offset:16
	global_store_b128 v0, v[9:12], s[0:1] offset:32
	;; [unrolled: 1-line block ×7, first 2 shown]
	s_nop 0
	s_sendmsg sendmsg(MSG_DEALLOC_VGPRS)
	s_endpgm
	.section	.rodata,"a",@progbits
	.p2align	6, 0x0
	.amdhsa_kernel _Z11rank_kernelIiLj4ELb0EL18RadixRankAlgorithm2ELj512ELj32ELj10EEvPKT_Pi
		.amdhsa_group_segment_fixed_size 2112
		.amdhsa_private_segment_fixed_size 0
		.amdhsa_kernarg_size 272
		.amdhsa_user_sgpr_count 15
		.amdhsa_user_sgpr_dispatch_ptr 0
		.amdhsa_user_sgpr_queue_ptr 0
		.amdhsa_user_sgpr_kernarg_segment_ptr 1
		.amdhsa_user_sgpr_dispatch_id 0
		.amdhsa_user_sgpr_private_segment_size 0
		.amdhsa_wavefront_size32 1
		.amdhsa_uses_dynamic_stack 0
		.amdhsa_enable_private_segment 0
		.amdhsa_system_sgpr_workgroup_id_x 1
		.amdhsa_system_sgpr_workgroup_id_y 0
		.amdhsa_system_sgpr_workgroup_id_z 0
		.amdhsa_system_sgpr_workgroup_info 0
		.amdhsa_system_vgpr_workitem_id 2
		.amdhsa_next_free_vgpr 138
		.amdhsa_next_free_sgpr 18
		.amdhsa_reserve_vcc 1
		.amdhsa_float_round_mode_32 0
		.amdhsa_float_round_mode_16_64 0
		.amdhsa_float_denorm_mode_32 3
		.amdhsa_float_denorm_mode_16_64 3
		.amdhsa_dx10_clamp 1
		.amdhsa_ieee_mode 1
		.amdhsa_fp16_overflow 0
		.amdhsa_workgroup_processor_mode 1
		.amdhsa_memory_ordered 1
		.amdhsa_forward_progress 0
		.amdhsa_shared_vgpr_count 0
		.amdhsa_exception_fp_ieee_invalid_op 0
		.amdhsa_exception_fp_denorm_src 0
		.amdhsa_exception_fp_ieee_div_zero 0
		.amdhsa_exception_fp_ieee_overflow 0
		.amdhsa_exception_fp_ieee_underflow 0
		.amdhsa_exception_fp_ieee_inexact 0
		.amdhsa_exception_int_div_zero 0
	.end_amdhsa_kernel
	.section	.text._Z11rank_kernelIiLj4ELb0EL18RadixRankAlgorithm2ELj512ELj32ELj10EEvPKT_Pi,"axG",@progbits,_Z11rank_kernelIiLj4ELb0EL18RadixRankAlgorithm2ELj512ELj32ELj10EEvPKT_Pi,comdat
.Lfunc_end44:
	.size	_Z11rank_kernelIiLj4ELb0EL18RadixRankAlgorithm2ELj512ELj32ELj10EEvPKT_Pi, .Lfunc_end44-_Z11rank_kernelIiLj4ELb0EL18RadixRankAlgorithm2ELj512ELj32ELj10EEvPKT_Pi
                                        ; -- End function
	.section	.AMDGPU.csdata,"",@progbits
; Kernel info:
; codeLenInByte = 9828
; NumSgprs: 20
; NumVgprs: 138
; ScratchSize: 0
; MemoryBound: 0
; FloatMode: 240
; IeeeMode: 1
; LDSByteSize: 2112 bytes/workgroup (compile time only)
; SGPRBlocks: 2
; VGPRBlocks: 17
; NumSGPRsForWavesPerEU: 20
; NumVGPRsForWavesPerEU: 138
; Occupancy: 10
; WaveLimiterHint : 0
; COMPUTE_PGM_RSRC2:SCRATCH_EN: 0
; COMPUTE_PGM_RSRC2:USER_SGPR: 15
; COMPUTE_PGM_RSRC2:TRAP_HANDLER: 0
; COMPUTE_PGM_RSRC2:TGID_X_EN: 1
; COMPUTE_PGM_RSRC2:TGID_Y_EN: 0
; COMPUTE_PGM_RSRC2:TGID_Z_EN: 0
; COMPUTE_PGM_RSRC2:TIDIG_COMP_CNT: 2
	.section	.text._Z11rank_kernelIhLj4ELb0EL18RadixRankAlgorithm0ELj128ELj1ELj10EEvPKT_Pi,"axG",@progbits,_Z11rank_kernelIhLj4ELb0EL18RadixRankAlgorithm0ELj128ELj1ELj10EEvPKT_Pi,comdat
	.protected	_Z11rank_kernelIhLj4ELb0EL18RadixRankAlgorithm0ELj128ELj1ELj10EEvPKT_Pi ; -- Begin function _Z11rank_kernelIhLj4ELb0EL18RadixRankAlgorithm0ELj128ELj1ELj10EEvPKT_Pi
	.globl	_Z11rank_kernelIhLj4ELb0EL18RadixRankAlgorithm0ELj128ELj1ELj10EEvPKT_Pi
	.p2align	8
	.type	_Z11rank_kernelIhLj4ELb0EL18RadixRankAlgorithm0ELj128ELj1ELj10EEvPKT_Pi,@function
_Z11rank_kernelIhLj4ELb0EL18RadixRankAlgorithm0ELj128ELj1ELj10EEvPKT_Pi: ; @_Z11rank_kernelIhLj4ELb0EL18RadixRankAlgorithm0ELj128ELj1ELj10EEvPKT_Pi
; %bb.0:
	s_load_b128 s[16:19], s[0:1], 0x0
	s_lshl_b32 s12, s15, 7
	v_mbcnt_lo_u32_b32 v5, -1, 0
	v_or_b32_e32 v8, 31, v0
	v_lshrrev_b32_e32 v10, 3, v0
	v_dual_mov_b32 v1, 0 :: v_dual_lshlrev_b32 v2, 5, v0
	s_delay_alu instid0(VALU_DEP_4)
	v_add_nc_u32_e32 v9, -1, v5
	v_and_b32_e32 v6, 15, v5
	v_and_b32_e32 v7, 16, v5
	;; [unrolled: 1-line block ×3, first 2 shown]
	v_cmp_eq_u32_e64 s7, v8, v0
	v_cmp_gt_i32_e64 s8, 0, v9
	v_cmp_eq_u32_e64 s2, 0, v6
	v_cmp_lt_u32_e64 s3, 1, v6
	v_cmp_lt_u32_e64 s4, 3, v6
	;; [unrolled: 1-line block ×3, first 2 shown]
	v_cmp_eq_u32_e64 s6, 0, v7
	v_cmp_gt_u32_e32 vcc_lo, 4, v0
	v_lshlrev_b32_e32 v3, 2, v0
	s_waitcnt lgkmcnt(0)
	s_add_u32 s0, s16, s12
	s_addc_u32 s1, s17, 0
	v_cmp_lt_u32_e64 s9, 1, v11
	global_load_u8 v4, v0, s[0:1]
	v_cmp_eq_u32_e64 s1, 0, v5
	v_cndmask_b32_e64 v5, v9, v5, s8
	v_cmp_lt_u32_e64 s0, 31, v0
	v_cmp_eq_u32_e64 s8, 0, v11
	s_mov_b32 s13, 0
	s_delay_alu instid0(SALU_CYCLE_1)
	s_mov_b32 s11, s13
	s_waitcnt vmcnt(0)
	v_lshlrev_b32_e32 v6, 3, v4
	v_lshrrev_b32_e32 v7, 6, v4
	v_lshlrev_b32_e32 v8, 7, v4
	v_lshrrev_b32_e32 v9, 2, v4
	v_and_b32_e32 v4, 12, v10
	v_and_or_b32 v10, 0x380, v6, v0
	v_and_b32_e32 v7, 2, v7
	v_and_or_b32 v8, 0x380, v8, v0
	v_and_b32_e32 v9, 2, v9
	v_lshlrev_b32_e32 v6, 2, v5
	s_delay_alu instid0(VALU_DEP_4) | instskip(NEXT) | instid1(VALU_DEP_3)
	v_lshl_or_b32 v5, v10, 2, v7
	v_lshl_or_b32 v7, v8, 2, v9
	v_or_b32_e32 v8, 0xffffff80, v0
	s_branch .LBB45_2
.LBB45_1:                               ;   in Loop: Header=BB45_2 Depth=1
	s_or_b32 exec_lo, exec_lo, s10
	s_waitcnt lgkmcnt(0)
	v_add_nc_u32_e32 v10, v11, v10
	ds_load_b32 v14, v1 offset:4108
	ds_load_2addr_b32 v[12:13], v2 offset1:1
	s_add_i32 s11, s11, 1
	s_delay_alu instid0(SALU_CYCLE_1)
	s_cmp_eq_u32 s11, 10
	ds_bpermute_b32 v10, v6, v10
	s_waitcnt lgkmcnt(0)
	v_cndmask_b32_e64 v15, v10, v11, s1
	ds_load_2addr_b32 v[10:11], v2 offset0:2 offset1:3
	v_lshl_add_u32 v16, v14, 16, v15
	ds_load_2addr_b32 v[14:15], v2 offset0:4 offset1:5
	ds_load_b32 v17, v2 offset:24
	v_add_nc_u32_e32 v12, v16, v12
	s_delay_alu instid0(VALU_DEP_1) | instskip(SKIP_1) | instid1(VALU_DEP_1)
	v_add_nc_u32_e32 v13, v13, v12
	s_waitcnt lgkmcnt(2)
	v_add_nc_u32_e32 v10, v10, v13
	s_delay_alu instid0(VALU_DEP_1) | instskip(SKIP_1) | instid1(VALU_DEP_1)
	v_add_nc_u32_e32 v11, v11, v10
	s_waitcnt lgkmcnt(1)
	;; [unrolled: 4-line block ×3, first 2 shown]
	v_add_nc_u32_e32 v17, v17, v15
	ds_store_2addr_b32 v2, v16, v12 offset1:1
	ds_store_2addr_b32 v2, v13, v10 offset0:2 offset1:3
	ds_store_2addr_b32 v2, v11, v14 offset0:4 offset1:5
	;; [unrolled: 1-line block ×3, first 2 shown]
	s_waitcnt lgkmcnt(0)
	s_barrier
	buffer_gl0_inv
	s_cbranch_scc1 .LBB45_18
.LBB45_2:                               ; =>This Loop Header: Depth=1
                                        ;     Child Loop BB45_3 Depth 2
                                        ;     Child Loop BB45_11 Depth 2
	s_delay_alu instid0(VALU_DEP_1)
	v_dual_mov_b32 v9, v8 :: v_dual_mov_b32 v10, v3
	s_mov_b32 s14, 0
.LBB45_3:                               ;   Parent Loop BB45_2 Depth=1
                                        ; =>  This Inner Loop Header: Depth=2
	s_delay_alu instid0(VALU_DEP_1) | instskip(SKIP_3) | instid1(VALU_DEP_1)
	v_add_nc_u32_e32 v9, 0x80, v9
	ds_store_b32 v10, v1
	v_add_nc_u32_e32 v10, 0x200, v10
	v_cmp_lt_u32_e64 s10, 0x37f, v9
	s_or_b32 s14, s10, s14
	s_delay_alu instid0(SALU_CYCLE_1)
	s_and_not1_b32 exec_lo, exec_lo, s14
	s_cbranch_execnz .LBB45_3
; %bb.4:                                ;   in Loop: Header=BB45_2 Depth=1
	s_or_b32 exec_lo, exec_lo, s14
	ds_load_u16 v9, v7
	s_waitcnt lgkmcnt(0)
	v_add_nc_u16 v9, v9, 1
	ds_store_b16 v7, v9
	s_waitcnt lgkmcnt(0)
	s_barrier
	buffer_gl0_inv
	ds_load_2addr_b32 v[9:10], v2 offset1:1
	ds_load_2addr_b32 v[11:12], v2 offset0:2 offset1:3
	ds_load_2addr_b32 v[13:14], v2 offset0:4 offset1:5
	;; [unrolled: 1-line block ×3, first 2 shown]
	s_waitcnt lgkmcnt(3)
	v_add_nc_u32_e32 v9, v10, v9
	s_waitcnt lgkmcnt(2)
	s_delay_alu instid0(VALU_DEP_1) | instskip(SKIP_1) | instid1(VALU_DEP_1)
	v_add3_u32 v9, v9, v11, v12
	s_waitcnt lgkmcnt(1)
	v_add3_u32 v9, v9, v13, v14
	s_waitcnt lgkmcnt(0)
	s_delay_alu instid0(VALU_DEP_1) | instskip(NEXT) | instid1(VALU_DEP_1)
	v_add3_u32 v9, v9, v15, v16
	v_mov_b32_dpp v10, v9 row_shr:1 row_mask:0xf bank_mask:0xf
	s_delay_alu instid0(VALU_DEP_1) | instskip(NEXT) | instid1(VALU_DEP_1)
	v_cndmask_b32_e64 v10, v10, 0, s2
	v_add_nc_u32_e32 v9, v10, v9
	s_delay_alu instid0(VALU_DEP_1) | instskip(NEXT) | instid1(VALU_DEP_1)
	v_mov_b32_dpp v10, v9 row_shr:2 row_mask:0xf bank_mask:0xf
	v_cndmask_b32_e64 v10, 0, v10, s3
	s_delay_alu instid0(VALU_DEP_1) | instskip(NEXT) | instid1(VALU_DEP_1)
	v_add_nc_u32_e32 v9, v9, v10
	v_mov_b32_dpp v10, v9 row_shr:4 row_mask:0xf bank_mask:0xf
	s_delay_alu instid0(VALU_DEP_1) | instskip(NEXT) | instid1(VALU_DEP_1)
	v_cndmask_b32_e64 v10, 0, v10, s4
	v_add_nc_u32_e32 v9, v9, v10
	s_delay_alu instid0(VALU_DEP_1) | instskip(NEXT) | instid1(VALU_DEP_1)
	v_mov_b32_dpp v10, v9 row_shr:8 row_mask:0xf bank_mask:0xf
	v_cndmask_b32_e64 v10, 0, v10, s5
	s_delay_alu instid0(VALU_DEP_1) | instskip(SKIP_3) | instid1(VALU_DEP_1)
	v_add_nc_u32_e32 v9, v9, v10
	ds_swizzle_b32 v10, v9 offset:swizzle(BROADCAST,32,15)
	s_waitcnt lgkmcnt(0)
	v_cndmask_b32_e64 v10, v10, 0, s6
	v_add_nc_u32_e32 v9, v9, v10
	s_and_saveexec_b32 s10, s7
	s_cbranch_execz .LBB45_6
; %bb.5:                                ;   in Loop: Header=BB45_2 Depth=1
	ds_store_b32 v4, v9 offset:4096
.LBB45_6:                               ;   in Loop: Header=BB45_2 Depth=1
	s_or_b32 exec_lo, exec_lo, s10
	s_waitcnt lgkmcnt(0)
	s_barrier
	buffer_gl0_inv
	s_and_saveexec_b32 s10, vcc_lo
	s_cbranch_execz .LBB45_8
; %bb.7:                                ;   in Loop: Header=BB45_2 Depth=1
	ds_load_b32 v10, v3 offset:4096
	s_waitcnt lgkmcnt(0)
	v_mov_b32_dpp v11, v10 row_shr:1 row_mask:0xf bank_mask:0xf
	s_delay_alu instid0(VALU_DEP_1) | instskip(NEXT) | instid1(VALU_DEP_1)
	v_cndmask_b32_e64 v11, v11, 0, s8
	v_add_nc_u32_e32 v10, v11, v10
	s_delay_alu instid0(VALU_DEP_1) | instskip(NEXT) | instid1(VALU_DEP_1)
	v_mov_b32_dpp v11, v10 row_shr:2 row_mask:0xf bank_mask:0xf
	v_cndmask_b32_e64 v11, 0, v11, s9
	s_delay_alu instid0(VALU_DEP_1)
	v_add_nc_u32_e32 v10, v10, v11
	ds_store_b32 v3, v10 offset:4096
.LBB45_8:                               ;   in Loop: Header=BB45_2 Depth=1
	s_or_b32 exec_lo, exec_lo, s10
	v_mov_b32_e32 v10, 0
	s_waitcnt lgkmcnt(0)
	s_barrier
	buffer_gl0_inv
	s_and_saveexec_b32 s10, s0
	s_cbranch_execz .LBB45_10
; %bb.9:                                ;   in Loop: Header=BB45_2 Depth=1
	ds_load_b32 v10, v4 offset:4092
.LBB45_10:                              ;   in Loop: Header=BB45_2 Depth=1
	s_or_b32 exec_lo, exec_lo, s10
	s_waitcnt lgkmcnt(0)
	v_add_nc_u32_e32 v9, v10, v9
	ds_load_b32 v13, v1 offset:4108
	ds_load_2addr_b32 v[11:12], v2 offset1:1
	s_mov_b32 s14, 0
	ds_bpermute_b32 v9, v6, v9
	s_waitcnt lgkmcnt(0)
	v_cndmask_b32_e64 v14, v9, v10, s1
	ds_load_2addr_b32 v[9:10], v2 offset0:2 offset1:3
	v_lshl_add_u32 v15, v13, 16, v14
	ds_load_2addr_b32 v[13:14], v2 offset0:4 offset1:5
	ds_load_b32 v16, v2 offset:24
	v_add_nc_u32_e32 v11, v15, v11
	s_delay_alu instid0(VALU_DEP_1) | instskip(SKIP_1) | instid1(VALU_DEP_1)
	v_add_nc_u32_e32 v12, v12, v11
	s_waitcnt lgkmcnt(2)
	v_add_nc_u32_e32 v17, v9, v12
	s_delay_alu instid0(VALU_DEP_1) | instskip(SKIP_1) | instid1(VALU_DEP_1)
	v_dual_mov_b32 v9, v8 :: v_dual_add_nc_u32 v18, v10, v17
	s_waitcnt lgkmcnt(1)
	v_dual_mov_b32 v10, v3 :: v_dual_add_nc_u32 v13, v13, v18
	s_delay_alu instid0(VALU_DEP_1) | instskip(SKIP_1) | instid1(VALU_DEP_1)
	v_add_nc_u32_e32 v14, v14, v13
	s_waitcnt lgkmcnt(0)
	v_add_nc_u32_e32 v16, v16, v14
	ds_store_2addr_b32 v2, v15, v11 offset1:1
	ds_store_2addr_b32 v2, v12, v17 offset0:2 offset1:3
	ds_store_2addr_b32 v2, v18, v13 offset0:4 offset1:5
	;; [unrolled: 1-line block ×3, first 2 shown]
	s_waitcnt lgkmcnt(0)
	s_barrier
	buffer_gl0_inv
.LBB45_11:                              ;   Parent Loop BB45_2 Depth=1
                                        ; =>  This Inner Loop Header: Depth=2
	v_add_nc_u32_e32 v9, 0x80, v9
	ds_store_b32 v10, v1
	v_add_nc_u32_e32 v10, 0x200, v10
	v_cmp_lt_u32_e64 s10, 0x37f, v9
	s_delay_alu instid0(VALU_DEP_1) | instskip(NEXT) | instid1(SALU_CYCLE_1)
	s_or_b32 s14, s10, s14
	s_and_not1_b32 exec_lo, exec_lo, s14
	s_cbranch_execnz .LBB45_11
; %bb.12:                               ;   in Loop: Header=BB45_2 Depth=1
	s_or_b32 exec_lo, exec_lo, s14
	ds_load_u16 v9, v5
	s_waitcnt lgkmcnt(0)
	v_add_nc_u16 v10, v9, 1
	ds_store_b16 v5, v10
	s_waitcnt lgkmcnt(0)
	s_barrier
	buffer_gl0_inv
	ds_load_2addr_b32 v[10:11], v2 offset1:1
	ds_load_2addr_b32 v[12:13], v2 offset0:2 offset1:3
	ds_load_2addr_b32 v[14:15], v2 offset0:4 offset1:5
	;; [unrolled: 1-line block ×3, first 2 shown]
	s_waitcnt lgkmcnt(3)
	v_add_nc_u32_e32 v10, v11, v10
	s_waitcnt lgkmcnt(2)
	s_delay_alu instid0(VALU_DEP_1) | instskip(SKIP_1) | instid1(VALU_DEP_1)
	v_add3_u32 v10, v10, v12, v13
	s_waitcnt lgkmcnt(1)
	v_add3_u32 v10, v10, v14, v15
	s_waitcnt lgkmcnt(0)
	s_delay_alu instid0(VALU_DEP_1) | instskip(NEXT) | instid1(VALU_DEP_1)
	v_add3_u32 v10, v10, v16, v17
	v_mov_b32_dpp v11, v10 row_shr:1 row_mask:0xf bank_mask:0xf
	s_delay_alu instid0(VALU_DEP_1) | instskip(NEXT) | instid1(VALU_DEP_1)
	v_cndmask_b32_e64 v11, v11, 0, s2
	v_add_nc_u32_e32 v10, v11, v10
	s_delay_alu instid0(VALU_DEP_1) | instskip(NEXT) | instid1(VALU_DEP_1)
	v_mov_b32_dpp v11, v10 row_shr:2 row_mask:0xf bank_mask:0xf
	v_cndmask_b32_e64 v11, 0, v11, s3
	s_delay_alu instid0(VALU_DEP_1) | instskip(NEXT) | instid1(VALU_DEP_1)
	v_add_nc_u32_e32 v10, v10, v11
	v_mov_b32_dpp v11, v10 row_shr:4 row_mask:0xf bank_mask:0xf
	s_delay_alu instid0(VALU_DEP_1) | instskip(NEXT) | instid1(VALU_DEP_1)
	v_cndmask_b32_e64 v11, 0, v11, s4
	v_add_nc_u32_e32 v10, v10, v11
	s_delay_alu instid0(VALU_DEP_1) | instskip(NEXT) | instid1(VALU_DEP_1)
	v_mov_b32_dpp v11, v10 row_shr:8 row_mask:0xf bank_mask:0xf
	v_cndmask_b32_e64 v11, 0, v11, s5
	s_delay_alu instid0(VALU_DEP_1) | instskip(SKIP_3) | instid1(VALU_DEP_1)
	v_add_nc_u32_e32 v10, v10, v11
	ds_swizzle_b32 v11, v10 offset:swizzle(BROADCAST,32,15)
	s_waitcnt lgkmcnt(0)
	v_cndmask_b32_e64 v11, v11, 0, s6
	v_add_nc_u32_e32 v10, v10, v11
	s_and_saveexec_b32 s10, s7
	s_cbranch_execz .LBB45_14
; %bb.13:                               ;   in Loop: Header=BB45_2 Depth=1
	ds_store_b32 v4, v10 offset:4096
.LBB45_14:                              ;   in Loop: Header=BB45_2 Depth=1
	s_or_b32 exec_lo, exec_lo, s10
	s_waitcnt lgkmcnt(0)
	s_barrier
	buffer_gl0_inv
	s_and_saveexec_b32 s10, vcc_lo
	s_cbranch_execz .LBB45_16
; %bb.15:                               ;   in Loop: Header=BB45_2 Depth=1
	ds_load_b32 v11, v3 offset:4096
	s_waitcnt lgkmcnt(0)
	v_mov_b32_dpp v12, v11 row_shr:1 row_mask:0xf bank_mask:0xf
	s_delay_alu instid0(VALU_DEP_1) | instskip(NEXT) | instid1(VALU_DEP_1)
	v_cndmask_b32_e64 v12, v12, 0, s8
	v_add_nc_u32_e32 v11, v12, v11
	s_delay_alu instid0(VALU_DEP_1) | instskip(NEXT) | instid1(VALU_DEP_1)
	v_mov_b32_dpp v12, v11 row_shr:2 row_mask:0xf bank_mask:0xf
	v_cndmask_b32_e64 v12, 0, v12, s9
	s_delay_alu instid0(VALU_DEP_1)
	v_add_nc_u32_e32 v11, v11, v12
	ds_store_b32 v3, v11 offset:4096
.LBB45_16:                              ;   in Loop: Header=BB45_2 Depth=1
	s_or_b32 exec_lo, exec_lo, s10
	v_mov_b32_e32 v11, 0
	s_waitcnt lgkmcnt(0)
	s_barrier
	buffer_gl0_inv
	s_and_saveexec_b32 s10, s0
	s_cbranch_execz .LBB45_1
; %bb.17:                               ;   in Loop: Header=BB45_2 Depth=1
	ds_load_b32 v11, v4 offset:4092
	s_branch .LBB45_1
.LBB45_18:
	ds_load_u16 v1, v5
	v_and_b32_e32 v2, 0xffff, v9
	s_lshl_b64 s[0:1], s[12:13], 2
	v_lshlrev_b32_e32 v0, 2, v0
	s_add_u32 s0, s18, s0
	s_addc_u32 s1, s19, s1
	s_waitcnt lgkmcnt(0)
	v_add_nc_u32_e32 v1, v1, v2
	global_store_b32 v0, v1, s[0:1]
	s_nop 0
	s_sendmsg sendmsg(MSG_DEALLOC_VGPRS)
	s_endpgm
	.section	.rodata,"a",@progbits
	.p2align	6, 0x0
	.amdhsa_kernel _Z11rank_kernelIhLj4ELb0EL18RadixRankAlgorithm0ELj128ELj1ELj10EEvPKT_Pi
		.amdhsa_group_segment_fixed_size 4112
		.amdhsa_private_segment_fixed_size 0
		.amdhsa_kernarg_size 16
		.amdhsa_user_sgpr_count 15
		.amdhsa_user_sgpr_dispatch_ptr 0
		.amdhsa_user_sgpr_queue_ptr 0
		.amdhsa_user_sgpr_kernarg_segment_ptr 1
		.amdhsa_user_sgpr_dispatch_id 0
		.amdhsa_user_sgpr_private_segment_size 0
		.amdhsa_wavefront_size32 1
		.amdhsa_uses_dynamic_stack 0
		.amdhsa_enable_private_segment 0
		.amdhsa_system_sgpr_workgroup_id_x 1
		.amdhsa_system_sgpr_workgroup_id_y 0
		.amdhsa_system_sgpr_workgroup_id_z 0
		.amdhsa_system_sgpr_workgroup_info 0
		.amdhsa_system_vgpr_workitem_id 0
		.amdhsa_next_free_vgpr 19
		.amdhsa_next_free_sgpr 20
		.amdhsa_reserve_vcc 1
		.amdhsa_float_round_mode_32 0
		.amdhsa_float_round_mode_16_64 0
		.amdhsa_float_denorm_mode_32 3
		.amdhsa_float_denorm_mode_16_64 3
		.amdhsa_dx10_clamp 1
		.amdhsa_ieee_mode 1
		.amdhsa_fp16_overflow 0
		.amdhsa_workgroup_processor_mode 1
		.amdhsa_memory_ordered 1
		.amdhsa_forward_progress 0
		.amdhsa_shared_vgpr_count 0
		.amdhsa_exception_fp_ieee_invalid_op 0
		.amdhsa_exception_fp_denorm_src 0
		.amdhsa_exception_fp_ieee_div_zero 0
		.amdhsa_exception_fp_ieee_overflow 0
		.amdhsa_exception_fp_ieee_underflow 0
		.amdhsa_exception_fp_ieee_inexact 0
		.amdhsa_exception_int_div_zero 0
	.end_amdhsa_kernel
	.section	.text._Z11rank_kernelIhLj4ELb0EL18RadixRankAlgorithm0ELj128ELj1ELj10EEvPKT_Pi,"axG",@progbits,_Z11rank_kernelIhLj4ELb0EL18RadixRankAlgorithm0ELj128ELj1ELj10EEvPKT_Pi,comdat
.Lfunc_end45:
	.size	_Z11rank_kernelIhLj4ELb0EL18RadixRankAlgorithm0ELj128ELj1ELj10EEvPKT_Pi, .Lfunc_end45-_Z11rank_kernelIhLj4ELb0EL18RadixRankAlgorithm0ELj128ELj1ELj10EEvPKT_Pi
                                        ; -- End function
	.section	.AMDGPU.csdata,"",@progbits
; Kernel info:
; codeLenInByte = 1692
; NumSgprs: 22
; NumVgprs: 19
; ScratchSize: 0
; MemoryBound: 0
; FloatMode: 240
; IeeeMode: 1
; LDSByteSize: 4112 bytes/workgroup (compile time only)
; SGPRBlocks: 2
; VGPRBlocks: 2
; NumSGPRsForWavesPerEU: 22
; NumVGPRsForWavesPerEU: 19
; Occupancy: 16
; WaveLimiterHint : 0
; COMPUTE_PGM_RSRC2:SCRATCH_EN: 0
; COMPUTE_PGM_RSRC2:USER_SGPR: 15
; COMPUTE_PGM_RSRC2:TRAP_HANDLER: 0
; COMPUTE_PGM_RSRC2:TGID_X_EN: 1
; COMPUTE_PGM_RSRC2:TGID_Y_EN: 0
; COMPUTE_PGM_RSRC2:TGID_Z_EN: 0
; COMPUTE_PGM_RSRC2:TIDIG_COMP_CNT: 0
	.section	.text._Z11rank_kernelIhLj4ELb0EL18RadixRankAlgorithm1ELj128ELj1ELj10EEvPKT_Pi,"axG",@progbits,_Z11rank_kernelIhLj4ELb0EL18RadixRankAlgorithm1ELj128ELj1ELj10EEvPKT_Pi,comdat
	.protected	_Z11rank_kernelIhLj4ELb0EL18RadixRankAlgorithm1ELj128ELj1ELj10EEvPKT_Pi ; -- Begin function _Z11rank_kernelIhLj4ELb0EL18RadixRankAlgorithm1ELj128ELj1ELj10EEvPKT_Pi
	.globl	_Z11rank_kernelIhLj4ELb0EL18RadixRankAlgorithm1ELj128ELj1ELj10EEvPKT_Pi
	.p2align	8
	.type	_Z11rank_kernelIhLj4ELb0EL18RadixRankAlgorithm1ELj128ELj1ELj10EEvPKT_Pi,@function
_Z11rank_kernelIhLj4ELb0EL18RadixRankAlgorithm1ELj128ELj1ELj10EEvPKT_Pi: ; @_Z11rank_kernelIhLj4ELb0EL18RadixRankAlgorithm1ELj128ELj1ELj10EEvPKT_Pi
; %bb.0:
	s_load_b128 s[16:19], s[0:1], 0x0
	s_lshl_b32 s12, s15, 7
	v_mbcnt_lo_u32_b32 v2, -1, 0
	v_or_b32_e32 v5, 31, v0
	v_lshrrev_b32_e32 v7, 3, v0
	v_dual_mov_b32 v9, 0 :: v_dual_lshlrev_b32 v10, 5, v0
	s_delay_alu instid0(VALU_DEP_4)
	v_and_b32_e32 v3, 15, v2
	v_and_b32_e32 v4, 16, v2
	v_add_nc_u32_e32 v6, -1, v2
	v_cmp_eq_u32_e64 s7, v5, v0
	v_and_b32_e32 v8, 3, v2
	v_cmp_eq_u32_e64 s2, 0, v3
	v_cmp_lt_u32_e64 s3, 1, v3
	v_cmp_lt_u32_e64 s4, 3, v3
	;; [unrolled: 1-line block ×3, first 2 shown]
	v_cmp_eq_u32_e64 s6, 0, v4
	v_cmp_gt_i32_e64 s8, 0, v6
	v_cmp_gt_u32_e32 vcc_lo, 4, v0
	v_lshlrev_b32_e32 v11, 2, v0
	s_waitcnt lgkmcnt(0)
	s_add_u32 s0, s16, s12
	s_addc_u32 s1, s17, 0
	v_and_b32_e32 v12, 12, v7
	global_load_u8 v1, v0, s[0:1]
	v_cmp_eq_u32_e64 s1, 0, v2
	v_cndmask_b32_e64 v2, v6, v2, s8
	v_cmp_lt_u32_e64 s0, 31, v0
	v_cmp_eq_u32_e64 s8, 0, v8
	v_cmp_lt_u32_e64 s9, 1, v8
	v_or_b32_e32 v16, 0xffffff80, v0
	v_lshlrev_b32_e32 v14, 2, v2
	s_mov_b32 s13, 0
	s_delay_alu instid0(SALU_CYCLE_1)
	s_mov_b32 s11, s13
	s_waitcnt vmcnt(0)
	v_lshlrev_b32_e32 v3, 3, v1
	v_lshrrev_b32_e32 v4, 6, v1
	v_lshlrev_b32_e32 v5, 7, v1
	v_lshrrev_b32_e32 v1, 2, v1
	s_delay_alu instid0(VALU_DEP_4) | instskip(NEXT) | instid1(VALU_DEP_4)
	v_and_or_b32 v3, 0x380, v3, v0
	v_and_b32_e32 v4, 2, v4
	s_delay_alu instid0(VALU_DEP_4) | instskip(NEXT) | instid1(VALU_DEP_4)
	v_and_or_b32 v5, 0x380, v5, v0
	v_and_b32_e32 v1, 2, v1
	s_delay_alu instid0(VALU_DEP_3) | instskip(NEXT) | instid1(VALU_DEP_2)
	v_lshl_or_b32 v13, v3, 2, v4
	v_lshl_or_b32 v15, v5, 2, v1
	s_branch .LBB46_2
.LBB46_1:                               ;   in Loop: Header=BB46_2 Depth=1
	s_or_b32 exec_lo, exec_lo, s10
	s_waitcnt lgkmcnt(0)
	v_add_nc_u32_e32 v2, v18, v2
	ds_load_b32 v19, v9 offset:4108
	s_add_i32 s11, s11, 1
	s_delay_alu instid0(SALU_CYCLE_1) | instskip(SKIP_3) | instid1(VALU_DEP_1)
	s_cmp_eq_u32 s11, 10
	ds_bpermute_b32 v2, v14, v2
	s_waitcnt lgkmcnt(0)
	v_cndmask_b32_e64 v2, v2, v18, s1
	v_lshl_add_u32 v2, v19, 16, v2
	s_delay_alu instid0(VALU_DEP_1) | instskip(NEXT) | instid1(VALU_DEP_1)
	v_add_nc_u32_e32 v7, v2, v7
	v_add_nc_u32_e32 v8, v7, v8
	s_delay_alu instid0(VALU_DEP_1) | instskip(NEXT) | instid1(VALU_DEP_1)
	v_add_nc_u32_e32 v5, v8, v5
	v_add_nc_u32_e32 v6, v5, v6
	;; [unrolled: 3-line block ×3, first 2 shown]
	s_delay_alu instid0(VALU_DEP_1)
	v_add_nc_u32_e32 v1, v4, v1
	ds_store_2addr_b32 v10, v2, v7 offset1:1
	ds_store_2addr_b32 v10, v8, v5 offset0:2 offset1:3
	ds_store_2addr_b32 v10, v6, v3 offset0:4 offset1:5
	ds_store_2addr_b32 v10, v4, v1 offset0:6 offset1:7
	s_waitcnt lgkmcnt(0)
	s_barrier
	buffer_gl0_inv
	s_cbranch_scc1 .LBB46_18
.LBB46_2:                               ; =>This Loop Header: Depth=1
                                        ;     Child Loop BB46_3 Depth 2
                                        ;     Child Loop BB46_11 Depth 2
	v_dual_mov_b32 v1, v16 :: v_dual_mov_b32 v2, v11
	s_mov_b32 s14, 0
.LBB46_3:                               ;   Parent Loop BB46_2 Depth=1
                                        ; =>  This Inner Loop Header: Depth=2
	s_delay_alu instid0(VALU_DEP_1) | instskip(SKIP_3) | instid1(VALU_DEP_1)
	v_add_nc_u32_e32 v1, 0x80, v1
	ds_store_b32 v2, v9
	v_add_nc_u32_e32 v2, 0x200, v2
	v_cmp_lt_u32_e64 s10, 0x37f, v1
	s_or_b32 s14, s10, s14
	s_delay_alu instid0(SALU_CYCLE_1)
	s_and_not1_b32 exec_lo, exec_lo, s14
	s_cbranch_execnz .LBB46_3
; %bb.4:                                ;   in Loop: Header=BB46_2 Depth=1
	s_or_b32 exec_lo, exec_lo, s14
	ds_load_u16 v1, v15
	s_waitcnt lgkmcnt(0)
	v_add_nc_u16 v1, v1, 1
	ds_store_b16 v15, v1
	s_waitcnt lgkmcnt(0)
	s_barrier
	buffer_gl0_inv
	ds_load_2addr_b32 v[7:8], v10 offset1:1
	ds_load_2addr_b32 v[5:6], v10 offset0:2 offset1:3
	ds_load_2addr_b32 v[3:4], v10 offset0:4 offset1:5
	;; [unrolled: 1-line block ×3, first 2 shown]
	s_waitcnt lgkmcnt(3)
	v_add_nc_u32_e32 v17, v8, v7
	s_waitcnt lgkmcnt(2)
	s_delay_alu instid0(VALU_DEP_1) | instskip(SKIP_1) | instid1(VALU_DEP_1)
	v_add3_u32 v17, v17, v5, v6
	s_waitcnt lgkmcnt(1)
	v_add3_u32 v17, v17, v3, v4
	s_waitcnt lgkmcnt(0)
	s_delay_alu instid0(VALU_DEP_1) | instskip(NEXT) | instid1(VALU_DEP_1)
	v_add3_u32 v2, v17, v1, v2
	v_mov_b32_dpp v17, v2 row_shr:1 row_mask:0xf bank_mask:0xf
	s_delay_alu instid0(VALU_DEP_1) | instskip(NEXT) | instid1(VALU_DEP_1)
	v_cndmask_b32_e64 v17, v17, 0, s2
	v_add_nc_u32_e32 v2, v17, v2
	s_delay_alu instid0(VALU_DEP_1) | instskip(NEXT) | instid1(VALU_DEP_1)
	v_mov_b32_dpp v17, v2 row_shr:2 row_mask:0xf bank_mask:0xf
	v_cndmask_b32_e64 v17, 0, v17, s3
	s_delay_alu instid0(VALU_DEP_1) | instskip(NEXT) | instid1(VALU_DEP_1)
	v_add_nc_u32_e32 v2, v2, v17
	v_mov_b32_dpp v17, v2 row_shr:4 row_mask:0xf bank_mask:0xf
	s_delay_alu instid0(VALU_DEP_1) | instskip(NEXT) | instid1(VALU_DEP_1)
	v_cndmask_b32_e64 v17, 0, v17, s4
	v_add_nc_u32_e32 v2, v2, v17
	s_delay_alu instid0(VALU_DEP_1) | instskip(NEXT) | instid1(VALU_DEP_1)
	v_mov_b32_dpp v17, v2 row_shr:8 row_mask:0xf bank_mask:0xf
	v_cndmask_b32_e64 v17, 0, v17, s5
	s_delay_alu instid0(VALU_DEP_1) | instskip(SKIP_3) | instid1(VALU_DEP_1)
	v_add_nc_u32_e32 v2, v2, v17
	ds_swizzle_b32 v17, v2 offset:swizzle(BROADCAST,32,15)
	s_waitcnt lgkmcnt(0)
	v_cndmask_b32_e64 v17, v17, 0, s6
	v_add_nc_u32_e32 v2, v2, v17
	s_and_saveexec_b32 s10, s7
	s_cbranch_execz .LBB46_6
; %bb.5:                                ;   in Loop: Header=BB46_2 Depth=1
	ds_store_b32 v12, v2 offset:4096
.LBB46_6:                               ;   in Loop: Header=BB46_2 Depth=1
	s_or_b32 exec_lo, exec_lo, s10
	s_waitcnt lgkmcnt(0)
	s_barrier
	buffer_gl0_inv
	s_and_saveexec_b32 s10, vcc_lo
	s_cbranch_execz .LBB46_8
; %bb.7:                                ;   in Loop: Header=BB46_2 Depth=1
	ds_load_b32 v17, v11 offset:4096
	s_waitcnt lgkmcnt(0)
	v_mov_b32_dpp v18, v17 row_shr:1 row_mask:0xf bank_mask:0xf
	s_delay_alu instid0(VALU_DEP_1) | instskip(NEXT) | instid1(VALU_DEP_1)
	v_cndmask_b32_e64 v18, v18, 0, s8
	v_add_nc_u32_e32 v17, v18, v17
	s_delay_alu instid0(VALU_DEP_1) | instskip(NEXT) | instid1(VALU_DEP_1)
	v_mov_b32_dpp v18, v17 row_shr:2 row_mask:0xf bank_mask:0xf
	v_cndmask_b32_e64 v18, 0, v18, s9
	s_delay_alu instid0(VALU_DEP_1)
	v_add_nc_u32_e32 v17, v17, v18
	ds_store_b32 v11, v17 offset:4096
.LBB46_8:                               ;   in Loop: Header=BB46_2 Depth=1
	s_or_b32 exec_lo, exec_lo, s10
	v_mov_b32_e32 v17, 0
	s_waitcnt lgkmcnt(0)
	s_barrier
	buffer_gl0_inv
	s_and_saveexec_b32 s10, s0
	s_cbranch_execz .LBB46_10
; %bb.9:                                ;   in Loop: Header=BB46_2 Depth=1
	ds_load_b32 v17, v12 offset:4092
.LBB46_10:                              ;   in Loop: Header=BB46_2 Depth=1
	s_or_b32 exec_lo, exec_lo, s10
	s_waitcnt lgkmcnt(0)
	v_add_nc_u32_e32 v2, v17, v2
	ds_load_b32 v18, v9 offset:4108
	s_mov_b32 s14, 0
	ds_bpermute_b32 v2, v14, v2
	s_waitcnt lgkmcnt(0)
	v_cndmask_b32_e64 v2, v2, v17, s1
	s_delay_alu instid0(VALU_DEP_1) | instskip(NEXT) | instid1(VALU_DEP_1)
	v_lshl_add_u32 v17, v18, 16, v2
	v_dual_mov_b32 v2, v16 :: v_dual_add_nc_u32 v7, v17, v7
	s_delay_alu instid0(VALU_DEP_1) | instskip(NEXT) | instid1(VALU_DEP_1)
	v_add_nc_u32_e32 v8, v7, v8
	v_add_nc_u32_e32 v5, v8, v5
	s_delay_alu instid0(VALU_DEP_1) | instskip(NEXT) | instid1(VALU_DEP_1)
	v_add_nc_u32_e32 v6, v5, v6
	v_add_nc_u32_e32 v3, v6, v3
	s_delay_alu instid0(VALU_DEP_1) | instskip(NEXT) | instid1(VALU_DEP_1)
	v_add_nc_u32_e32 v4, v3, v4
	v_dual_mov_b32 v1, v11 :: v_dual_add_nc_u32 v18, v4, v1
	ds_store_2addr_b32 v10, v17, v7 offset1:1
	ds_store_2addr_b32 v10, v8, v5 offset0:2 offset1:3
	ds_store_2addr_b32 v10, v6, v3 offset0:4 offset1:5
	;; [unrolled: 1-line block ×3, first 2 shown]
	s_waitcnt lgkmcnt(0)
	s_barrier
	buffer_gl0_inv
.LBB46_11:                              ;   Parent Loop BB46_2 Depth=1
                                        ; =>  This Inner Loop Header: Depth=2
	v_add_nc_u32_e32 v2, 0x80, v2
	ds_store_b32 v1, v9
	v_add_nc_u32_e32 v1, 0x200, v1
	v_cmp_lt_u32_e64 s10, 0x37f, v2
	s_delay_alu instid0(VALU_DEP_1) | instskip(NEXT) | instid1(SALU_CYCLE_1)
	s_or_b32 s14, s10, s14
	s_and_not1_b32 exec_lo, exec_lo, s14
	s_cbranch_execnz .LBB46_11
; %bb.12:                               ;   in Loop: Header=BB46_2 Depth=1
	s_or_b32 exec_lo, exec_lo, s14
	ds_load_u16 v17, v13
	s_waitcnt lgkmcnt(0)
	v_add_nc_u16 v1, v17, 1
	ds_store_b16 v13, v1
	s_waitcnt lgkmcnt(0)
	s_barrier
	buffer_gl0_inv
	ds_load_2addr_b32 v[7:8], v10 offset1:1
	ds_load_2addr_b32 v[5:6], v10 offset0:2 offset1:3
	ds_load_2addr_b32 v[3:4], v10 offset0:4 offset1:5
	;; [unrolled: 1-line block ×3, first 2 shown]
	s_waitcnt lgkmcnt(3)
	v_add_nc_u32_e32 v18, v8, v7
	s_waitcnt lgkmcnt(2)
	s_delay_alu instid0(VALU_DEP_1) | instskip(SKIP_1) | instid1(VALU_DEP_1)
	v_add3_u32 v18, v18, v5, v6
	s_waitcnt lgkmcnt(1)
	v_add3_u32 v18, v18, v3, v4
	s_waitcnt lgkmcnt(0)
	s_delay_alu instid0(VALU_DEP_1) | instskip(NEXT) | instid1(VALU_DEP_1)
	v_add3_u32 v2, v18, v1, v2
	v_mov_b32_dpp v18, v2 row_shr:1 row_mask:0xf bank_mask:0xf
	s_delay_alu instid0(VALU_DEP_1) | instskip(NEXT) | instid1(VALU_DEP_1)
	v_cndmask_b32_e64 v18, v18, 0, s2
	v_add_nc_u32_e32 v2, v18, v2
	s_delay_alu instid0(VALU_DEP_1) | instskip(NEXT) | instid1(VALU_DEP_1)
	v_mov_b32_dpp v18, v2 row_shr:2 row_mask:0xf bank_mask:0xf
	v_cndmask_b32_e64 v18, 0, v18, s3
	s_delay_alu instid0(VALU_DEP_1) | instskip(NEXT) | instid1(VALU_DEP_1)
	v_add_nc_u32_e32 v2, v2, v18
	v_mov_b32_dpp v18, v2 row_shr:4 row_mask:0xf bank_mask:0xf
	s_delay_alu instid0(VALU_DEP_1) | instskip(NEXT) | instid1(VALU_DEP_1)
	v_cndmask_b32_e64 v18, 0, v18, s4
	v_add_nc_u32_e32 v2, v2, v18
	s_delay_alu instid0(VALU_DEP_1) | instskip(NEXT) | instid1(VALU_DEP_1)
	v_mov_b32_dpp v18, v2 row_shr:8 row_mask:0xf bank_mask:0xf
	v_cndmask_b32_e64 v18, 0, v18, s5
	s_delay_alu instid0(VALU_DEP_1) | instskip(SKIP_3) | instid1(VALU_DEP_1)
	v_add_nc_u32_e32 v2, v2, v18
	ds_swizzle_b32 v18, v2 offset:swizzle(BROADCAST,32,15)
	s_waitcnt lgkmcnt(0)
	v_cndmask_b32_e64 v18, v18, 0, s6
	v_add_nc_u32_e32 v2, v2, v18
	s_and_saveexec_b32 s10, s7
	s_cbranch_execz .LBB46_14
; %bb.13:                               ;   in Loop: Header=BB46_2 Depth=1
	ds_store_b32 v12, v2 offset:4096
.LBB46_14:                              ;   in Loop: Header=BB46_2 Depth=1
	s_or_b32 exec_lo, exec_lo, s10
	s_waitcnt lgkmcnt(0)
	s_barrier
	buffer_gl0_inv
	s_and_saveexec_b32 s10, vcc_lo
	s_cbranch_execz .LBB46_16
; %bb.15:                               ;   in Loop: Header=BB46_2 Depth=1
	ds_load_b32 v18, v11 offset:4096
	s_waitcnt lgkmcnt(0)
	v_mov_b32_dpp v19, v18 row_shr:1 row_mask:0xf bank_mask:0xf
	s_delay_alu instid0(VALU_DEP_1) | instskip(NEXT) | instid1(VALU_DEP_1)
	v_cndmask_b32_e64 v19, v19, 0, s8
	v_add_nc_u32_e32 v18, v19, v18
	s_delay_alu instid0(VALU_DEP_1) | instskip(NEXT) | instid1(VALU_DEP_1)
	v_mov_b32_dpp v19, v18 row_shr:2 row_mask:0xf bank_mask:0xf
	v_cndmask_b32_e64 v19, 0, v19, s9
	s_delay_alu instid0(VALU_DEP_1)
	v_add_nc_u32_e32 v18, v18, v19
	ds_store_b32 v11, v18 offset:4096
.LBB46_16:                              ;   in Loop: Header=BB46_2 Depth=1
	s_or_b32 exec_lo, exec_lo, s10
	v_mov_b32_e32 v18, 0
	s_waitcnt lgkmcnt(0)
	s_barrier
	buffer_gl0_inv
	s_and_saveexec_b32 s10, s0
	s_cbranch_execz .LBB46_1
; %bb.17:                               ;   in Loop: Header=BB46_2 Depth=1
	ds_load_b32 v18, v12 offset:4092
	s_branch .LBB46_1
.LBB46_18:
	ds_load_u16 v1, v13
	v_and_b32_e32 v2, 0xffff, v17
	s_lshl_b64 s[0:1], s[12:13], 2
	v_lshlrev_b32_e32 v0, 2, v0
	s_add_u32 s0, s18, s0
	s_addc_u32 s1, s19, s1
	s_waitcnt lgkmcnt(0)
	v_add_nc_u32_e32 v1, v1, v2
	global_store_b32 v0, v1, s[0:1]
	s_nop 0
	s_sendmsg sendmsg(MSG_DEALLOC_VGPRS)
	s_endpgm
	.section	.rodata,"a",@progbits
	.p2align	6, 0x0
	.amdhsa_kernel _Z11rank_kernelIhLj4ELb0EL18RadixRankAlgorithm1ELj128ELj1ELj10EEvPKT_Pi
		.amdhsa_group_segment_fixed_size 4112
		.amdhsa_private_segment_fixed_size 0
		.amdhsa_kernarg_size 16
		.amdhsa_user_sgpr_count 15
		.amdhsa_user_sgpr_dispatch_ptr 0
		.amdhsa_user_sgpr_queue_ptr 0
		.amdhsa_user_sgpr_kernarg_segment_ptr 1
		.amdhsa_user_sgpr_dispatch_id 0
		.amdhsa_user_sgpr_private_segment_size 0
		.amdhsa_wavefront_size32 1
		.amdhsa_uses_dynamic_stack 0
		.amdhsa_enable_private_segment 0
		.amdhsa_system_sgpr_workgroup_id_x 1
		.amdhsa_system_sgpr_workgroup_id_y 0
		.amdhsa_system_sgpr_workgroup_id_z 0
		.amdhsa_system_sgpr_workgroup_info 0
		.amdhsa_system_vgpr_workitem_id 0
		.amdhsa_next_free_vgpr 20
		.amdhsa_next_free_sgpr 20
		.amdhsa_reserve_vcc 1
		.amdhsa_float_round_mode_32 0
		.amdhsa_float_round_mode_16_64 0
		.amdhsa_float_denorm_mode_32 3
		.amdhsa_float_denorm_mode_16_64 3
		.amdhsa_dx10_clamp 1
		.amdhsa_ieee_mode 1
		.amdhsa_fp16_overflow 0
		.amdhsa_workgroup_processor_mode 1
		.amdhsa_memory_ordered 1
		.amdhsa_forward_progress 0
		.amdhsa_shared_vgpr_count 0
		.amdhsa_exception_fp_ieee_invalid_op 0
		.amdhsa_exception_fp_denorm_src 0
		.amdhsa_exception_fp_ieee_div_zero 0
		.amdhsa_exception_fp_ieee_overflow 0
		.amdhsa_exception_fp_ieee_underflow 0
		.amdhsa_exception_fp_ieee_inexact 0
		.amdhsa_exception_int_div_zero 0
	.end_amdhsa_kernel
	.section	.text._Z11rank_kernelIhLj4ELb0EL18RadixRankAlgorithm1ELj128ELj1ELj10EEvPKT_Pi,"axG",@progbits,_Z11rank_kernelIhLj4ELb0EL18RadixRankAlgorithm1ELj128ELj1ELj10EEvPKT_Pi,comdat
.Lfunc_end46:
	.size	_Z11rank_kernelIhLj4ELb0EL18RadixRankAlgorithm1ELj128ELj1ELj10EEvPKT_Pi, .Lfunc_end46-_Z11rank_kernelIhLj4ELb0EL18RadixRankAlgorithm1ELj128ELj1ELj10EEvPKT_Pi
                                        ; -- End function
	.section	.AMDGPU.csdata,"",@progbits
; Kernel info:
; codeLenInByte = 1616
; NumSgprs: 22
; NumVgprs: 20
; ScratchSize: 0
; MemoryBound: 0
; FloatMode: 240
; IeeeMode: 1
; LDSByteSize: 4112 bytes/workgroup (compile time only)
; SGPRBlocks: 2
; VGPRBlocks: 2
; NumSGPRsForWavesPerEU: 22
; NumVGPRsForWavesPerEU: 20
; Occupancy: 16
; WaveLimiterHint : 0
; COMPUTE_PGM_RSRC2:SCRATCH_EN: 0
; COMPUTE_PGM_RSRC2:USER_SGPR: 15
; COMPUTE_PGM_RSRC2:TRAP_HANDLER: 0
; COMPUTE_PGM_RSRC2:TGID_X_EN: 1
; COMPUTE_PGM_RSRC2:TGID_Y_EN: 0
; COMPUTE_PGM_RSRC2:TGID_Z_EN: 0
; COMPUTE_PGM_RSRC2:TIDIG_COMP_CNT: 0
	.section	.text._Z11rank_kernelIhLj4ELb0EL18RadixRankAlgorithm2ELj128ELj1ELj10EEvPKT_Pi,"axG",@progbits,_Z11rank_kernelIhLj4ELb0EL18RadixRankAlgorithm2ELj128ELj1ELj10EEvPKT_Pi,comdat
	.protected	_Z11rank_kernelIhLj4ELb0EL18RadixRankAlgorithm2ELj128ELj1ELj10EEvPKT_Pi ; -- Begin function _Z11rank_kernelIhLj4ELb0EL18RadixRankAlgorithm2ELj128ELj1ELj10EEvPKT_Pi
	.globl	_Z11rank_kernelIhLj4ELb0EL18RadixRankAlgorithm2ELj128ELj1ELj10EEvPKT_Pi
	.p2align	8
	.type	_Z11rank_kernelIhLj4ELb0EL18RadixRankAlgorithm2ELj128ELj1ELj10EEvPKT_Pi,@function
_Z11rank_kernelIhLj4ELb0EL18RadixRankAlgorithm2ELj128ELj1ELj10EEvPKT_Pi: ; @_Z11rank_kernelIhLj4ELb0EL18RadixRankAlgorithm2ELj128ELj1ELj10EEvPKT_Pi
; %bb.0:
	s_clause 0x1
	s_load_b128 s[16:19], s[0:1], 0x0
	s_load_b32 s7, s[0:1], 0x1c
	s_lshl_b32 s12, s15, 7
	v_dual_mov_b32 v2, 0 :: v_dual_and_b32 v1, 0x3ff, v0
	v_mbcnt_lo_u32_b32 v3, -1, 0
	v_bfe_u32 v4, v0, 10, 10
	v_bfe_u32 v5, v0, 20, 10
	s_delay_alu instid0(VALU_DEP_4)
	v_or_b32_e32 v11, 31, v1
	v_lshlrev_b32_e32 v0, 2, v1
	v_and_b32_e32 v6, 15, v3
	v_and_b32_e32 v7, 16, v3
	v_add_nc_u32_e32 v9, -1, v3
	v_and_b32_e32 v10, 3, v3
	v_cmp_eq_u32_e64 s9, v11, v1
	v_cmp_lt_u32_e64 s2, 3, v6
	v_cmp_lt_u32_e64 s3, 7, v6
	v_cmp_eq_u32_e64 s4, 0, v7
	v_cmp_lt_u32_e64 s8, 1, v10
	v_cmp_eq_u32_e32 vcc_lo, 0, v3
	s_waitcnt lgkmcnt(0)
	s_add_u32 s0, s16, s12
	s_addc_u32 s1, s17, 0
	s_lshr_b32 s6, s7, 16
	global_load_u8 v8, v1, s[0:1]
	v_mad_u32_u24 v4, v5, s6, v4
	s_and_b32 s7, s7, 0xffff
	v_cmp_eq_u32_e64 s0, 0, v6
	v_cmp_lt_u32_e64 s1, 1, v6
	v_lshrrev_b32_e32 v5, 3, v1
	v_mad_u64_u32 v[6:7], null, v4, s7, v[1:2]
	v_cmp_gt_i32_e64 s7, 0, v9
	v_cmp_gt_u32_e64 s5, 4, v1
	v_cmp_lt_u32_e64 s6, 31, v1
	s_mov_b32 s13, 0
	s_mov_b32 s14, 10
	v_cndmask_b32_e64 v4, v9, v3, s7
	v_lshrrev_b32_e32 v17, 5, v6
	v_cmp_eq_u32_e64 s7, 0, v10
	v_and_b32_e32 v3, 12, v5
	s_delay_alu instid0(VALU_DEP_4) | instskip(NEXT) | instid1(VALU_DEP_2)
	v_lshlrev_b32_e32 v4, 2, v4
	v_add_nc_u32_e32 v5, -4, v3
	s_waitcnt vmcnt(0)
	v_lshrrev_b32_e32 v6, 4, v8
	v_and_b32_e32 v9, 1, v8
	v_and_b32_e32 v7, 15, v8
	v_lshlrev_b32_e32 v10, 30, v8
	v_lshlrev_b32_e32 v11, 29, v8
	v_mul_u32_u24_e32 v14, 5, v6
	v_lshlrev_b32_e32 v20, 30, v6
	v_lshlrev_b32_e32 v21, 29, v6
	;; [unrolled: 1-line block ×3, first 2 shown]
	v_add_co_u32 v6, s10, v9, -1
	v_mul_u32_u24_e32 v19, 5, v7
	v_cndmask_b32_e64 v7, 0, 1, s10
	v_cmp_gt_i32_e64 s10, 0, v10
	v_lshlrev_b32_e32 v12, 28, v8
	v_bfe_u32 v13, v8, 4, 1
	v_not_b32_e32 v15, v10
	v_not_b32_e32 v16, v11
	v_cndmask_b32_e64 v8, 0, 1, s10
	v_cmp_gt_i32_e64 s10, 0, v11
	v_not_b32_e32 v18, v12
	v_not_b32_e32 v22, v20
	;; [unrolled: 1-line block ×4, first 2 shown]
	v_cndmask_b32_e64 v9, 0, 1, s10
	v_cmp_gt_i32_e64 s10, 0, v12
	v_add_lshl_u32 v12, v17, v14, 2
	v_ashrrev_i32_e32 v14, 31, v15
	v_ashrrev_i32_e32 v15, 31, v16
	;; [unrolled: 1-line block ×3, first 2 shown]
	v_cndmask_b32_e64 v10, 0, 1, s10
	v_add_co_u32 v11, s10, v13, -1
	s_delay_alu instid0(VALU_DEP_1) | instskip(SKIP_4) | instid1(VALU_DEP_4)
	v_cndmask_b32_e64 v13, 0, 1, s10
	v_cmp_gt_i32_e64 s10, 0, v20
	v_add_lshl_u32 v17, v17, v19, 2
	v_ashrrev_i32_e32 v20, 31, v22
	v_ashrrev_i32_e32 v22, 31, v25
	v_cndmask_b32_e64 v18, 0, 1, s10
	v_cmp_gt_i32_e64 s10, 0, v21
	v_ashrrev_i32_e32 v21, 31, v24
	s_delay_alu instid0(VALU_DEP_2) | instskip(SKIP_1) | instid1(VALU_DEP_1)
	v_cndmask_b32_e64 v19, 0, 1, s10
	v_cmp_gt_i32_e64 s10, 0, v23
	v_cndmask_b32_e64 v23, 0, 1, s10
	s_branch .LBB47_2
.LBB47_1:                               ;   in Loop: Header=BB47_2 Depth=1
	s_or_b32 exec_lo, exec_lo, s10
	s_waitcnt lgkmcnt(0)
	v_add_nc_u32_e32 v25, v26, v25
	s_add_i32 s14, s14, -1
	s_delay_alu instid0(SALU_CYCLE_1)
	s_cmp_eq_u32 s14, 0
	ds_bpermute_b32 v25, v4, v25
	s_waitcnt lgkmcnt(0)
	v_cndmask_b32_e32 v25, v25, v26, vcc_lo
	ds_store_b32 v0, v25 offset:16
	s_waitcnt lgkmcnt(0)
	s_barrier
	buffer_gl0_inv
	s_cbranch_scc1 .LBB47_18
.LBB47_2:                               ; =>This Inner Loop Header: Depth=1
	v_cmp_ne_u32_e64 s10, 0, v7
	v_cmp_ne_u32_e64 s11, 0, v8
	ds_store_b32 v0, v2 offset:16
	s_waitcnt lgkmcnt(0)
	s_barrier
	v_xor_b32_e32 v24, s10, v6
	v_cmp_ne_u32_e64 s10, 0, v9
	v_xor_b32_e32 v25, s11, v14
	v_cmp_ne_u32_e64 s11, 0, v10
	buffer_gl0_inv
	v_and_b32_e32 v24, exec_lo, v24
	v_xor_b32_e32 v26, s10, v15
	; wave barrier
	s_delay_alu instid0(VALU_DEP_2) | instskip(SKIP_1) | instid1(VALU_DEP_2)
	v_and_b32_e32 v24, v24, v25
	v_xor_b32_e32 v25, s11, v16
	v_and_b32_e32 v24, v24, v26
	s_delay_alu instid0(VALU_DEP_1) | instskip(NEXT) | instid1(VALU_DEP_1)
	v_and_b32_e32 v24, v24, v25
	v_mbcnt_lo_u32_b32 v25, v24, 0
	v_cmp_ne_u32_e64 s11, 0, v24
	s_delay_alu instid0(VALU_DEP_2) | instskip(NEXT) | instid1(VALU_DEP_1)
	v_cmp_eq_u32_e64 s10, 0, v25
	s_and_b32 s11, s11, s10
	s_delay_alu instid0(SALU_CYCLE_1)
	s_and_saveexec_b32 s10, s11
	s_cbranch_execz .LBB47_4
; %bb.3:                                ;   in Loop: Header=BB47_2 Depth=1
	v_bcnt_u32_b32 v24, v24, 0
	ds_store_b32 v17, v24 offset:16
.LBB47_4:                               ;   in Loop: Header=BB47_2 Depth=1
	s_or_b32 exec_lo, exec_lo, s10
	; wave barrier
	s_waitcnt lgkmcnt(0)
	s_barrier
	buffer_gl0_inv
	ds_load_b32 v24, v0 offset:16
	s_waitcnt lgkmcnt(0)
	v_mov_b32_dpp v25, v24 row_shr:1 row_mask:0xf bank_mask:0xf
	s_delay_alu instid0(VALU_DEP_1) | instskip(NEXT) | instid1(VALU_DEP_1)
	v_cndmask_b32_e64 v25, v25, 0, s0
	v_add_nc_u32_e32 v24, v25, v24
	s_delay_alu instid0(VALU_DEP_1) | instskip(NEXT) | instid1(VALU_DEP_1)
	v_mov_b32_dpp v25, v24 row_shr:2 row_mask:0xf bank_mask:0xf
	v_cndmask_b32_e64 v25, 0, v25, s1
	s_delay_alu instid0(VALU_DEP_1) | instskip(NEXT) | instid1(VALU_DEP_1)
	v_add_nc_u32_e32 v24, v24, v25
	v_mov_b32_dpp v25, v24 row_shr:4 row_mask:0xf bank_mask:0xf
	s_delay_alu instid0(VALU_DEP_1) | instskip(NEXT) | instid1(VALU_DEP_1)
	v_cndmask_b32_e64 v25, 0, v25, s2
	v_add_nc_u32_e32 v24, v24, v25
	s_delay_alu instid0(VALU_DEP_1) | instskip(NEXT) | instid1(VALU_DEP_1)
	v_mov_b32_dpp v25, v24 row_shr:8 row_mask:0xf bank_mask:0xf
	v_cndmask_b32_e64 v25, 0, v25, s3
	s_delay_alu instid0(VALU_DEP_1) | instskip(SKIP_3) | instid1(VALU_DEP_1)
	v_add_nc_u32_e32 v24, v24, v25
	ds_swizzle_b32 v25, v24 offset:swizzle(BROADCAST,32,15)
	s_waitcnt lgkmcnt(0)
	v_cndmask_b32_e64 v25, v25, 0, s4
	v_add_nc_u32_e32 v24, v24, v25
	s_and_saveexec_b32 s10, s9
	s_cbranch_execz .LBB47_6
; %bb.5:                                ;   in Loop: Header=BB47_2 Depth=1
	ds_store_b32 v3, v24
.LBB47_6:                               ;   in Loop: Header=BB47_2 Depth=1
	s_or_b32 exec_lo, exec_lo, s10
	s_waitcnt lgkmcnt(0)
	s_barrier
	buffer_gl0_inv
	s_and_saveexec_b32 s10, s5
	s_cbranch_execz .LBB47_8
; %bb.7:                                ;   in Loop: Header=BB47_2 Depth=1
	ds_load_b32 v25, v0
	s_waitcnt lgkmcnt(0)
	v_mov_b32_dpp v26, v25 row_shr:1 row_mask:0xf bank_mask:0xf
	s_delay_alu instid0(VALU_DEP_1) | instskip(NEXT) | instid1(VALU_DEP_1)
	v_cndmask_b32_e64 v26, v26, 0, s7
	v_add_nc_u32_e32 v25, v26, v25
	s_delay_alu instid0(VALU_DEP_1) | instskip(NEXT) | instid1(VALU_DEP_1)
	v_mov_b32_dpp v26, v25 row_shr:2 row_mask:0xf bank_mask:0xf
	v_cndmask_b32_e64 v26, 0, v26, s8
	s_delay_alu instid0(VALU_DEP_1)
	v_add_nc_u32_e32 v25, v25, v26
	ds_store_b32 v0, v25
.LBB47_8:                               ;   in Loop: Header=BB47_2 Depth=1
	s_or_b32 exec_lo, exec_lo, s10
	v_mov_b32_e32 v25, 0
	s_waitcnt lgkmcnt(0)
	s_barrier
	buffer_gl0_inv
	s_and_saveexec_b32 s10, s6
	s_cbranch_execz .LBB47_10
; %bb.9:                                ;   in Loop: Header=BB47_2 Depth=1
	ds_load_b32 v25, v5
.LBB47_10:                              ;   in Loop: Header=BB47_2 Depth=1
	s_or_b32 exec_lo, exec_lo, s10
	s_waitcnt lgkmcnt(0)
	v_add_nc_u32_e32 v24, v25, v24
	v_cmp_ne_u32_e64 s10, 0, v13
	v_cmp_ne_u32_e64 s11, 0, v18
	ds_bpermute_b32 v24, v4, v24
	v_xor_b32_e32 v26, s10, v11
	v_cmp_ne_u32_e64 s10, 0, v19
	v_xor_b32_e32 v27, s11, v20
	v_cmp_ne_u32_e64 s11, 0, v23
	s_delay_alu instid0(VALU_DEP_4) | instskip(NEXT) | instid1(VALU_DEP_4)
	v_and_b32_e32 v26, exec_lo, v26
	v_xor_b32_e32 v28, s10, v21
	s_delay_alu instid0(VALU_DEP_2) | instskip(NEXT) | instid1(VALU_DEP_4)
	v_and_b32_e32 v26, v26, v27
	v_xor_b32_e32 v27, s11, v22
	s_delay_alu instid0(VALU_DEP_2) | instskip(SKIP_1) | instid1(VALU_DEP_1)
	v_and_b32_e32 v26, v26, v28
	s_waitcnt lgkmcnt(0)
	v_dual_cndmask_b32 v24, v24, v25 :: v_dual_and_b32 v25, v26, v27
	ds_store_b32 v0, v24 offset:16
	v_mbcnt_lo_u32_b32 v24, v25, 0
	v_cmp_ne_u32_e64 s11, 0, v25
	s_waitcnt lgkmcnt(0)
	s_barrier
	buffer_gl0_inv
	v_cmp_eq_u32_e64 s10, 0, v24
	ds_store_b32 v0, v2 offset:16
	s_waitcnt lgkmcnt(0)
	s_barrier
	buffer_gl0_inv
	s_and_b32 s11, s11, s10
	; wave barrier
	s_delay_alu instid0(SALU_CYCLE_1)
	s_and_saveexec_b32 s10, s11
	s_cbranch_execz .LBB47_12
; %bb.11:                               ;   in Loop: Header=BB47_2 Depth=1
	v_bcnt_u32_b32 v25, v25, 0
	ds_store_b32 v12, v25 offset:16
.LBB47_12:                              ;   in Loop: Header=BB47_2 Depth=1
	s_or_b32 exec_lo, exec_lo, s10
	; wave barrier
	s_waitcnt lgkmcnt(0)
	s_barrier
	buffer_gl0_inv
	ds_load_b32 v25, v0 offset:16
	s_waitcnt lgkmcnt(0)
	v_mov_b32_dpp v26, v25 row_shr:1 row_mask:0xf bank_mask:0xf
	s_delay_alu instid0(VALU_DEP_1) | instskip(NEXT) | instid1(VALU_DEP_1)
	v_cndmask_b32_e64 v26, v26, 0, s0
	v_add_nc_u32_e32 v25, v26, v25
	s_delay_alu instid0(VALU_DEP_1) | instskip(NEXT) | instid1(VALU_DEP_1)
	v_mov_b32_dpp v26, v25 row_shr:2 row_mask:0xf bank_mask:0xf
	v_cndmask_b32_e64 v26, 0, v26, s1
	s_delay_alu instid0(VALU_DEP_1) | instskip(NEXT) | instid1(VALU_DEP_1)
	v_add_nc_u32_e32 v25, v25, v26
	v_mov_b32_dpp v26, v25 row_shr:4 row_mask:0xf bank_mask:0xf
	s_delay_alu instid0(VALU_DEP_1) | instskip(NEXT) | instid1(VALU_DEP_1)
	v_cndmask_b32_e64 v26, 0, v26, s2
	v_add_nc_u32_e32 v25, v25, v26
	s_delay_alu instid0(VALU_DEP_1) | instskip(NEXT) | instid1(VALU_DEP_1)
	v_mov_b32_dpp v26, v25 row_shr:8 row_mask:0xf bank_mask:0xf
	v_cndmask_b32_e64 v26, 0, v26, s3
	s_delay_alu instid0(VALU_DEP_1) | instskip(SKIP_3) | instid1(VALU_DEP_1)
	v_add_nc_u32_e32 v25, v25, v26
	ds_swizzle_b32 v26, v25 offset:swizzle(BROADCAST,32,15)
	s_waitcnt lgkmcnt(0)
	v_cndmask_b32_e64 v26, v26, 0, s4
	v_add_nc_u32_e32 v25, v25, v26
	s_and_saveexec_b32 s10, s9
	s_cbranch_execz .LBB47_14
; %bb.13:                               ;   in Loop: Header=BB47_2 Depth=1
	ds_store_b32 v3, v25
.LBB47_14:                              ;   in Loop: Header=BB47_2 Depth=1
	s_or_b32 exec_lo, exec_lo, s10
	s_waitcnt lgkmcnt(0)
	s_barrier
	buffer_gl0_inv
	s_and_saveexec_b32 s10, s5
	s_cbranch_execz .LBB47_16
; %bb.15:                               ;   in Loop: Header=BB47_2 Depth=1
	ds_load_b32 v26, v0
	s_waitcnt lgkmcnt(0)
	v_mov_b32_dpp v27, v26 row_shr:1 row_mask:0xf bank_mask:0xf
	s_delay_alu instid0(VALU_DEP_1) | instskip(NEXT) | instid1(VALU_DEP_1)
	v_cndmask_b32_e64 v27, v27, 0, s7
	v_add_nc_u32_e32 v26, v27, v26
	s_delay_alu instid0(VALU_DEP_1) | instskip(NEXT) | instid1(VALU_DEP_1)
	v_mov_b32_dpp v27, v26 row_shr:2 row_mask:0xf bank_mask:0xf
	v_cndmask_b32_e64 v27, 0, v27, s8
	s_delay_alu instid0(VALU_DEP_1)
	v_add_nc_u32_e32 v26, v26, v27
	ds_store_b32 v0, v26
.LBB47_16:                              ;   in Loop: Header=BB47_2 Depth=1
	s_or_b32 exec_lo, exec_lo, s10
	v_mov_b32_e32 v26, 0
	s_waitcnt lgkmcnt(0)
	s_barrier
	buffer_gl0_inv
	s_and_saveexec_b32 s10, s6
	s_cbranch_execz .LBB47_1
; %bb.17:                               ;   in Loop: Header=BB47_2 Depth=1
	ds_load_b32 v26, v5
	s_branch .LBB47_1
.LBB47_18:
	ds_load_b32 v0, v12 offset:16
	s_lshl_b64 s[0:1], s[12:13], 2
	v_lshlrev_b32_e32 v1, 2, v1
	s_add_u32 s0, s18, s0
	s_addc_u32 s1, s19, s1
	s_waitcnt lgkmcnt(0)
	v_add_nc_u32_e32 v0, v0, v24
	global_store_b32 v1, v0, s[0:1]
	s_nop 0
	s_sendmsg sendmsg(MSG_DEALLOC_VGPRS)
	s_endpgm
	.section	.rodata,"a",@progbits
	.p2align	6, 0x0
	.amdhsa_kernel _Z11rank_kernelIhLj4ELb0EL18RadixRankAlgorithm2ELj128ELj1ELj10EEvPKT_Pi
		.amdhsa_group_segment_fixed_size 528
		.amdhsa_private_segment_fixed_size 0
		.amdhsa_kernarg_size 272
		.amdhsa_user_sgpr_count 15
		.amdhsa_user_sgpr_dispatch_ptr 0
		.amdhsa_user_sgpr_queue_ptr 0
		.amdhsa_user_sgpr_kernarg_segment_ptr 1
		.amdhsa_user_sgpr_dispatch_id 0
		.amdhsa_user_sgpr_private_segment_size 0
		.amdhsa_wavefront_size32 1
		.amdhsa_uses_dynamic_stack 0
		.amdhsa_enable_private_segment 0
		.amdhsa_system_sgpr_workgroup_id_x 1
		.amdhsa_system_sgpr_workgroup_id_y 0
		.amdhsa_system_sgpr_workgroup_id_z 0
		.amdhsa_system_sgpr_workgroup_info 0
		.amdhsa_system_vgpr_workitem_id 2
		.amdhsa_next_free_vgpr 29
		.amdhsa_next_free_sgpr 20
		.amdhsa_reserve_vcc 1
		.amdhsa_float_round_mode_32 0
		.amdhsa_float_round_mode_16_64 0
		.amdhsa_float_denorm_mode_32 3
		.amdhsa_float_denorm_mode_16_64 3
		.amdhsa_dx10_clamp 1
		.amdhsa_ieee_mode 1
		.amdhsa_fp16_overflow 0
		.amdhsa_workgroup_processor_mode 1
		.amdhsa_memory_ordered 1
		.amdhsa_forward_progress 0
		.amdhsa_shared_vgpr_count 0
		.amdhsa_exception_fp_ieee_invalid_op 0
		.amdhsa_exception_fp_denorm_src 0
		.amdhsa_exception_fp_ieee_div_zero 0
		.amdhsa_exception_fp_ieee_overflow 0
		.amdhsa_exception_fp_ieee_underflow 0
		.amdhsa_exception_fp_ieee_inexact 0
		.amdhsa_exception_int_div_zero 0
	.end_amdhsa_kernel
	.section	.text._Z11rank_kernelIhLj4ELb0EL18RadixRankAlgorithm2ELj128ELj1ELj10EEvPKT_Pi,"axG",@progbits,_Z11rank_kernelIhLj4ELb0EL18RadixRankAlgorithm2ELj128ELj1ELj10EEvPKT_Pi,comdat
.Lfunc_end47:
	.size	_Z11rank_kernelIhLj4ELb0EL18RadixRankAlgorithm2ELj128ELj1ELj10EEvPKT_Pi, .Lfunc_end47-_Z11rank_kernelIhLj4ELb0EL18RadixRankAlgorithm2ELj128ELj1ELj10EEvPKT_Pi
                                        ; -- End function
	.section	.AMDGPU.csdata,"",@progbits
; Kernel info:
; codeLenInByte = 1648
; NumSgprs: 22
; NumVgprs: 29
; ScratchSize: 0
; MemoryBound: 0
; FloatMode: 240
; IeeeMode: 1
; LDSByteSize: 528 bytes/workgroup (compile time only)
; SGPRBlocks: 2
; VGPRBlocks: 3
; NumSGPRsForWavesPerEU: 22
; NumVGPRsForWavesPerEU: 29
; Occupancy: 16
; WaveLimiterHint : 0
; COMPUTE_PGM_RSRC2:SCRATCH_EN: 0
; COMPUTE_PGM_RSRC2:USER_SGPR: 15
; COMPUTE_PGM_RSRC2:TRAP_HANDLER: 0
; COMPUTE_PGM_RSRC2:TGID_X_EN: 1
; COMPUTE_PGM_RSRC2:TGID_Y_EN: 0
; COMPUTE_PGM_RSRC2:TGID_Z_EN: 0
; COMPUTE_PGM_RSRC2:TIDIG_COMP_CNT: 2
	.section	.text._Z11rank_kernelIhLj4ELb0EL18RadixRankAlgorithm0ELj128ELj4ELj10EEvPKT_Pi,"axG",@progbits,_Z11rank_kernelIhLj4ELb0EL18RadixRankAlgorithm0ELj128ELj4ELj10EEvPKT_Pi,comdat
	.protected	_Z11rank_kernelIhLj4ELb0EL18RadixRankAlgorithm0ELj128ELj4ELj10EEvPKT_Pi ; -- Begin function _Z11rank_kernelIhLj4ELb0EL18RadixRankAlgorithm0ELj128ELj4ELj10EEvPKT_Pi
	.globl	_Z11rank_kernelIhLj4ELb0EL18RadixRankAlgorithm0ELj128ELj4ELj10EEvPKT_Pi
	.p2align	8
	.type	_Z11rank_kernelIhLj4ELb0EL18RadixRankAlgorithm0ELj128ELj4ELj10EEvPKT_Pi,@function
_Z11rank_kernelIhLj4ELb0EL18RadixRankAlgorithm0ELj128ELj4ELj10EEvPKT_Pi: ; @_Z11rank_kernelIhLj4ELb0EL18RadixRankAlgorithm0ELj128ELj4ELj10EEvPKT_Pi
; %bb.0:
	s_load_b128 s[16:19], s[0:1], 0x0
	s_lshl_b32 s12, s15, 9
	v_dual_mov_b32 v2, 0 :: v_dual_lshlrev_b32 v1, 2, v0
	v_mbcnt_lo_u32_b32 v4, -1, 0
	v_lshrrev_b32_e32 v10, 3, v0
	v_or_b32_e32 v8, 31, v0
	v_lshlrev_b32_e32 v3, 5, v0
	v_cmp_gt_u32_e32 vcc_lo, 4, v0
	v_add_nc_u32_e32 v9, -1, v4
	v_and_b32_e32 v5, 15, v4
	v_and_b32_e32 v6, 16, v4
	;; [unrolled: 1-line block ×3, first 2 shown]
	s_mov_b32 s13, 0
	v_cmp_gt_i32_e64 s7, 0, v9
	v_cmp_eq_u32_e64 s2, 0, v5
	v_cmp_lt_u32_e64 s3, 1, v5
	v_cmp_lt_u32_e64 s4, 3, v5
	;; [unrolled: 1-line block ×3, first 2 shown]
	v_cndmask_b32_e64 v5, v9, v4, s7
	s_waitcnt lgkmcnt(0)
	s_add_u32 s0, s16, s12
	s_addc_u32 s1, s17, 0
	v_cmp_eq_u32_e64 s6, 0, v6
	global_load_b32 v7, v1, s[0:1]
	v_cmp_eq_u32_e64 s1, 0, v4
	v_and_b32_e32 v4, 12, v10
	v_cmp_eq_u32_e64 s7, v8, v0
	v_cmp_eq_u32_e64 s8, 0, v11
	v_cmp_lt_u32_e64 s9, 1, v11
	v_cmp_lt_u32_e64 s0, 31, v0
	v_lshlrev_b32_e32 v5, 2, v5
	s_mov_b32 s11, s13
	s_waitcnt vmcnt(0)
	v_lshlrev_b32_e32 v9, 7, v7
	v_lshrrev_b32_e32 v10, 2, v7
	v_lshrrev_b32_e32 v21, 21, v7
	v_lshlrev_b32_e32 v6, 3, v7
	v_lshrrev_b32_e32 v8, 6, v7
	v_lshrrev_b32_e32 v11, 1, v7
	;; [unrolled: 1-line block ×11, first 2 shown]
	v_and_or_b32 v9, 0x380, v9, v0
	v_and_b32_e32 v10, 2, v10
	v_and_or_b32 v21, 0x380, v21, v0
	v_and_or_b32 v6, 0x380, v6, v0
	v_and_b32_e32 v8, 2, v8
	v_and_or_b32 v11, 0x380, v11, v0
	v_and_b32_e32 v12, 2, v12
	;; [unrolled: 2-line block ×6, first 2 shown]
	v_lshl_or_b32 v10, v9, 2, v10
	v_alignbit_b32 v9, v21, v7, 30
	v_lshl_or_b32 v6, v6, 2, v8
	v_lshl_or_b32 v11, v11, 2, v12
	;; [unrolled: 1-line block ×6, first 2 shown]
	v_and_b32_e32 v9, 0xffe, v9
	v_or_b32_e32 v0, 0xffffff80, v0
	s_branch .LBB48_2
.LBB48_1:                               ;   in Loop: Header=BB48_2 Depth=1
	s_or_b32 exec_lo, exec_lo, s10
	s_waitcnt lgkmcnt(0)
	v_add_nc_u32_e32 v18, v19, v18
	ds_load_b32 v22, v2 offset:4108
	ds_load_2addr_b32 v[20:21], v3 offset1:1
	s_add_i32 s11, s11, 1
	s_delay_alu instid0(SALU_CYCLE_1)
	s_cmp_eq_u32 s11, 10
	ds_bpermute_b32 v18, v5, v18
	s_waitcnt lgkmcnt(0)
	v_cndmask_b32_e64 v23, v18, v19, s1
	ds_load_2addr_b32 v[18:19], v3 offset0:2 offset1:3
	v_lshl_add_u32 v24, v22, 16, v23
	ds_load_2addr_b32 v[22:23], v3 offset0:4 offset1:5
	ds_load_b32 v25, v3 offset:24
	v_add_nc_u32_e32 v20, v24, v20
	s_delay_alu instid0(VALU_DEP_1) | instskip(SKIP_1) | instid1(VALU_DEP_1)
	v_add_nc_u32_e32 v21, v21, v20
	s_waitcnt lgkmcnt(2)
	v_add_nc_u32_e32 v18, v18, v21
	s_delay_alu instid0(VALU_DEP_1) | instskip(SKIP_1) | instid1(VALU_DEP_1)
	v_add_nc_u32_e32 v19, v19, v18
	s_waitcnt lgkmcnt(1)
	v_add_nc_u32_e32 v22, v22, v19
	s_delay_alu instid0(VALU_DEP_1) | instskip(SKIP_1) | instid1(VALU_DEP_1)
	v_add_nc_u32_e32 v23, v23, v22
	s_waitcnt lgkmcnt(0)
	v_add_nc_u32_e32 v25, v25, v23
	ds_store_2addr_b32 v3, v24, v20 offset1:1
	ds_store_2addr_b32 v3, v21, v18 offset0:2 offset1:3
	ds_store_2addr_b32 v3, v19, v22 offset0:4 offset1:5
	;; [unrolled: 1-line block ×3, first 2 shown]
	s_waitcnt lgkmcnt(0)
	s_barrier
	buffer_gl0_inv
	s_cbranch_scc1 .LBB48_18
.LBB48_2:                               ; =>This Loop Header: Depth=1
                                        ;     Child Loop BB48_3 Depth 2
                                        ;     Child Loop BB48_11 Depth 2
	s_delay_alu instid0(VALU_DEP_1)
	v_dual_mov_b32 v14, v0 :: v_dual_mov_b32 v15, v1
	s_mov_b32 s14, 0
.LBB48_3:                               ;   Parent Loop BB48_2 Depth=1
                                        ; =>  This Inner Loop Header: Depth=2
	s_delay_alu instid0(VALU_DEP_1) | instskip(SKIP_3) | instid1(VALU_DEP_1)
	v_add_nc_u32_e32 v14, 0x80, v14
	ds_store_b32 v15, v2
	v_add_nc_u32_e32 v15, 0x200, v15
	v_cmp_lt_u32_e64 s10, 0x37f, v14
	s_or_b32 s14, s10, s14
	s_delay_alu instid0(SALU_CYCLE_1)
	s_and_not1_b32 exec_lo, exec_lo, s14
	s_cbranch_execnz .LBB48_3
; %bb.4:                                ;   in Loop: Header=BB48_2 Depth=1
	s_or_b32 exec_lo, exec_lo, s14
	ds_load_u16 v14, v10
	s_waitcnt lgkmcnt(0)
	v_add_nc_u16 v14, v14, 1
	ds_store_b16 v10, v14
	ds_load_u16 v14, v11
	s_waitcnt lgkmcnt(0)
	v_add_nc_u16 v14, v14, 1
	ds_store_b16 v11, v14
	;; [unrolled: 4-line block ×4, first 2 shown]
	s_waitcnt lgkmcnt(0)
	s_barrier
	buffer_gl0_inv
	ds_load_2addr_b32 v[14:15], v3 offset1:1
	ds_load_2addr_b32 v[16:17], v3 offset0:2 offset1:3
	ds_load_2addr_b32 v[18:19], v3 offset0:4 offset1:5
	;; [unrolled: 1-line block ×3, first 2 shown]
	s_waitcnt lgkmcnt(3)
	v_add_nc_u32_e32 v14, v15, v14
	s_waitcnt lgkmcnt(2)
	s_delay_alu instid0(VALU_DEP_1) | instskip(SKIP_1) | instid1(VALU_DEP_1)
	v_add3_u32 v14, v14, v16, v17
	s_waitcnt lgkmcnt(1)
	v_add3_u32 v14, v14, v18, v19
	s_waitcnt lgkmcnt(0)
	s_delay_alu instid0(VALU_DEP_1) | instskip(NEXT) | instid1(VALU_DEP_1)
	v_add3_u32 v14, v14, v20, v21
	v_mov_b32_dpp v15, v14 row_shr:1 row_mask:0xf bank_mask:0xf
	s_delay_alu instid0(VALU_DEP_1) | instskip(NEXT) | instid1(VALU_DEP_1)
	v_cndmask_b32_e64 v15, v15, 0, s2
	v_add_nc_u32_e32 v14, v15, v14
	s_delay_alu instid0(VALU_DEP_1) | instskip(NEXT) | instid1(VALU_DEP_1)
	v_mov_b32_dpp v15, v14 row_shr:2 row_mask:0xf bank_mask:0xf
	v_cndmask_b32_e64 v15, 0, v15, s3
	s_delay_alu instid0(VALU_DEP_1) | instskip(NEXT) | instid1(VALU_DEP_1)
	v_add_nc_u32_e32 v14, v14, v15
	v_mov_b32_dpp v15, v14 row_shr:4 row_mask:0xf bank_mask:0xf
	s_delay_alu instid0(VALU_DEP_1) | instskip(NEXT) | instid1(VALU_DEP_1)
	v_cndmask_b32_e64 v15, 0, v15, s4
	v_add_nc_u32_e32 v14, v14, v15
	s_delay_alu instid0(VALU_DEP_1) | instskip(NEXT) | instid1(VALU_DEP_1)
	v_mov_b32_dpp v15, v14 row_shr:8 row_mask:0xf bank_mask:0xf
	v_cndmask_b32_e64 v15, 0, v15, s5
	s_delay_alu instid0(VALU_DEP_1) | instskip(SKIP_3) | instid1(VALU_DEP_1)
	v_add_nc_u32_e32 v14, v14, v15
	ds_swizzle_b32 v15, v14 offset:swizzle(BROADCAST,32,15)
	s_waitcnt lgkmcnt(0)
	v_cndmask_b32_e64 v15, v15, 0, s6
	v_add_nc_u32_e32 v14, v14, v15
	s_and_saveexec_b32 s10, s7
	s_cbranch_execz .LBB48_6
; %bb.5:                                ;   in Loop: Header=BB48_2 Depth=1
	ds_store_b32 v4, v14 offset:4096
.LBB48_6:                               ;   in Loop: Header=BB48_2 Depth=1
	s_or_b32 exec_lo, exec_lo, s10
	s_waitcnt lgkmcnt(0)
	s_barrier
	buffer_gl0_inv
	s_and_saveexec_b32 s10, vcc_lo
	s_cbranch_execz .LBB48_8
; %bb.7:                                ;   in Loop: Header=BB48_2 Depth=1
	ds_load_b32 v15, v1 offset:4096
	s_waitcnt lgkmcnt(0)
	v_mov_b32_dpp v16, v15 row_shr:1 row_mask:0xf bank_mask:0xf
	s_delay_alu instid0(VALU_DEP_1) | instskip(NEXT) | instid1(VALU_DEP_1)
	v_cndmask_b32_e64 v16, v16, 0, s8
	v_add_nc_u32_e32 v15, v16, v15
	s_delay_alu instid0(VALU_DEP_1) | instskip(NEXT) | instid1(VALU_DEP_1)
	v_mov_b32_dpp v16, v15 row_shr:2 row_mask:0xf bank_mask:0xf
	v_cndmask_b32_e64 v16, 0, v16, s9
	s_delay_alu instid0(VALU_DEP_1)
	v_add_nc_u32_e32 v15, v15, v16
	ds_store_b32 v1, v15 offset:4096
.LBB48_8:                               ;   in Loop: Header=BB48_2 Depth=1
	s_or_b32 exec_lo, exec_lo, s10
	v_mov_b32_e32 v15, 0
	s_waitcnt lgkmcnt(0)
	s_barrier
	buffer_gl0_inv
	s_and_saveexec_b32 s10, s0
	s_cbranch_execz .LBB48_10
; %bb.9:                                ;   in Loop: Header=BB48_2 Depth=1
	ds_load_b32 v15, v4 offset:4092
.LBB48_10:                              ;   in Loop: Header=BB48_2 Depth=1
	s_or_b32 exec_lo, exec_lo, s10
	s_waitcnt lgkmcnt(0)
	v_add_nc_u32_e32 v14, v15, v14
	ds_load_b32 v18, v2 offset:4108
	ds_load_2addr_b32 v[16:17], v3 offset1:1
	s_mov_b32 s14, 0
	ds_bpermute_b32 v14, v5, v14
	s_waitcnt lgkmcnt(0)
	v_cndmask_b32_e64 v19, v14, v15, s1
	ds_load_2addr_b32 v[14:15], v3 offset0:2 offset1:3
	v_lshl_add_u32 v20, v18, 16, v19
	ds_load_2addr_b32 v[18:19], v3 offset0:4 offset1:5
	ds_load_b32 v21, v3 offset:24
	v_add_nc_u32_e32 v16, v20, v16
	s_delay_alu instid0(VALU_DEP_1) | instskip(SKIP_1) | instid1(VALU_DEP_1)
	v_add_nc_u32_e32 v17, v17, v16
	s_waitcnt lgkmcnt(2)
	v_add_nc_u32_e32 v22, v14, v17
	s_delay_alu instid0(VALU_DEP_1) | instskip(SKIP_1) | instid1(VALU_DEP_1)
	v_dual_mov_b32 v14, v0 :: v_dual_add_nc_u32 v23, v15, v22
	s_waitcnt lgkmcnt(1)
	v_dual_mov_b32 v15, v1 :: v_dual_add_nc_u32 v18, v18, v23
	s_delay_alu instid0(VALU_DEP_1) | instskip(SKIP_1) | instid1(VALU_DEP_1)
	v_add_nc_u32_e32 v19, v19, v18
	s_waitcnt lgkmcnt(0)
	v_add_nc_u32_e32 v21, v21, v19
	ds_store_2addr_b32 v3, v20, v16 offset1:1
	ds_store_2addr_b32 v3, v17, v22 offset0:2 offset1:3
	ds_store_2addr_b32 v3, v23, v18 offset0:4 offset1:5
	;; [unrolled: 1-line block ×3, first 2 shown]
	s_waitcnt lgkmcnt(0)
	s_barrier
	buffer_gl0_inv
.LBB48_11:                              ;   Parent Loop BB48_2 Depth=1
                                        ; =>  This Inner Loop Header: Depth=2
	v_add_nc_u32_e32 v14, 0x80, v14
	ds_store_b32 v15, v2
	v_add_nc_u32_e32 v15, 0x200, v15
	v_cmp_lt_u32_e64 s10, 0x37f, v14
	s_delay_alu instid0(VALU_DEP_1) | instskip(NEXT) | instid1(SALU_CYCLE_1)
	s_or_b32 s14, s10, s14
	s_and_not1_b32 exec_lo, exec_lo, s14
	s_cbranch_execnz .LBB48_11
; %bb.12:                               ;   in Loop: Header=BB48_2 Depth=1
	s_or_b32 exec_lo, exec_lo, s14
	ds_load_u16 v14, v6
	s_waitcnt lgkmcnt(0)
	v_add_nc_u16 v15, v14, 1
	ds_store_b16 v6, v15
	ds_load_u16 v15, v7
	s_waitcnt lgkmcnt(0)
	v_add_nc_u16 v16, v15, 1
	ds_store_b16 v7, v16
	;; [unrolled: 4-line block ×4, first 2 shown]
	s_waitcnt lgkmcnt(0)
	s_barrier
	buffer_gl0_inv
	ds_load_2addr_b32 v[18:19], v3 offset1:1
	ds_load_2addr_b32 v[20:21], v3 offset0:2 offset1:3
	ds_load_2addr_b32 v[22:23], v3 offset0:4 offset1:5
	;; [unrolled: 1-line block ×3, first 2 shown]
	s_waitcnt lgkmcnt(3)
	v_add_nc_u32_e32 v18, v19, v18
	s_waitcnt lgkmcnt(2)
	s_delay_alu instid0(VALU_DEP_1) | instskip(SKIP_1) | instid1(VALU_DEP_1)
	v_add3_u32 v18, v18, v20, v21
	s_waitcnt lgkmcnt(1)
	v_add3_u32 v18, v18, v22, v23
	s_waitcnt lgkmcnt(0)
	s_delay_alu instid0(VALU_DEP_1) | instskip(NEXT) | instid1(VALU_DEP_1)
	v_add3_u32 v18, v18, v24, v25
	v_mov_b32_dpp v19, v18 row_shr:1 row_mask:0xf bank_mask:0xf
	s_delay_alu instid0(VALU_DEP_1) | instskip(NEXT) | instid1(VALU_DEP_1)
	v_cndmask_b32_e64 v19, v19, 0, s2
	v_add_nc_u32_e32 v18, v19, v18
	s_delay_alu instid0(VALU_DEP_1) | instskip(NEXT) | instid1(VALU_DEP_1)
	v_mov_b32_dpp v19, v18 row_shr:2 row_mask:0xf bank_mask:0xf
	v_cndmask_b32_e64 v19, 0, v19, s3
	s_delay_alu instid0(VALU_DEP_1) | instskip(NEXT) | instid1(VALU_DEP_1)
	v_add_nc_u32_e32 v18, v18, v19
	v_mov_b32_dpp v19, v18 row_shr:4 row_mask:0xf bank_mask:0xf
	s_delay_alu instid0(VALU_DEP_1) | instskip(NEXT) | instid1(VALU_DEP_1)
	v_cndmask_b32_e64 v19, 0, v19, s4
	v_add_nc_u32_e32 v18, v18, v19
	s_delay_alu instid0(VALU_DEP_1) | instskip(NEXT) | instid1(VALU_DEP_1)
	v_mov_b32_dpp v19, v18 row_shr:8 row_mask:0xf bank_mask:0xf
	v_cndmask_b32_e64 v19, 0, v19, s5
	s_delay_alu instid0(VALU_DEP_1) | instskip(SKIP_3) | instid1(VALU_DEP_1)
	v_add_nc_u32_e32 v18, v18, v19
	ds_swizzle_b32 v19, v18 offset:swizzle(BROADCAST,32,15)
	s_waitcnt lgkmcnt(0)
	v_cndmask_b32_e64 v19, v19, 0, s6
	v_add_nc_u32_e32 v18, v18, v19
	s_and_saveexec_b32 s10, s7
	s_cbranch_execz .LBB48_14
; %bb.13:                               ;   in Loop: Header=BB48_2 Depth=1
	ds_store_b32 v4, v18 offset:4096
.LBB48_14:                              ;   in Loop: Header=BB48_2 Depth=1
	s_or_b32 exec_lo, exec_lo, s10
	s_waitcnt lgkmcnt(0)
	s_barrier
	buffer_gl0_inv
	s_and_saveexec_b32 s10, vcc_lo
	s_cbranch_execz .LBB48_16
; %bb.15:                               ;   in Loop: Header=BB48_2 Depth=1
	ds_load_b32 v19, v1 offset:4096
	s_waitcnt lgkmcnt(0)
	v_mov_b32_dpp v20, v19 row_shr:1 row_mask:0xf bank_mask:0xf
	s_delay_alu instid0(VALU_DEP_1) | instskip(NEXT) | instid1(VALU_DEP_1)
	v_cndmask_b32_e64 v20, v20, 0, s8
	v_add_nc_u32_e32 v19, v20, v19
	s_delay_alu instid0(VALU_DEP_1) | instskip(NEXT) | instid1(VALU_DEP_1)
	v_mov_b32_dpp v20, v19 row_shr:2 row_mask:0xf bank_mask:0xf
	v_cndmask_b32_e64 v20, 0, v20, s9
	s_delay_alu instid0(VALU_DEP_1)
	v_add_nc_u32_e32 v19, v19, v20
	ds_store_b32 v1, v19 offset:4096
.LBB48_16:                              ;   in Loop: Header=BB48_2 Depth=1
	s_or_b32 exec_lo, exec_lo, s10
	v_mov_b32_e32 v19, 0
	s_waitcnt lgkmcnt(0)
	s_barrier
	buffer_gl0_inv
	s_and_saveexec_b32 s10, s0
	s_cbranch_execz .LBB48_1
; %bb.17:                               ;   in Loop: Header=BB48_2 Depth=1
	ds_load_b32 v19, v4 offset:4092
	s_branch .LBB48_1
.LBB48_18:
	ds_load_u16 v0, v6
	ds_load_u16 v3, v7
	ds_load_u16 v4, v8
	ds_load_u16 v5, v9
	v_and_b32_e32 v2, 0xffff, v14
	v_and_b32_e32 v6, 0xffff, v15
	;; [unrolled: 1-line block ×4, first 2 shown]
	s_lshl_b64 s[0:1], s[12:13], 2
	s_delay_alu instid0(SALU_CYCLE_1)
	s_add_u32 s0, s18, s0
	s_addc_u32 s1, s19, s1
	s_waitcnt lgkmcnt(3)
	v_add_nc_u32_e32 v2, v0, v2
	s_waitcnt lgkmcnt(2)
	v_add_nc_u32_e32 v3, v3, v6
	;; [unrolled: 2-line block ×4, first 2 shown]
	v_lshlrev_b32_e32 v0, 2, v1
	global_store_b128 v0, v[2:5], s[0:1]
	s_nop 0
	s_sendmsg sendmsg(MSG_DEALLOC_VGPRS)
	s_endpgm
	.section	.rodata,"a",@progbits
	.p2align	6, 0x0
	.amdhsa_kernel _Z11rank_kernelIhLj4ELb0EL18RadixRankAlgorithm0ELj128ELj4ELj10EEvPKT_Pi
		.amdhsa_group_segment_fixed_size 4112
		.amdhsa_private_segment_fixed_size 0
		.amdhsa_kernarg_size 16
		.amdhsa_user_sgpr_count 15
		.amdhsa_user_sgpr_dispatch_ptr 0
		.amdhsa_user_sgpr_queue_ptr 0
		.amdhsa_user_sgpr_kernarg_segment_ptr 1
		.amdhsa_user_sgpr_dispatch_id 0
		.amdhsa_user_sgpr_private_segment_size 0
		.amdhsa_wavefront_size32 1
		.amdhsa_uses_dynamic_stack 0
		.amdhsa_enable_private_segment 0
		.amdhsa_system_sgpr_workgroup_id_x 1
		.amdhsa_system_sgpr_workgroup_id_y 0
		.amdhsa_system_sgpr_workgroup_id_z 0
		.amdhsa_system_sgpr_workgroup_info 0
		.amdhsa_system_vgpr_workitem_id 0
		.amdhsa_next_free_vgpr 26
		.amdhsa_next_free_sgpr 20
		.amdhsa_reserve_vcc 1
		.amdhsa_float_round_mode_32 0
		.amdhsa_float_round_mode_16_64 0
		.amdhsa_float_denorm_mode_32 3
		.amdhsa_float_denorm_mode_16_64 3
		.amdhsa_dx10_clamp 1
		.amdhsa_ieee_mode 1
		.amdhsa_fp16_overflow 0
		.amdhsa_workgroup_processor_mode 1
		.amdhsa_memory_ordered 1
		.amdhsa_forward_progress 0
		.amdhsa_shared_vgpr_count 0
		.amdhsa_exception_fp_ieee_invalid_op 0
		.amdhsa_exception_fp_denorm_src 0
		.amdhsa_exception_fp_ieee_div_zero 0
		.amdhsa_exception_fp_ieee_overflow 0
		.amdhsa_exception_fp_ieee_underflow 0
		.amdhsa_exception_fp_ieee_inexact 0
		.amdhsa_exception_int_div_zero 0
	.end_amdhsa_kernel
	.section	.text._Z11rank_kernelIhLj4ELb0EL18RadixRankAlgorithm0ELj128ELj4ELj10EEvPKT_Pi,"axG",@progbits,_Z11rank_kernelIhLj4ELb0EL18RadixRankAlgorithm0ELj128ELj4ELj10EEvPKT_Pi,comdat
.Lfunc_end48:
	.size	_Z11rank_kernelIhLj4ELb0EL18RadixRankAlgorithm0ELj128ELj4ELj10EEvPKT_Pi, .Lfunc_end48-_Z11rank_kernelIhLj4ELb0EL18RadixRankAlgorithm0ELj128ELj4ELj10EEvPKT_Pi
                                        ; -- End function
	.section	.AMDGPU.csdata,"",@progbits
; Kernel info:
; codeLenInByte = 2116
; NumSgprs: 22
; NumVgprs: 26
; ScratchSize: 0
; MemoryBound: 0
; FloatMode: 240
; IeeeMode: 1
; LDSByteSize: 4112 bytes/workgroup (compile time only)
; SGPRBlocks: 2
; VGPRBlocks: 3
; NumSGPRsForWavesPerEU: 22
; NumVGPRsForWavesPerEU: 26
; Occupancy: 16
; WaveLimiterHint : 0
; COMPUTE_PGM_RSRC2:SCRATCH_EN: 0
; COMPUTE_PGM_RSRC2:USER_SGPR: 15
; COMPUTE_PGM_RSRC2:TRAP_HANDLER: 0
; COMPUTE_PGM_RSRC2:TGID_X_EN: 1
; COMPUTE_PGM_RSRC2:TGID_Y_EN: 0
; COMPUTE_PGM_RSRC2:TGID_Z_EN: 0
; COMPUTE_PGM_RSRC2:TIDIG_COMP_CNT: 0
	.section	.text._Z11rank_kernelIhLj4ELb0EL18RadixRankAlgorithm1ELj128ELj4ELj10EEvPKT_Pi,"axG",@progbits,_Z11rank_kernelIhLj4ELb0EL18RadixRankAlgorithm1ELj128ELj4ELj10EEvPKT_Pi,comdat
	.protected	_Z11rank_kernelIhLj4ELb0EL18RadixRankAlgorithm1ELj128ELj4ELj10EEvPKT_Pi ; -- Begin function _Z11rank_kernelIhLj4ELb0EL18RadixRankAlgorithm1ELj128ELj4ELj10EEvPKT_Pi
	.globl	_Z11rank_kernelIhLj4ELb0EL18RadixRankAlgorithm1ELj128ELj4ELj10EEvPKT_Pi
	.p2align	8
	.type	_Z11rank_kernelIhLj4ELb0EL18RadixRankAlgorithm1ELj128ELj4ELj10EEvPKT_Pi,@function
_Z11rank_kernelIhLj4ELb0EL18RadixRankAlgorithm1ELj128ELj4ELj10EEvPKT_Pi: ; @_Z11rank_kernelIhLj4ELb0EL18RadixRankAlgorithm1ELj128ELj4ELj10EEvPKT_Pi
; %bb.0:
	s_load_b128 s[16:19], s[0:1], 0x0
	s_lshl_b32 s12, s15, 9
	v_dual_mov_b32 v9, 0 :: v_dual_lshlrev_b32 v8, 2, v0
	v_mbcnt_lo_u32_b32 v2, -1, 0
	v_or_b32_e32 v5, 31, v0
	v_lshrrev_b32_e32 v7, 3, v0
	v_lshlrev_b32_e32 v10, 5, v0
	v_cmp_gt_u32_e32 vcc_lo, 4, v0
	v_add_nc_u32_e32 v6, -1, v2
	v_and_b32_e32 v3, 15, v2
	v_and_b32_e32 v4, 16, v2
	;; [unrolled: 1-line block ×4, first 2 shown]
	v_cmp_gt_i32_e64 s7, 0, v6
	v_cmp_eq_u32_e64 s2, 0, v3
	v_cmp_lt_u32_e64 s3, 1, v3
	v_cmp_lt_u32_e64 s4, 3, v3
	;; [unrolled: 1-line block ×3, first 2 shown]
	v_cmp_eq_u32_e64 s6, 0, v4
	s_waitcnt lgkmcnt(0)
	s_add_u32 s0, s16, s12
	s_addc_u32 s1, s17, 0
	v_cmp_eq_u32_e64 s8, 0, v12
	global_load_b32 v1, v8, s[0:1]
	v_cmp_eq_u32_e64 s1, 0, v2
	v_cndmask_b32_e64 v2, v6, v2, s7
	v_cmp_eq_u32_e64 s7, v5, v0
	v_cmp_lt_u32_e64 s9, 1, v12
	v_cmp_lt_u32_e64 s0, 31, v0
	s_mov_b32 s13, 0
	v_lshlrev_b32_e32 v12, 2, v2
	s_mov_b32 s11, s13
	s_waitcnt vmcnt(0)
	v_lshrrev_b32_e32 v19, 13, v1
	v_lshrrev_b32_e32 v21, 21, v1
	v_lshlrev_b32_e32 v2, 3, v1
	v_lshrrev_b32_e32 v3, 6, v1
	v_lshlrev_b32_e32 v4, 7, v1
	v_lshrrev_b32_e32 v5, 2, v1
	v_lshrrev_b32_e32 v6, 1, v1
	v_lshrrev_b32_e32 v7, 10, v1
	v_lshrrev_b32_e32 v13, 9, v1
	v_lshrrev_b32_e32 v14, 18, v1
	v_lshrrev_b32_e32 v15, 17, v1
	v_lshrrev_b32_e32 v16, 26, v1
	v_lshrrev_b32_e32 v17, 5, v1
	v_lshrrev_b32_e32 v18, 14, v1
	v_lshrrev_b32_e32 v20, 22, v1
	v_and_or_b32 v25, 0x380, v19, v0
	v_and_or_b32 v19, 0x380, v21, v0
	;; [unrolled: 1-line block ×3, first 2 shown]
	v_and_b32_e32 v3, 2, v3
	v_and_or_b32 v4, 0x380, v4, v0
	v_and_b32_e32 v5, 2, v5
	v_and_or_b32 v6, 0x380, v6, v0
	;; [unrolled: 2-line block ×5, first 2 shown]
	v_and_b32_e32 v24, 2, v18
	v_and_b32_e32 v21, 2, v20
	v_alignbit_b32 v1, v19, v1, 30
	v_lshl_or_b32 v13, v2, 2, v3
	v_lshl_or_b32 v17, v4, 2, v5
	;; [unrolled: 1-line block ×7, first 2 shown]
	v_and_b32_e32 v16, 0xffe, v1
	v_or_b32_e32 v21, 0xffffff80, v0
	s_branch .LBB49_2
.LBB49_1:                               ;   in Loop: Header=BB49_2 Depth=1
	s_or_b32 exec_lo, exec_lo, s10
	s_waitcnt lgkmcnt(0)
	v_add_nc_u32_e32 v1, v26, v1
	ds_load_b32 v27, v9 offset:4108
	s_add_i32 s11, s11, 1
	s_delay_alu instid0(SALU_CYCLE_1) | instskip(SKIP_3) | instid1(VALU_DEP_1)
	s_cmp_eq_u32 s11, 10
	ds_bpermute_b32 v1, v12, v1
	s_waitcnt lgkmcnt(0)
	v_cndmask_b32_e64 v1, v1, v26, s1
	v_lshl_add_u32 v1, v27, 16, v1
	s_delay_alu instid0(VALU_DEP_1) | instskip(NEXT) | instid1(VALU_DEP_1)
	v_add_nc_u32_e32 v6, v1, v6
	v_add_nc_u32_e32 v7, v6, v7
	s_delay_alu instid0(VALU_DEP_1) | instskip(NEXT) | instid1(VALU_DEP_1)
	v_add_nc_u32_e32 v4, v7, v4
	v_add_nc_u32_e32 v5, v4, v5
	;; [unrolled: 3-line block ×3, first 2 shown]
	s_delay_alu instid0(VALU_DEP_1)
	v_add_nc_u32_e32 v0, v3, v0
	ds_store_2addr_b32 v10, v1, v6 offset1:1
	ds_store_2addr_b32 v10, v7, v4 offset0:2 offset1:3
	ds_store_2addr_b32 v10, v5, v2 offset0:4 offset1:5
	;; [unrolled: 1-line block ×3, first 2 shown]
	s_waitcnt lgkmcnt(0)
	s_barrier
	buffer_gl0_inv
	s_cbranch_scc1 .LBB49_18
.LBB49_2:                               ; =>This Loop Header: Depth=1
                                        ;     Child Loop BB49_3 Depth 2
                                        ;     Child Loop BB49_11 Depth 2
	s_delay_alu instid0(VALU_DEP_1)
	v_dual_mov_b32 v0, v21 :: v_dual_mov_b32 v1, v8
	s_mov_b32 s14, 0
.LBB49_3:                               ;   Parent Loop BB49_2 Depth=1
                                        ; =>  This Inner Loop Header: Depth=2
	s_delay_alu instid0(VALU_DEP_1) | instskip(SKIP_3) | instid1(VALU_DEP_1)
	v_add_nc_u32_e32 v0, 0x80, v0
	ds_store_b32 v1, v9
	v_add_nc_u32_e32 v1, 0x200, v1
	v_cmp_lt_u32_e64 s10, 0x37f, v0
	s_or_b32 s14, s10, s14
	s_delay_alu instid0(SALU_CYCLE_1)
	s_and_not1_b32 exec_lo, exec_lo, s14
	s_cbranch_execnz .LBB49_3
; %bb.4:                                ;   in Loop: Header=BB49_2 Depth=1
	s_or_b32 exec_lo, exec_lo, s14
	ds_load_u16 v0, v17
	s_waitcnt lgkmcnt(0)
	v_add_nc_u16 v0, v0, 1
	ds_store_b16 v17, v0
	ds_load_u16 v0, v18
	s_waitcnt lgkmcnt(0)
	v_add_nc_u16 v0, v0, 1
	ds_store_b16 v18, v0
	;; [unrolled: 4-line block ×4, first 2 shown]
	s_waitcnt lgkmcnt(0)
	s_barrier
	buffer_gl0_inv
	ds_load_2addr_b32 v[6:7], v10 offset1:1
	ds_load_2addr_b32 v[4:5], v10 offset0:2 offset1:3
	ds_load_2addr_b32 v[2:3], v10 offset0:4 offset1:5
	;; [unrolled: 1-line block ×3, first 2 shown]
	s_waitcnt lgkmcnt(3)
	v_add_nc_u32_e32 v22, v7, v6
	s_waitcnt lgkmcnt(2)
	s_delay_alu instid0(VALU_DEP_1) | instskip(SKIP_1) | instid1(VALU_DEP_1)
	v_add3_u32 v22, v22, v4, v5
	s_waitcnt lgkmcnt(1)
	v_add3_u32 v22, v22, v2, v3
	s_waitcnt lgkmcnt(0)
	s_delay_alu instid0(VALU_DEP_1) | instskip(NEXT) | instid1(VALU_DEP_1)
	v_add3_u32 v1, v22, v0, v1
	v_mov_b32_dpp v22, v1 row_shr:1 row_mask:0xf bank_mask:0xf
	s_delay_alu instid0(VALU_DEP_1) | instskip(NEXT) | instid1(VALU_DEP_1)
	v_cndmask_b32_e64 v22, v22, 0, s2
	v_add_nc_u32_e32 v1, v22, v1
	s_delay_alu instid0(VALU_DEP_1) | instskip(NEXT) | instid1(VALU_DEP_1)
	v_mov_b32_dpp v22, v1 row_shr:2 row_mask:0xf bank_mask:0xf
	v_cndmask_b32_e64 v22, 0, v22, s3
	s_delay_alu instid0(VALU_DEP_1) | instskip(NEXT) | instid1(VALU_DEP_1)
	v_add_nc_u32_e32 v1, v1, v22
	v_mov_b32_dpp v22, v1 row_shr:4 row_mask:0xf bank_mask:0xf
	s_delay_alu instid0(VALU_DEP_1) | instskip(NEXT) | instid1(VALU_DEP_1)
	v_cndmask_b32_e64 v22, 0, v22, s4
	v_add_nc_u32_e32 v1, v1, v22
	s_delay_alu instid0(VALU_DEP_1) | instskip(NEXT) | instid1(VALU_DEP_1)
	v_mov_b32_dpp v22, v1 row_shr:8 row_mask:0xf bank_mask:0xf
	v_cndmask_b32_e64 v22, 0, v22, s5
	s_delay_alu instid0(VALU_DEP_1) | instskip(SKIP_3) | instid1(VALU_DEP_1)
	v_add_nc_u32_e32 v1, v1, v22
	ds_swizzle_b32 v22, v1 offset:swizzle(BROADCAST,32,15)
	s_waitcnt lgkmcnt(0)
	v_cndmask_b32_e64 v22, v22, 0, s6
	v_add_nc_u32_e32 v1, v1, v22
	s_and_saveexec_b32 s10, s7
	s_cbranch_execz .LBB49_6
; %bb.5:                                ;   in Loop: Header=BB49_2 Depth=1
	ds_store_b32 v11, v1 offset:4096
.LBB49_6:                               ;   in Loop: Header=BB49_2 Depth=1
	s_or_b32 exec_lo, exec_lo, s10
	s_waitcnt lgkmcnt(0)
	s_barrier
	buffer_gl0_inv
	s_and_saveexec_b32 s10, vcc_lo
	s_cbranch_execz .LBB49_8
; %bb.7:                                ;   in Loop: Header=BB49_2 Depth=1
	ds_load_b32 v22, v8 offset:4096
	s_waitcnt lgkmcnt(0)
	v_mov_b32_dpp v23, v22 row_shr:1 row_mask:0xf bank_mask:0xf
	s_delay_alu instid0(VALU_DEP_1) | instskip(NEXT) | instid1(VALU_DEP_1)
	v_cndmask_b32_e64 v23, v23, 0, s8
	v_add_nc_u32_e32 v22, v23, v22
	s_delay_alu instid0(VALU_DEP_1) | instskip(NEXT) | instid1(VALU_DEP_1)
	v_mov_b32_dpp v23, v22 row_shr:2 row_mask:0xf bank_mask:0xf
	v_cndmask_b32_e64 v23, 0, v23, s9
	s_delay_alu instid0(VALU_DEP_1)
	v_add_nc_u32_e32 v22, v22, v23
	ds_store_b32 v8, v22 offset:4096
.LBB49_8:                               ;   in Loop: Header=BB49_2 Depth=1
	s_or_b32 exec_lo, exec_lo, s10
	v_mov_b32_e32 v22, 0
	s_waitcnt lgkmcnt(0)
	s_barrier
	buffer_gl0_inv
	s_and_saveexec_b32 s10, s0
	s_cbranch_execz .LBB49_10
; %bb.9:                                ;   in Loop: Header=BB49_2 Depth=1
	ds_load_b32 v22, v11 offset:4092
.LBB49_10:                              ;   in Loop: Header=BB49_2 Depth=1
	s_or_b32 exec_lo, exec_lo, s10
	s_waitcnt lgkmcnt(0)
	v_add_nc_u32_e32 v1, v22, v1
	ds_load_b32 v23, v9 offset:4108
	s_mov_b32 s14, 0
	ds_bpermute_b32 v1, v12, v1
	s_waitcnt lgkmcnt(0)
	v_cndmask_b32_e64 v1, v1, v22, s1
	s_delay_alu instid0(VALU_DEP_1) | instskip(NEXT) | instid1(VALU_DEP_1)
	v_lshl_add_u32 v22, v23, 16, v1
	v_dual_mov_b32 v1, v21 :: v_dual_add_nc_u32 v6, v22, v6
	s_delay_alu instid0(VALU_DEP_1) | instskip(NEXT) | instid1(VALU_DEP_1)
	v_add_nc_u32_e32 v7, v6, v7
	v_add_nc_u32_e32 v4, v7, v4
	s_delay_alu instid0(VALU_DEP_1) | instskip(NEXT) | instid1(VALU_DEP_1)
	v_add_nc_u32_e32 v5, v4, v5
	v_add_nc_u32_e32 v2, v5, v2
	s_delay_alu instid0(VALU_DEP_1) | instskip(NEXT) | instid1(VALU_DEP_1)
	v_add_nc_u32_e32 v3, v2, v3
	v_dual_mov_b32 v0, v8 :: v_dual_add_nc_u32 v23, v3, v0
	ds_store_2addr_b32 v10, v22, v6 offset1:1
	ds_store_2addr_b32 v10, v7, v4 offset0:2 offset1:3
	ds_store_2addr_b32 v10, v5, v2 offset0:4 offset1:5
	;; [unrolled: 1-line block ×3, first 2 shown]
	s_waitcnt lgkmcnt(0)
	s_barrier
	buffer_gl0_inv
.LBB49_11:                              ;   Parent Loop BB49_2 Depth=1
                                        ; =>  This Inner Loop Header: Depth=2
	v_add_nc_u32_e32 v1, 0x80, v1
	ds_store_b32 v0, v9
	v_add_nc_u32_e32 v0, 0x200, v0
	v_cmp_lt_u32_e64 s10, 0x37f, v1
	s_delay_alu instid0(VALU_DEP_1) | instskip(NEXT) | instid1(SALU_CYCLE_1)
	s_or_b32 s14, s10, s14
	s_and_not1_b32 exec_lo, exec_lo, s14
	s_cbranch_execnz .LBB49_11
; %bb.12:                               ;   in Loop: Header=BB49_2 Depth=1
	s_or_b32 exec_lo, exec_lo, s14
	ds_load_u16 v22, v13
	s_waitcnt lgkmcnt(0)
	v_add_nc_u16 v0, v22, 1
	ds_store_b16 v13, v0
	ds_load_u16 v23, v14
	s_waitcnt lgkmcnt(0)
	v_add_nc_u16 v0, v23, 1
	ds_store_b16 v14, v0
	;; [unrolled: 4-line block ×4, first 2 shown]
	s_waitcnt lgkmcnt(0)
	s_barrier
	buffer_gl0_inv
	ds_load_2addr_b32 v[6:7], v10 offset1:1
	ds_load_2addr_b32 v[4:5], v10 offset0:2 offset1:3
	ds_load_2addr_b32 v[2:3], v10 offset0:4 offset1:5
	;; [unrolled: 1-line block ×3, first 2 shown]
	s_waitcnt lgkmcnt(3)
	v_add_nc_u32_e32 v26, v7, v6
	s_waitcnt lgkmcnt(2)
	s_delay_alu instid0(VALU_DEP_1) | instskip(SKIP_1) | instid1(VALU_DEP_1)
	v_add3_u32 v26, v26, v4, v5
	s_waitcnt lgkmcnt(1)
	v_add3_u32 v26, v26, v2, v3
	s_waitcnt lgkmcnt(0)
	s_delay_alu instid0(VALU_DEP_1) | instskip(NEXT) | instid1(VALU_DEP_1)
	v_add3_u32 v1, v26, v0, v1
	v_mov_b32_dpp v26, v1 row_shr:1 row_mask:0xf bank_mask:0xf
	s_delay_alu instid0(VALU_DEP_1) | instskip(NEXT) | instid1(VALU_DEP_1)
	v_cndmask_b32_e64 v26, v26, 0, s2
	v_add_nc_u32_e32 v1, v26, v1
	s_delay_alu instid0(VALU_DEP_1) | instskip(NEXT) | instid1(VALU_DEP_1)
	v_mov_b32_dpp v26, v1 row_shr:2 row_mask:0xf bank_mask:0xf
	v_cndmask_b32_e64 v26, 0, v26, s3
	s_delay_alu instid0(VALU_DEP_1) | instskip(NEXT) | instid1(VALU_DEP_1)
	v_add_nc_u32_e32 v1, v1, v26
	v_mov_b32_dpp v26, v1 row_shr:4 row_mask:0xf bank_mask:0xf
	s_delay_alu instid0(VALU_DEP_1) | instskip(NEXT) | instid1(VALU_DEP_1)
	v_cndmask_b32_e64 v26, 0, v26, s4
	v_add_nc_u32_e32 v1, v1, v26
	s_delay_alu instid0(VALU_DEP_1) | instskip(NEXT) | instid1(VALU_DEP_1)
	v_mov_b32_dpp v26, v1 row_shr:8 row_mask:0xf bank_mask:0xf
	v_cndmask_b32_e64 v26, 0, v26, s5
	s_delay_alu instid0(VALU_DEP_1) | instskip(SKIP_3) | instid1(VALU_DEP_1)
	v_add_nc_u32_e32 v1, v1, v26
	ds_swizzle_b32 v26, v1 offset:swizzle(BROADCAST,32,15)
	s_waitcnt lgkmcnt(0)
	v_cndmask_b32_e64 v26, v26, 0, s6
	v_add_nc_u32_e32 v1, v1, v26
	s_and_saveexec_b32 s10, s7
	s_cbranch_execz .LBB49_14
; %bb.13:                               ;   in Loop: Header=BB49_2 Depth=1
	ds_store_b32 v11, v1 offset:4096
.LBB49_14:                              ;   in Loop: Header=BB49_2 Depth=1
	s_or_b32 exec_lo, exec_lo, s10
	s_waitcnt lgkmcnt(0)
	s_barrier
	buffer_gl0_inv
	s_and_saveexec_b32 s10, vcc_lo
	s_cbranch_execz .LBB49_16
; %bb.15:                               ;   in Loop: Header=BB49_2 Depth=1
	ds_load_b32 v26, v8 offset:4096
	s_waitcnt lgkmcnt(0)
	v_mov_b32_dpp v27, v26 row_shr:1 row_mask:0xf bank_mask:0xf
	s_delay_alu instid0(VALU_DEP_1) | instskip(NEXT) | instid1(VALU_DEP_1)
	v_cndmask_b32_e64 v27, v27, 0, s8
	v_add_nc_u32_e32 v26, v27, v26
	s_delay_alu instid0(VALU_DEP_1) | instskip(NEXT) | instid1(VALU_DEP_1)
	v_mov_b32_dpp v27, v26 row_shr:2 row_mask:0xf bank_mask:0xf
	v_cndmask_b32_e64 v27, 0, v27, s9
	s_delay_alu instid0(VALU_DEP_1)
	v_add_nc_u32_e32 v26, v26, v27
	ds_store_b32 v8, v26 offset:4096
.LBB49_16:                              ;   in Loop: Header=BB49_2 Depth=1
	s_or_b32 exec_lo, exec_lo, s10
	v_mov_b32_e32 v26, 0
	s_waitcnt lgkmcnt(0)
	s_barrier
	buffer_gl0_inv
	s_and_saveexec_b32 s10, s0
	s_cbranch_execz .LBB49_1
; %bb.17:                               ;   in Loop: Header=BB49_2 Depth=1
	ds_load_b32 v26, v11 offset:4092
	s_branch .LBB49_1
.LBB49_18:
	ds_load_u16 v0, v13
	ds_load_u16 v1, v14
	;; [unrolled: 1-line block ×4, first 2 shown]
	v_and_b32_e32 v4, 0xffff, v22
	v_and_b32_e32 v5, 0xffff, v23
	;; [unrolled: 1-line block ×4, first 2 shown]
	s_lshl_b64 s[0:1], s[12:13], 2
	s_delay_alu instid0(SALU_CYCLE_1)
	s_add_u32 s0, s18, s0
	s_addc_u32 s1, s19, s1
	s_waitcnt lgkmcnt(3)
	v_add_nc_u32_e32 v0, v0, v4
	s_waitcnt lgkmcnt(2)
	v_add_nc_u32_e32 v1, v1, v5
	;; [unrolled: 2-line block ×4, first 2 shown]
	v_lshlrev_b32_e32 v4, 2, v8
	global_store_b128 v4, v[0:3], s[0:1]
	s_nop 0
	s_sendmsg sendmsg(MSG_DEALLOC_VGPRS)
	s_endpgm
	.section	.rodata,"a",@progbits
	.p2align	6, 0x0
	.amdhsa_kernel _Z11rank_kernelIhLj4ELb0EL18RadixRankAlgorithm1ELj128ELj4ELj10EEvPKT_Pi
		.amdhsa_group_segment_fixed_size 4112
		.amdhsa_private_segment_fixed_size 0
		.amdhsa_kernarg_size 16
		.amdhsa_user_sgpr_count 15
		.amdhsa_user_sgpr_dispatch_ptr 0
		.amdhsa_user_sgpr_queue_ptr 0
		.amdhsa_user_sgpr_kernarg_segment_ptr 1
		.amdhsa_user_sgpr_dispatch_id 0
		.amdhsa_user_sgpr_private_segment_size 0
		.amdhsa_wavefront_size32 1
		.amdhsa_uses_dynamic_stack 0
		.amdhsa_enable_private_segment 0
		.amdhsa_system_sgpr_workgroup_id_x 1
		.amdhsa_system_sgpr_workgroup_id_y 0
		.amdhsa_system_sgpr_workgroup_id_z 0
		.amdhsa_system_sgpr_workgroup_info 0
		.amdhsa_system_vgpr_workitem_id 0
		.amdhsa_next_free_vgpr 28
		.amdhsa_next_free_sgpr 20
		.amdhsa_reserve_vcc 1
		.amdhsa_float_round_mode_32 0
		.amdhsa_float_round_mode_16_64 0
		.amdhsa_float_denorm_mode_32 3
		.amdhsa_float_denorm_mode_16_64 3
		.amdhsa_dx10_clamp 1
		.amdhsa_ieee_mode 1
		.amdhsa_fp16_overflow 0
		.amdhsa_workgroup_processor_mode 1
		.amdhsa_memory_ordered 1
		.amdhsa_forward_progress 0
		.amdhsa_shared_vgpr_count 0
		.amdhsa_exception_fp_ieee_invalid_op 0
		.amdhsa_exception_fp_denorm_src 0
		.amdhsa_exception_fp_ieee_div_zero 0
		.amdhsa_exception_fp_ieee_overflow 0
		.amdhsa_exception_fp_ieee_underflow 0
		.amdhsa_exception_fp_ieee_inexact 0
		.amdhsa_exception_int_div_zero 0
	.end_amdhsa_kernel
	.section	.text._Z11rank_kernelIhLj4ELb0EL18RadixRankAlgorithm1ELj128ELj4ELj10EEvPKT_Pi,"axG",@progbits,_Z11rank_kernelIhLj4ELb0EL18RadixRankAlgorithm1ELj128ELj4ELj10EEvPKT_Pi,comdat
.Lfunc_end49:
	.size	_Z11rank_kernelIhLj4ELb0EL18RadixRankAlgorithm1ELj128ELj4ELj10EEvPKT_Pi, .Lfunc_end49-_Z11rank_kernelIhLj4ELb0EL18RadixRankAlgorithm1ELj128ELj4ELj10EEvPKT_Pi
                                        ; -- End function
	.section	.AMDGPU.csdata,"",@progbits
; Kernel info:
; codeLenInByte = 2036
; NumSgprs: 22
; NumVgprs: 28
; ScratchSize: 0
; MemoryBound: 0
; FloatMode: 240
; IeeeMode: 1
; LDSByteSize: 4112 bytes/workgroup (compile time only)
; SGPRBlocks: 2
; VGPRBlocks: 3
; NumSGPRsForWavesPerEU: 22
; NumVGPRsForWavesPerEU: 28
; Occupancy: 16
; WaveLimiterHint : 0
; COMPUTE_PGM_RSRC2:SCRATCH_EN: 0
; COMPUTE_PGM_RSRC2:USER_SGPR: 15
; COMPUTE_PGM_RSRC2:TRAP_HANDLER: 0
; COMPUTE_PGM_RSRC2:TGID_X_EN: 1
; COMPUTE_PGM_RSRC2:TGID_Y_EN: 0
; COMPUTE_PGM_RSRC2:TGID_Z_EN: 0
; COMPUTE_PGM_RSRC2:TIDIG_COMP_CNT: 0
	.section	.text._Z11rank_kernelIhLj4ELb0EL18RadixRankAlgorithm2ELj128ELj4ELj10EEvPKT_Pi,"axG",@progbits,_Z11rank_kernelIhLj4ELb0EL18RadixRankAlgorithm2ELj128ELj4ELj10EEvPKT_Pi,comdat
	.protected	_Z11rank_kernelIhLj4ELb0EL18RadixRankAlgorithm2ELj128ELj4ELj10EEvPKT_Pi ; -- Begin function _Z11rank_kernelIhLj4ELb0EL18RadixRankAlgorithm2ELj128ELj4ELj10EEvPKT_Pi
	.globl	_Z11rank_kernelIhLj4ELb0EL18RadixRankAlgorithm2ELj128ELj4ELj10EEvPKT_Pi
	.p2align	8
	.type	_Z11rank_kernelIhLj4ELb0EL18RadixRankAlgorithm2ELj128ELj4ELj10EEvPKT_Pi,@function
_Z11rank_kernelIhLj4ELb0EL18RadixRankAlgorithm2ELj128ELj4ELj10EEvPKT_Pi: ; @_Z11rank_kernelIhLj4ELb0EL18RadixRankAlgorithm2ELj128ELj4ELj10EEvPKT_Pi
; %bb.0:
	s_clause 0x1
	s_load_b128 s[28:31], s[0:1], 0x0
	s_load_b32 s7, s[0:1], 0x1c
	v_dual_mov_b32 v2, 0 :: v_dual_and_b32 v3, 0x3ff, v0
	s_lshl_b32 s34, s15, 9
	v_mbcnt_lo_u32_b32 v4, -1, 0
	v_bfe_u32 v5, v0, 10, 10
	s_delay_alu instid0(VALU_DEP_3)
	v_lshlrev_b32_e32 v1, 2, v3
	v_bfe_u32 v0, v0, 20, 10
	v_lshrrev_b32_e32 v11, 3, v3
	v_and_b32_e32 v6, 15, v4
	v_and_b32_e32 v8, 16, v4
	v_add_nc_u32_e32 v9, -1, v4
	v_cmp_eq_u32_e32 vcc_lo, 0, v4
	v_and_b32_e32 v10, 3, v4
	v_cmp_lt_u32_e64 s2, 3, v6
	v_cmp_lt_u32_e64 s3, 7, v6
	v_cmp_eq_u32_e64 s4, 0, v8
	v_or_b32_e32 v8, 31, v3
	v_cmp_lt_u32_e64 s8, 1, v10
	s_waitcnt lgkmcnt(0)
	s_add_u32 s0, s28, s34
	s_addc_u32 s1, s29, 0
	s_lshr_b32 s6, s7, 16
	global_load_b32 v7, v1, s[0:1]
	v_mad_u32_u24 v0, v0, s6, v5
	s_and_b32 s7, s7, 0xffff
	v_cmp_eq_u32_e64 s0, 0, v6
	v_cmp_lt_u32_e64 s1, 1, v6
	v_cmp_eq_u32_e64 s9, v8, v3
	v_mad_u64_u32 v[5:6], null, v0, s7, v[3:4]
	v_cmp_gt_i32_e64 s7, 0, v9
	v_and_b32_e32 v0, 12, v11
	v_cmp_gt_u32_e64 s5, 4, v3
	v_cmp_lt_u32_e64 s6, 31, v3
	s_mov_b32 s35, 0
	v_cndmask_b32_e64 v4, v9, v4, s7
	v_lshrrev_b32_e32 v29, 5, v5
	v_cmp_eq_u32_e64 s7, 0, v10
	s_mov_b32 s41, 10
	s_delay_alu instid0(VALU_DEP_3)
	v_lshlrev_b32_e32 v3, 2, v4
	v_add_nc_u32_e32 v4, -4, v0
	s_waitcnt vmcnt(0)
	v_and_b32_e32 v12, 1, v7
	v_lshlrev_b32_e32 v14, 30, v7
	v_bfe_u32 v13, v7, 16, 4
	v_lshrrev_b32_e32 v5, 8, v7
	v_lshlrev_b32_e32 v16, 29, v7
	v_add_co_u32 v12, s11, v12, -1
	v_bfe_u32 v15, v7, 16, 1
	v_mul_u32_u24_e32 v42, 5, v13
	v_cndmask_b32_e64 v13, 0, 1, s11
	v_cmp_gt_i32_e64 s11, 0, v14
	v_lshrrev_b32_e32 v8, 24, v7
	v_and_b32_e32 v9, 15, v7
	v_lshrrev_b32_e32 v27, 20, v7
	v_bfe_u32 v30, v7, 20, 1
	v_lshlrev_b32_e32 v40, 30, v5
	v_lshlrev_b32_e32 v17, 28, v7
	;; [unrolled: 1-line block ×4, first 2 shown]
	v_add_co_u32 v5, s33, v15, -1
	v_cndmask_b32_e64 v15, 0, 1, s11
	v_cmp_gt_i32_e64 s11, 0, v16
	v_lshrrev_b32_e32 v6, 16, v7
	v_lshrrev_b32_e32 v11, 28, v7
	v_bfe_u32 v10, v7, 8, 4
	v_bfe_u32 v19, v7, 24, 4
	v_lshrrev_b32_e32 v21, 4, v7
	v_bfe_u32 v22, v7, 4, 4
	v_lshrrev_b32_e32 v24, 12, v7
	v_bfe_u32 v25, v7, 12, 4
	v_bfe_u32 v31, v7, 28, 1
	v_mul_u32_u24_e32 v38, 5, v9
	v_lshlrev_b32_e32 v49, 28, v8
	v_add_co_u32 v9, s39, v30, -1
	v_lshlrev_b32_e32 v30, 30, v27
	v_cmp_gt_i32_e64 s28, 0, v40
	v_bfe_u32 v18, v7, 8, 1
	v_not_b32_e32 v36, v16
	v_cndmask_b32_e64 v16, 0, 1, s11
	v_cmp_gt_i32_e64 s11, 0, v17
	v_bfe_u32 v20, v7, 24, 1
	v_bfe_u32 v23, v7, 4, 1
	;; [unrolled: 1-line block ×4, first 2 shown]
	v_and_b32_e32 v32, 0xf0000000, v7
	v_not_b32_e32 v33, v7
	v_mul_u32_u24_e32 v34, 5, v11
	v_not_b32_e32 v35, v14
	v_not_b32_e32 v37, v17
	v_mul_u32_u24_e32 v39, 5, v10
	v_lshlrev_b32_e32 v43, 30, v6
	v_lshlrev_b32_e32 v44, 29, v6
	;; [unrolled: 1-line block ×3, first 2 shown]
	v_mul_u32_u24_e32 v46, 5, v19
	v_lshlrev_b32_e32 v47, 30, v8
	v_lshlrev_b32_e32 v48, 29, v8
	v_mul_u32_u24_e32 v50, 5, v22
	v_lshlrev_b32_e32 v51, 30, v21
	v_lshlrev_b32_e32 v53, 29, v21
	;; [unrolled: 1-line block ×3, first 2 shown]
	v_mul_u32_u24_e32 v55, 5, v25
	v_lshlrev_b32_e32 v56, 30, v24
	v_lshlrev_b32_e32 v57, 29, v24
	;; [unrolled: 1-line block ×5, first 2 shown]
	v_add_co_u32 v10, s40, v31, -1
	v_lshlrev_b32_e32 v31, 30, v11
	v_lshlrev_b32_e32 v62, 29, v11
	v_add_lshl_u32 v25, v29, v42, 2
	v_cmp_gt_i32_e64 s16, 0, v49
	v_not_b32_e32 v42, v49
	v_cmp_gt_i32_e64 s23, 0, v30
	v_not_b32_e32 v49, v30
	v_cndmask_b32_e64 v30, 0, 1, s28
	v_cmp_gt_i32_e64 s28, 0, v41
	v_cndmask_b32_e64 v17, 0, 1, s11
	v_add_co_u32 v18, s11, v18, -1
	v_add_co_u32 v6, s36, v20, -1
	;; [unrolled: 1-line block ×4, first 2 shown]
	v_mul_u32_u24_e32 v59, 5, v28
	v_cmp_gt_i32_e64 s10, 0, v32
	v_ashrrev_i32_e32 v11, 31, v33
	v_cndmask_b32_e64 v19, 0, 1, s11
	v_add_lshl_u32 v14, v29, v34, 2
	v_ashrrev_i32_e32 v20, 31, v35
	v_ashrrev_i32_e32 v21, 31, v36
	;; [unrolled: 1-line block ×3, first 2 shown]
	v_add_lshl_u32 v23, v29, v38, 2
	v_add_lshl_u32 v24, v29, v39, 2
	v_not_b32_e32 v32, v40
	v_not_b32_e32 v33, v41
	;; [unrolled: 1-line block ×3, first 2 shown]
	v_cmp_gt_i32_e64 s11, 0, v43
	v_not_b32_e32 v35, v43
	v_cmp_gt_i32_e64 s12, 0, v44
	v_not_b32_e32 v36, v44
	;; [unrolled: 2-line block ×3, first 2 shown]
	v_add_lshl_u32 v26, v29, v46, 2
	v_cmp_gt_i32_e64 s14, 0, v47
	v_not_b32_e32 v38, v47
	v_cmp_gt_i32_e64 s15, 0, v48
	v_not_b32_e32 v39, v48
	v_add_lshl_u32 v27, v29, v50, 2
	v_cmp_gt_i32_e64 s17, 0, v51
	v_not_b32_e32 v43, v51
	v_cmp_gt_i32_e64 s18, 0, v53
	v_not_b32_e32 v44, v53
	;; [unrolled: 2-line block ×3, first 2 shown]
	v_not_b32_e32 v46, v56
	v_not_b32_e32 v47, v57
	;; [unrolled: 1-line block ×5, first 2 shown]
	v_cmp_gt_i32_e64 s26, 0, v31
	v_not_b32_e32 v53, v31
	v_not_b32_e32 v54, v62
	v_cndmask_b32_e64 v31, 0, 1, s28
	v_cmp_gt_i32_e64 s28, 0, v52
	v_add_lshl_u32 v28, v29, v55, 2
	v_cmp_gt_i32_e64 s20, 0, v56
	v_cmp_gt_i32_e64 s21, 0, v57
	;; [unrolled: 1-line block ×3, first 2 shown]
	v_add_lshl_u32 v29, v29, v59, 2
	v_cmp_gt_i32_e64 s24, 0, v60
	v_cmp_gt_i32_e64 s25, 0, v61
	v_cmp_gt_i32_e64 s27, 0, v62
	v_ashrrev_i32_e32 v32, 31, v32
	v_ashrrev_i32_e32 v33, 31, v33
	;; [unrolled: 1-line block ×20, first 2 shown]
	v_cndmask_b32_e64 v52, 0, 1, s28
	s_branch .LBB50_2
.LBB50_1:                               ;   in Loop: Header=BB50_2 Depth=1
	s_or_b32 exec_lo, exec_lo, s28
	s_waitcnt lgkmcnt(0)
	v_add_nc_u32_e32 v60, v61, v60
	s_add_i32 s41, s41, -1
	s_delay_alu instid0(SALU_CYCLE_1)
	s_cmp_eq_u32 s41, 0
	ds_bpermute_b32 v60, v3, v60
	s_waitcnt lgkmcnt(0)
	v_cndmask_b32_e32 v60, v60, v61, vcc_lo
	ds_store_b32 v1, v60 offset:16
	s_waitcnt lgkmcnt(0)
	s_barrier
	buffer_gl0_inv
	s_cbranch_scc1 .LBB50_30
.LBB50_2:                               ; =>This Inner Loop Header: Depth=1
	v_cmp_ne_u32_e64 s28, 0, v13
	v_cmp_ne_u32_e64 s29, 0, v15
	ds_store_b32 v1, v2 offset:16
	s_waitcnt lgkmcnt(0)
	s_barrier
	v_xor_b32_e32 v53, s28, v12
	v_cmp_ne_u32_e64 s28, 0, v16
	v_xor_b32_e32 v54, s29, v20
	v_cmp_ne_u32_e64 s29, 0, v17
	buffer_gl0_inv
	v_and_b32_e32 v53, exec_lo, v53
	v_xor_b32_e32 v55, s28, v21
	; wave barrier
	s_delay_alu instid0(VALU_DEP_2) | instskip(SKIP_1) | instid1(VALU_DEP_2)
	v_and_b32_e32 v53, v53, v54
	v_xor_b32_e32 v54, s29, v22
	v_and_b32_e32 v53, v53, v55
	s_delay_alu instid0(VALU_DEP_1) | instskip(NEXT) | instid1(VALU_DEP_1)
	v_and_b32_e32 v53, v53, v54
	v_mbcnt_lo_u32_b32 v54, v53, 0
	v_cmp_ne_u32_e64 s29, 0, v53
	s_delay_alu instid0(VALU_DEP_2) | instskip(NEXT) | instid1(VALU_DEP_1)
	v_cmp_eq_u32_e64 s28, 0, v54
	s_and_b32 s29, s29, s28
	s_delay_alu instid0(SALU_CYCLE_1)
	s_and_saveexec_b32 s28, s29
	s_cbranch_execz .LBB50_4
; %bb.3:                                ;   in Loop: Header=BB50_2 Depth=1
	v_bcnt_u32_b32 v53, v53, 0
	ds_store_b32 v23, v53 offset:16
.LBB50_4:                               ;   in Loop: Header=BB50_2 Depth=1
	s_or_b32 exec_lo, exec_lo, s28
	v_cmp_ne_u32_e64 s28, 0, v19
	v_cmp_ne_u32_e64 s29, 0, v30
	; wave barrier
	s_delay_alu instid0(VALU_DEP_2) | instskip(SKIP_1) | instid1(VALU_DEP_3)
	v_xor_b32_e32 v53, s28, v18
	v_cmp_ne_u32_e64 s28, 0, v31
	v_xor_b32_e32 v54, s29, v32
	v_cmp_ne_u32_e64 s29, 0, v52
	s_delay_alu instid0(VALU_DEP_4) | instskip(NEXT) | instid1(VALU_DEP_4)
	v_and_b32_e32 v53, exec_lo, v53
	v_xor_b32_e32 v55, s28, v33
	s_delay_alu instid0(VALU_DEP_2) | instskip(NEXT) | instid1(VALU_DEP_4)
	v_and_b32_e32 v53, v53, v54
	v_xor_b32_e32 v54, s29, v34
	s_delay_alu instid0(VALU_DEP_2) | instskip(SKIP_2) | instid1(VALU_DEP_1)
	v_and_b32_e32 v55, v53, v55
	ds_load_b32 v53, v24 offset:16
	; wave barrier
	v_and_b32_e32 v54, v55, v54
	v_mbcnt_lo_u32_b32 v55, v54, 0
	v_cmp_ne_u32_e64 s29, 0, v54
	s_delay_alu instid0(VALU_DEP_2) | instskip(NEXT) | instid1(VALU_DEP_1)
	v_cmp_eq_u32_e64 s28, 0, v55
	s_and_b32 s29, s29, s28
	s_delay_alu instid0(SALU_CYCLE_1)
	s_and_saveexec_b32 s28, s29
	s_cbranch_execz .LBB50_6
; %bb.5:                                ;   in Loop: Header=BB50_2 Depth=1
	s_waitcnt lgkmcnt(0)
	v_bcnt_u32_b32 v53, v54, v53
	ds_store_b32 v24, v53 offset:16
.LBB50_6:                               ;   in Loop: Header=BB50_2 Depth=1
	s_or_b32 exec_lo, exec_lo, s28
	s_waitcnt lgkmcnt(0)
	v_cndmask_b32_e64 v53, 0, 1, s33
	v_cndmask_b32_e64 v54, 0, 1, s11
	;; [unrolled: 1-line block ×3, first 2 shown]
	; wave barrier
	s_delay_alu instid0(VALU_DEP_3) | instskip(SKIP_1) | instid1(VALU_DEP_4)
	v_cmp_ne_u32_e64 s28, 0, v53
	v_cndmask_b32_e64 v53, 0, 1, s12
	v_cmp_ne_u32_e64 s29, 0, v54
	s_delay_alu instid0(VALU_DEP_3) | instskip(NEXT) | instid1(VALU_DEP_3)
	v_xor_b32_e32 v54, s28, v5
	v_cmp_ne_u32_e64 s28, 0, v53
	s_delay_alu instid0(VALU_DEP_3) | instskip(SKIP_1) | instid1(VALU_DEP_4)
	v_xor_b32_e32 v53, s29, v35
	v_cmp_ne_u32_e64 s29, 0, v55
	v_and_b32_e32 v54, exec_lo, v54
	s_delay_alu instid0(VALU_DEP_4) | instskip(NEXT) | instid1(VALU_DEP_2)
	v_xor_b32_e32 v55, s28, v36
	v_and_b32_e32 v53, v54, v53
	s_delay_alu instid0(VALU_DEP_4) | instskip(NEXT) | instid1(VALU_DEP_2)
	v_xor_b32_e32 v54, s29, v37
	v_and_b32_e32 v55, v53, v55
	ds_load_b32 v53, v25 offset:16
	; wave barrier
	v_and_b32_e32 v54, v55, v54
	s_delay_alu instid0(VALU_DEP_1) | instskip(SKIP_1) | instid1(VALU_DEP_2)
	v_mbcnt_lo_u32_b32 v55, v54, 0
	v_cmp_ne_u32_e64 s29, 0, v54
	v_cmp_eq_u32_e64 s28, 0, v55
	s_delay_alu instid0(VALU_DEP_1) | instskip(NEXT) | instid1(SALU_CYCLE_1)
	s_and_b32 s29, s29, s28
	s_and_saveexec_b32 s28, s29
	s_cbranch_execz .LBB50_8
; %bb.7:                                ;   in Loop: Header=BB50_2 Depth=1
	s_waitcnt lgkmcnt(0)
	v_bcnt_u32_b32 v53, v54, v53
	ds_store_b32 v25, v53 offset:16
.LBB50_8:                               ;   in Loop: Header=BB50_2 Depth=1
	s_or_b32 exec_lo, exec_lo, s28
	s_waitcnt lgkmcnt(0)
	v_cndmask_b32_e64 v53, 0, 1, s36
	v_cndmask_b32_e64 v54, 0, 1, s14
	;; [unrolled: 1-line block ×3, first 2 shown]
	; wave barrier
	s_delay_alu instid0(VALU_DEP_3) | instskip(SKIP_1) | instid1(VALU_DEP_4)
	v_cmp_ne_u32_e64 s28, 0, v53
	v_cndmask_b32_e64 v53, 0, 1, s15
	v_cmp_ne_u32_e64 s29, 0, v54
	s_delay_alu instid0(VALU_DEP_3) | instskip(NEXT) | instid1(VALU_DEP_3)
	v_xor_b32_e32 v54, s28, v6
	v_cmp_ne_u32_e64 s28, 0, v53
	s_delay_alu instid0(VALU_DEP_3) | instskip(SKIP_1) | instid1(VALU_DEP_4)
	v_xor_b32_e32 v53, s29, v38
	v_cmp_ne_u32_e64 s29, 0, v55
	v_and_b32_e32 v54, exec_lo, v54
	s_delay_alu instid0(VALU_DEP_4) | instskip(NEXT) | instid1(VALU_DEP_2)
	v_xor_b32_e32 v55, s28, v39
	v_and_b32_e32 v53, v54, v53
	s_delay_alu instid0(VALU_DEP_4) | instskip(NEXT) | instid1(VALU_DEP_2)
	v_xor_b32_e32 v54, s29, v40
	v_and_b32_e32 v55, v53, v55
	ds_load_b32 v53, v26 offset:16
	; wave barrier
	v_and_b32_e32 v54, v55, v54
	s_delay_alu instid0(VALU_DEP_1) | instskip(SKIP_1) | instid1(VALU_DEP_2)
	v_mbcnt_lo_u32_b32 v55, v54, 0
	v_cmp_ne_u32_e64 s29, 0, v54
	v_cmp_eq_u32_e64 s28, 0, v55
	s_delay_alu instid0(VALU_DEP_1) | instskip(NEXT) | instid1(SALU_CYCLE_1)
	s_and_b32 s29, s29, s28
	s_and_saveexec_b32 s28, s29
	s_cbranch_execz .LBB50_10
; %bb.9:                                ;   in Loop: Header=BB50_2 Depth=1
	s_waitcnt lgkmcnt(0)
	v_bcnt_u32_b32 v53, v54, v53
	ds_store_b32 v26, v53 offset:16
.LBB50_10:                              ;   in Loop: Header=BB50_2 Depth=1
	s_or_b32 exec_lo, exec_lo, s28
	; wave barrier
	s_waitcnt lgkmcnt(0)
	s_barrier
	buffer_gl0_inv
	ds_load_b32 v53, v1 offset:16
	s_waitcnt lgkmcnt(0)
	v_mov_b32_dpp v54, v53 row_shr:1 row_mask:0xf bank_mask:0xf
	s_delay_alu instid0(VALU_DEP_1) | instskip(NEXT) | instid1(VALU_DEP_1)
	v_cndmask_b32_e64 v54, v54, 0, s0
	v_add_nc_u32_e32 v53, v54, v53
	s_delay_alu instid0(VALU_DEP_1) | instskip(NEXT) | instid1(VALU_DEP_1)
	v_mov_b32_dpp v54, v53 row_shr:2 row_mask:0xf bank_mask:0xf
	v_cndmask_b32_e64 v54, 0, v54, s1
	s_delay_alu instid0(VALU_DEP_1) | instskip(NEXT) | instid1(VALU_DEP_1)
	v_add_nc_u32_e32 v53, v53, v54
	v_mov_b32_dpp v54, v53 row_shr:4 row_mask:0xf bank_mask:0xf
	s_delay_alu instid0(VALU_DEP_1) | instskip(NEXT) | instid1(VALU_DEP_1)
	v_cndmask_b32_e64 v54, 0, v54, s2
	v_add_nc_u32_e32 v53, v53, v54
	s_delay_alu instid0(VALU_DEP_1) | instskip(NEXT) | instid1(VALU_DEP_1)
	v_mov_b32_dpp v54, v53 row_shr:8 row_mask:0xf bank_mask:0xf
	v_cndmask_b32_e64 v54, 0, v54, s3
	s_delay_alu instid0(VALU_DEP_1) | instskip(SKIP_3) | instid1(VALU_DEP_1)
	v_add_nc_u32_e32 v53, v53, v54
	ds_swizzle_b32 v54, v53 offset:swizzle(BROADCAST,32,15)
	s_waitcnt lgkmcnt(0)
	v_cndmask_b32_e64 v54, v54, 0, s4
	v_add_nc_u32_e32 v53, v53, v54
	s_and_saveexec_b32 s28, s9
	s_delay_alu instid0(SALU_CYCLE_1)
	s_xor_b32 s28, exec_lo, s28
	s_cbranch_execz .LBB50_12
; %bb.11:                               ;   in Loop: Header=BB50_2 Depth=1
	ds_store_b32 v0, v53
.LBB50_12:                              ;   in Loop: Header=BB50_2 Depth=1
	s_or_b32 exec_lo, exec_lo, s28
	s_waitcnt lgkmcnt(0)
	s_barrier
	buffer_gl0_inv
	s_and_saveexec_b32 s28, s5
	s_cbranch_execz .LBB50_14
; %bb.13:                               ;   in Loop: Header=BB50_2 Depth=1
	ds_load_b32 v54, v1
	s_waitcnt lgkmcnt(0)
	v_mov_b32_dpp v55, v54 row_shr:1 row_mask:0xf bank_mask:0xf
	s_delay_alu instid0(VALU_DEP_1) | instskip(NEXT) | instid1(VALU_DEP_1)
	v_cndmask_b32_e64 v55, v55, 0, s7
	v_add_nc_u32_e32 v54, v55, v54
	s_delay_alu instid0(VALU_DEP_1) | instskip(NEXT) | instid1(VALU_DEP_1)
	v_mov_b32_dpp v55, v54 row_shr:2 row_mask:0xf bank_mask:0xf
	v_cndmask_b32_e64 v55, 0, v55, s8
	s_delay_alu instid0(VALU_DEP_1)
	v_add_nc_u32_e32 v54, v54, v55
	ds_store_b32 v1, v54
.LBB50_14:                              ;   in Loop: Header=BB50_2 Depth=1
	s_or_b32 exec_lo, exec_lo, s28
	v_mov_b32_e32 v54, 0
	s_waitcnt lgkmcnt(0)
	s_barrier
	buffer_gl0_inv
	s_and_saveexec_b32 s28, s6
	s_cbranch_execz .LBB50_16
; %bb.15:                               ;   in Loop: Header=BB50_2 Depth=1
	ds_load_b32 v54, v4
.LBB50_16:                              ;   in Loop: Header=BB50_2 Depth=1
	s_or_b32 exec_lo, exec_lo, s28
	s_waitcnt lgkmcnt(0)
	v_add_nc_u32_e32 v53, v54, v53
	v_cndmask_b32_e64 v55, 0, 1, s37
	v_cndmask_b32_e64 v56, 0, 1, s17
	v_cndmask_b32_e64 v57, 0, 1, s19
	ds_bpermute_b32 v53, v3, v53
	v_cmp_ne_u32_e64 s28, 0, v55
	v_cndmask_b32_e64 v55, 0, 1, s18
	v_cmp_ne_u32_e64 s29, 0, v56
	s_delay_alu instid0(VALU_DEP_3) | instskip(NEXT) | instid1(VALU_DEP_3)
	v_xor_b32_e32 v56, s28, v7
	v_cmp_ne_u32_e64 s28, 0, v55
	s_delay_alu instid0(VALU_DEP_3) | instskip(SKIP_1) | instid1(VALU_DEP_4)
	v_xor_b32_e32 v55, s29, v41
	v_cmp_ne_u32_e64 s29, 0, v57
	v_and_b32_e32 v56, exec_lo, v56
	s_delay_alu instid0(VALU_DEP_4) | instskip(SKIP_2) | instid1(VALU_DEP_3)
	v_xor_b32_e32 v57, s28, v42
	s_waitcnt lgkmcnt(0)
	v_cndmask_b32_e32 v53, v53, v54, vcc_lo
	v_and_b32_e32 v55, v56, v55
	v_xor_b32_e32 v56, s29, v43
	ds_store_b32 v1, v53 offset:16
	v_and_b32_e32 v55, v55, v57
	s_waitcnt lgkmcnt(0)
	s_barrier
	buffer_gl0_inv
	ds_store_b32 v1, v2 offset:16
	v_and_b32_e32 v54, v55, v56
	s_waitcnt lgkmcnt(0)
	s_barrier
	buffer_gl0_inv
	v_mbcnt_lo_u32_b32 v53, v54, 0
	v_cmp_ne_u32_e64 s29, 0, v54
	; wave barrier
	s_delay_alu instid0(VALU_DEP_2) | instskip(NEXT) | instid1(VALU_DEP_1)
	v_cmp_eq_u32_e64 s28, 0, v53
	s_and_b32 s29, s29, s28
	s_delay_alu instid0(SALU_CYCLE_1)
	s_and_saveexec_b32 s28, s29
	s_cbranch_execz .LBB50_18
; %bb.17:                               ;   in Loop: Header=BB50_2 Depth=1
	v_bcnt_u32_b32 v54, v54, 0
	ds_store_b32 v27, v54 offset:16
.LBB50_18:                              ;   in Loop: Header=BB50_2 Depth=1
	s_or_b32 exec_lo, exec_lo, s28
	v_cndmask_b32_e64 v54, 0, 1, s38
	v_cndmask_b32_e64 v55, 0, 1, s20
	v_cndmask_b32_e64 v56, 0, 1, s22
	; wave barrier
	s_delay_alu instid0(VALU_DEP_3) | instskip(SKIP_1) | instid1(VALU_DEP_4)
	v_cmp_ne_u32_e64 s28, 0, v54
	v_cndmask_b32_e64 v54, 0, 1, s21
	v_cmp_ne_u32_e64 s29, 0, v55
	s_delay_alu instid0(VALU_DEP_3) | instskip(NEXT) | instid1(VALU_DEP_3)
	v_xor_b32_e32 v55, s28, v8
	v_cmp_ne_u32_e64 s28, 0, v54
	s_delay_alu instid0(VALU_DEP_3) | instskip(SKIP_1) | instid1(VALU_DEP_4)
	v_xor_b32_e32 v54, s29, v44
	v_cmp_ne_u32_e64 s29, 0, v56
	v_and_b32_e32 v55, exec_lo, v55
	s_delay_alu instid0(VALU_DEP_4) | instskip(NEXT) | instid1(VALU_DEP_2)
	v_xor_b32_e32 v56, s28, v45
	v_and_b32_e32 v54, v55, v54
	s_delay_alu instid0(VALU_DEP_4) | instskip(NEXT) | instid1(VALU_DEP_2)
	v_xor_b32_e32 v55, s29, v46
	v_and_b32_e32 v56, v54, v56
	ds_load_b32 v54, v28 offset:16
	; wave barrier
	v_and_b32_e32 v56, v56, v55
	s_delay_alu instid0(VALU_DEP_1) | instskip(SKIP_1) | instid1(VALU_DEP_2)
	v_mbcnt_lo_u32_b32 v55, v56, 0
	v_cmp_ne_u32_e64 s29, 0, v56
	v_cmp_eq_u32_e64 s28, 0, v55
	s_delay_alu instid0(VALU_DEP_1) | instskip(NEXT) | instid1(SALU_CYCLE_1)
	s_and_b32 s29, s29, s28
	s_and_saveexec_b32 s28, s29
	s_cbranch_execz .LBB50_20
; %bb.19:                               ;   in Loop: Header=BB50_2 Depth=1
	s_waitcnt lgkmcnt(0)
	v_bcnt_u32_b32 v56, v56, v54
	ds_store_b32 v28, v56 offset:16
.LBB50_20:                              ;   in Loop: Header=BB50_2 Depth=1
	s_or_b32 exec_lo, exec_lo, s28
	v_cndmask_b32_e64 v56, 0, 1, s39
	v_cndmask_b32_e64 v57, 0, 1, s23
	v_cndmask_b32_e64 v58, 0, 1, s25
	; wave barrier
	s_delay_alu instid0(VALU_DEP_3) | instskip(SKIP_1) | instid1(VALU_DEP_4)
	v_cmp_ne_u32_e64 s28, 0, v56
	v_cndmask_b32_e64 v56, 0, 1, s24
	v_cmp_ne_u32_e64 s29, 0, v57
	s_delay_alu instid0(VALU_DEP_3) | instskip(NEXT) | instid1(VALU_DEP_3)
	v_xor_b32_e32 v57, s28, v9
	v_cmp_ne_u32_e64 s28, 0, v56
	s_delay_alu instid0(VALU_DEP_3) | instskip(SKIP_1) | instid1(VALU_DEP_4)
	v_xor_b32_e32 v56, s29, v47
	v_cmp_ne_u32_e64 s29, 0, v58
	v_and_b32_e32 v57, exec_lo, v57
	s_delay_alu instid0(VALU_DEP_4) | instskip(NEXT) | instid1(VALU_DEP_2)
	v_xor_b32_e32 v58, s28, v48
	v_and_b32_e32 v56, v57, v56
	s_delay_alu instid0(VALU_DEP_4) | instskip(NEXT) | instid1(VALU_DEP_2)
	v_xor_b32_e32 v57, s29, v49
	v_and_b32_e32 v58, v56, v58
	ds_load_b32 v56, v29 offset:16
	; wave barrier
	v_and_b32_e32 v58, v58, v57
	s_delay_alu instid0(VALU_DEP_1) | instskip(SKIP_1) | instid1(VALU_DEP_2)
	v_mbcnt_lo_u32_b32 v57, v58, 0
	v_cmp_ne_u32_e64 s29, 0, v58
	v_cmp_eq_u32_e64 s28, 0, v57
	s_delay_alu instid0(VALU_DEP_1) | instskip(NEXT) | instid1(SALU_CYCLE_1)
	s_and_b32 s29, s29, s28
	s_and_saveexec_b32 s28, s29
	s_cbranch_execz .LBB50_22
; %bb.21:                               ;   in Loop: Header=BB50_2 Depth=1
	s_waitcnt lgkmcnt(0)
	v_bcnt_u32_b32 v58, v58, v56
	ds_store_b32 v29, v58 offset:16
.LBB50_22:                              ;   in Loop: Header=BB50_2 Depth=1
	;; [unrolled: 38-line block ×3, first 2 shown]
	s_or_b32 exec_lo, exec_lo, s28
	; wave barrier
	s_waitcnt lgkmcnt(0)
	s_barrier
	buffer_gl0_inv
	ds_load_b32 v60, v1 offset:16
	s_waitcnt lgkmcnt(0)
	v_mov_b32_dpp v61, v60 row_shr:1 row_mask:0xf bank_mask:0xf
	s_delay_alu instid0(VALU_DEP_1) | instskip(NEXT) | instid1(VALU_DEP_1)
	v_cndmask_b32_e64 v61, v61, 0, s0
	v_add_nc_u32_e32 v60, v61, v60
	s_delay_alu instid0(VALU_DEP_1) | instskip(NEXT) | instid1(VALU_DEP_1)
	v_mov_b32_dpp v61, v60 row_shr:2 row_mask:0xf bank_mask:0xf
	v_cndmask_b32_e64 v61, 0, v61, s1
	s_delay_alu instid0(VALU_DEP_1) | instskip(NEXT) | instid1(VALU_DEP_1)
	v_add_nc_u32_e32 v60, v60, v61
	v_mov_b32_dpp v61, v60 row_shr:4 row_mask:0xf bank_mask:0xf
	s_delay_alu instid0(VALU_DEP_1) | instskip(NEXT) | instid1(VALU_DEP_1)
	v_cndmask_b32_e64 v61, 0, v61, s2
	v_add_nc_u32_e32 v60, v60, v61
	s_delay_alu instid0(VALU_DEP_1) | instskip(NEXT) | instid1(VALU_DEP_1)
	v_mov_b32_dpp v61, v60 row_shr:8 row_mask:0xf bank_mask:0xf
	v_cndmask_b32_e64 v61, 0, v61, s3
	s_delay_alu instid0(VALU_DEP_1) | instskip(SKIP_3) | instid1(VALU_DEP_1)
	v_add_nc_u32_e32 v60, v60, v61
	ds_swizzle_b32 v61, v60 offset:swizzle(BROADCAST,32,15)
	s_waitcnt lgkmcnt(0)
	v_cndmask_b32_e64 v61, v61, 0, s4
	v_add_nc_u32_e32 v60, v60, v61
	s_and_saveexec_b32 s28, s9
	s_cbranch_execz .LBB50_26
; %bb.25:                               ;   in Loop: Header=BB50_2 Depth=1
	ds_store_b32 v0, v60
.LBB50_26:                              ;   in Loop: Header=BB50_2 Depth=1
	s_or_b32 exec_lo, exec_lo, s28
	s_waitcnt lgkmcnt(0)
	s_barrier
	buffer_gl0_inv
	s_and_saveexec_b32 s28, s5
	s_cbranch_execz .LBB50_28
; %bb.27:                               ;   in Loop: Header=BB50_2 Depth=1
	ds_load_b32 v61, v1
	s_waitcnt lgkmcnt(0)
	v_mov_b32_dpp v62, v61 row_shr:1 row_mask:0xf bank_mask:0xf
	s_delay_alu instid0(VALU_DEP_1) | instskip(NEXT) | instid1(VALU_DEP_1)
	v_cndmask_b32_e64 v62, v62, 0, s7
	v_add_nc_u32_e32 v61, v62, v61
	s_delay_alu instid0(VALU_DEP_1) | instskip(NEXT) | instid1(VALU_DEP_1)
	v_mov_b32_dpp v62, v61 row_shr:2 row_mask:0xf bank_mask:0xf
	v_cndmask_b32_e64 v62, 0, v62, s8
	s_delay_alu instid0(VALU_DEP_1)
	v_add_nc_u32_e32 v61, v61, v62
	ds_store_b32 v1, v61
.LBB50_28:                              ;   in Loop: Header=BB50_2 Depth=1
	s_or_b32 exec_lo, exec_lo, s28
	v_mov_b32_e32 v61, 0
	s_waitcnt lgkmcnt(0)
	s_barrier
	buffer_gl0_inv
	s_and_saveexec_b32 s28, s6
	s_cbranch_execz .LBB50_1
; %bb.29:                               ;   in Loop: Header=BB50_2 Depth=1
	ds_load_b32 v61, v4
	s_branch .LBB50_1
.LBB50_30:
	ds_load_b32 v0, v27 offset:16
	ds_load_b32 v3, v28 offset:16
	ds_load_b32 v4, v29 offset:16
	ds_load_b32 v5, v14 offset:16
	s_lshl_b64 s[0:1], s[34:35], 2
	s_delay_alu instid0(SALU_CYCLE_1)
	s_add_u32 s0, s30, s0
	s_addc_u32 s1, s31, s1
	s_waitcnt lgkmcnt(3)
	v_add_nc_u32_e32 v2, v0, v53
	s_waitcnt lgkmcnt(2)
	v_add3_u32 v3, v55, v54, v3
	s_waitcnt lgkmcnt(1)
	v_add3_u32 v4, v57, v56, v4
	;; [unrolled: 2-line block ×3, first 2 shown]
	v_lshlrev_b32_e32 v0, 2, v1
	global_store_b128 v0, v[2:5], s[0:1]
	s_nop 0
	s_sendmsg sendmsg(MSG_DEALLOC_VGPRS)
	s_endpgm
	.section	.rodata,"a",@progbits
	.p2align	6, 0x0
	.amdhsa_kernel _Z11rank_kernelIhLj4ELb0EL18RadixRankAlgorithm2ELj128ELj4ELj10EEvPKT_Pi
		.amdhsa_group_segment_fixed_size 528
		.amdhsa_private_segment_fixed_size 0
		.amdhsa_kernarg_size 272
		.amdhsa_user_sgpr_count 15
		.amdhsa_user_sgpr_dispatch_ptr 0
		.amdhsa_user_sgpr_queue_ptr 0
		.amdhsa_user_sgpr_kernarg_segment_ptr 1
		.amdhsa_user_sgpr_dispatch_id 0
		.amdhsa_user_sgpr_private_segment_size 0
		.amdhsa_wavefront_size32 1
		.amdhsa_uses_dynamic_stack 0
		.amdhsa_enable_private_segment 0
		.amdhsa_system_sgpr_workgroup_id_x 1
		.amdhsa_system_sgpr_workgroup_id_y 0
		.amdhsa_system_sgpr_workgroup_id_z 0
		.amdhsa_system_sgpr_workgroup_info 0
		.amdhsa_system_vgpr_workitem_id 2
		.amdhsa_next_free_vgpr 63
		.amdhsa_next_free_sgpr 42
		.amdhsa_reserve_vcc 1
		.amdhsa_float_round_mode_32 0
		.amdhsa_float_round_mode_16_64 0
		.amdhsa_float_denorm_mode_32 3
		.amdhsa_float_denorm_mode_16_64 3
		.amdhsa_dx10_clamp 1
		.amdhsa_ieee_mode 1
		.amdhsa_fp16_overflow 0
		.amdhsa_workgroup_processor_mode 1
		.amdhsa_memory_ordered 1
		.amdhsa_forward_progress 0
		.amdhsa_shared_vgpr_count 0
		.amdhsa_exception_fp_ieee_invalid_op 0
		.amdhsa_exception_fp_denorm_src 0
		.amdhsa_exception_fp_ieee_div_zero 0
		.amdhsa_exception_fp_ieee_overflow 0
		.amdhsa_exception_fp_ieee_underflow 0
		.amdhsa_exception_fp_ieee_inexact 0
		.amdhsa_exception_int_div_zero 0
	.end_amdhsa_kernel
	.section	.text._Z11rank_kernelIhLj4ELb0EL18RadixRankAlgorithm2ELj128ELj4ELj10EEvPKT_Pi,"axG",@progbits,_Z11rank_kernelIhLj4ELb0EL18RadixRankAlgorithm2ELj128ELj4ELj10EEvPKT_Pi,comdat
.Lfunc_end50:
	.size	_Z11rank_kernelIhLj4ELb0EL18RadixRankAlgorithm2ELj128ELj4ELj10EEvPKT_Pi, .Lfunc_end50-_Z11rank_kernelIhLj4ELb0EL18RadixRankAlgorithm2ELj128ELj4ELj10EEvPKT_Pi
                                        ; -- End function
	.section	.AMDGPU.csdata,"",@progbits
; Kernel info:
; codeLenInByte = 3476
; NumSgprs: 44
; NumVgprs: 63
; ScratchSize: 0
; MemoryBound: 0
; FloatMode: 240
; IeeeMode: 1
; LDSByteSize: 528 bytes/workgroup (compile time only)
; SGPRBlocks: 5
; VGPRBlocks: 7
; NumSGPRsForWavesPerEU: 44
; NumVGPRsForWavesPerEU: 63
; Occupancy: 16
; WaveLimiterHint : 0
; COMPUTE_PGM_RSRC2:SCRATCH_EN: 0
; COMPUTE_PGM_RSRC2:USER_SGPR: 15
; COMPUTE_PGM_RSRC2:TRAP_HANDLER: 0
; COMPUTE_PGM_RSRC2:TGID_X_EN: 1
; COMPUTE_PGM_RSRC2:TGID_Y_EN: 0
; COMPUTE_PGM_RSRC2:TGID_Z_EN: 0
; COMPUTE_PGM_RSRC2:TIDIG_COMP_CNT: 2
	.section	.text._Z11rank_kernelIhLj4ELb0EL18RadixRankAlgorithm0ELj128ELj8ELj10EEvPKT_Pi,"axG",@progbits,_Z11rank_kernelIhLj4ELb0EL18RadixRankAlgorithm0ELj128ELj8ELj10EEvPKT_Pi,comdat
	.protected	_Z11rank_kernelIhLj4ELb0EL18RadixRankAlgorithm0ELj128ELj8ELj10EEvPKT_Pi ; -- Begin function _Z11rank_kernelIhLj4ELb0EL18RadixRankAlgorithm0ELj128ELj8ELj10EEvPKT_Pi
	.globl	_Z11rank_kernelIhLj4ELb0EL18RadixRankAlgorithm0ELj128ELj8ELj10EEvPKT_Pi
	.p2align	8
	.type	_Z11rank_kernelIhLj4ELb0EL18RadixRankAlgorithm0ELj128ELj8ELj10EEvPKT_Pi,@function
_Z11rank_kernelIhLj4ELb0EL18RadixRankAlgorithm0ELj128ELj8ELj10EEvPKT_Pi: ; @_Z11rank_kernelIhLj4ELb0EL18RadixRankAlgorithm0ELj128ELj8ELj10EEvPKT_Pi
; %bb.0:
	s_load_b128 s[16:19], s[0:1], 0x0
	s_lshl_b32 s12, s15, 10
	v_dual_mov_b32 v2, 0 :: v_dual_lshlrev_b32 v1, 3, v0
	v_mbcnt_lo_u32_b32 v5, -1, 0
	v_or_b32_e32 v8, 31, v0
	v_lshrrev_b32_e32 v12, 3, v0
	v_lshlrev_b32_e32 v3, 5, v0
	v_cmp_gt_u32_e32 vcc_lo, 4, v0
	v_add_nc_u32_e32 v9, -1, v5
	v_and_b32_e32 v13, 3, v5
	v_and_b32_e32 v6, 15, v5
	;; [unrolled: 1-line block ×3, first 2 shown]
	v_lshlrev_b32_e32 v4, 2, v0
	v_cmp_gt_i32_e64 s7, 0, v9
	v_cmp_eq_u32_e64 s8, 0, v13
	v_cmp_lt_u32_e64 s9, 1, v13
	v_cmp_eq_u32_e64 s2, 0, v6
	v_cmp_lt_u32_e64 s3, 1, v6
	v_cmp_lt_u32_e64 s4, 3, v6
	s_waitcnt lgkmcnt(0)
	s_add_u32 s0, s16, s12
	s_addc_u32 s1, s17, 0
	v_cmp_lt_u32_e64 s5, 7, v6
	global_load_b64 v[10:11], v1, s[0:1]
	v_cmp_eq_u32_e64 s1, 0, v5
	v_cmp_eq_u32_e64 s6, 0, v7
	v_cndmask_b32_e64 v6, v9, v5, s7
	v_cmp_eq_u32_e64 s7, v8, v0
	v_and_b32_e32 v5, 12, v12
	v_cmp_lt_u32_e64 s0, 31, v0
	s_mov_b32 s13, 0
	v_lshlrev_b32_e32 v6, 2, v6
	s_mov_b32 s11, s13
	s_waitcnt vmcnt(0)
	v_lshrrev_b32_e32 v13, 1, v10
	v_lshrrev_b32_e32 v14, 10, v10
	v_lshlrev_b32_e32 v19, 7, v11
	v_lshrrev_b32_e32 v20, 2, v11
	v_lshrrev_b32_e32 v21, 1, v11
	;; [unrolled: 1-line block ×7, first 2 shown]
	v_lshlrev_b32_e32 v7, 3, v10
	v_lshrrev_b32_e32 v8, 6, v10
	v_lshlrev_b32_e32 v9, 7, v10
	v_lshrrev_b32_e32 v12, 2, v10
	v_lshrrev_b32_e32 v15, 9, v10
	v_lshrrev_b32_e32 v16, 18, v10
	v_lshrrev_b32_e32 v17, 17, v10
	v_lshrrev_b32_e32 v18, 26, v10
	v_lshrrev_b32_e32 v25, 17, v11
	v_lshrrev_b32_e32 v26, 26, v11
	v_lshrrev_b32_e32 v27, 5, v10
	v_lshrrev_b32_e32 v28, 14, v10
	v_lshrrev_b32_e32 v29, 13, v10
	v_lshrrev_b32_e32 v30, 22, v10
	v_lshlrev_b32_e32 v32, 3, v11
	v_lshrrev_b32_e32 v33, 6, v11
	v_lshrrev_b32_e32 v34, 5, v11
	v_lshrrev_b32_e32 v35, 14, v11
	v_lshrrev_b32_e32 v36, 13, v11
	v_lshrrev_b32_e32 v37, 22, v11
	v_and_or_b32 v13, 0x380, v13, v0
	v_and_b32_e32 v14, 2, v14
	v_and_or_b32 v19, 0x380, v19, v0
	v_and_b32_e32 v20, 2, v20
	;; [unrolled: 2-line block ×4, first 2 shown]
	v_and_or_b32 v31, 0x380, v31, v0
	v_and_or_b32 v38, 0x380, v38, v0
	v_and_or_b32 v7, 0x380, v7, v0
	v_and_b32_e32 v8, 2, v8
	v_and_or_b32 v9, 0x380, v9, v0
	v_and_b32_e32 v12, 2, v12
	v_and_or_b32 v39, 0x380, v15, v0
	;; [unrolled: 2-line block ×9, first 2 shown]
	v_and_b32_e32 v37, 2, v37
	v_lshl_or_b32 v16, v13, 2, v14
	v_lshl_or_b32 v19, v19, 2, v20
	v_lshl_or_b32 v20, v21, 2, v22
	v_lshl_or_b32 v21, v23, 2, v24
	v_alignbit_b32 v13, v31, v10, 30
	v_alignbit_b32 v23, v38, v11, 30
	v_lshl_or_b32 v7, v7, 2, v8
	v_lshl_or_b32 v15, v9, 2, v12
	;; [unrolled: 1-line block ×10, first 2 shown]
	v_and_b32_e32 v14, 0xffe, v13
	v_and_b32_e32 v13, 0xffe, v23
	v_or_b32_e32 v0, 0xffffff80, v0
	s_branch .LBB51_2
.LBB51_1:                               ;   in Loop: Header=BB51_2 Depth=1
	s_or_b32 exec_lo, exec_lo, s10
	s_waitcnt lgkmcnt(0)
	v_add_nc_u32_e32 v31, v32, v31
	ds_load_b32 v35, v2 offset:4108
	ds_load_2addr_b32 v[33:34], v3 offset1:1
	s_add_i32 s11, s11, 1
	s_delay_alu instid0(SALU_CYCLE_1)
	s_cmp_eq_u32 s11, 10
	ds_bpermute_b32 v31, v6, v31
	s_waitcnt lgkmcnt(0)
	v_cndmask_b32_e64 v36, v31, v32, s1
	ds_load_2addr_b32 v[31:32], v3 offset0:2 offset1:3
	v_lshl_add_u32 v37, v35, 16, v36
	ds_load_2addr_b32 v[35:36], v3 offset0:4 offset1:5
	ds_load_b32 v38, v3 offset:24
	v_add_nc_u32_e32 v33, v37, v33
	s_delay_alu instid0(VALU_DEP_1) | instskip(SKIP_1) | instid1(VALU_DEP_1)
	v_add_nc_u32_e32 v34, v34, v33
	s_waitcnt lgkmcnt(2)
	v_add_nc_u32_e32 v31, v31, v34
	s_delay_alu instid0(VALU_DEP_1) | instskip(SKIP_1) | instid1(VALU_DEP_1)
	v_add_nc_u32_e32 v32, v32, v31
	s_waitcnt lgkmcnt(1)
	;; [unrolled: 4-line block ×3, first 2 shown]
	v_add_nc_u32_e32 v38, v38, v36
	ds_store_2addr_b32 v3, v37, v33 offset1:1
	ds_store_2addr_b32 v3, v34, v31 offset0:2 offset1:3
	ds_store_2addr_b32 v3, v32, v35 offset0:4 offset1:5
	;; [unrolled: 1-line block ×3, first 2 shown]
	s_waitcnt lgkmcnt(0)
	s_barrier
	buffer_gl0_inv
	s_cbranch_scc1 .LBB51_18
.LBB51_2:                               ; =>This Loop Header: Depth=1
                                        ;     Child Loop BB51_3 Depth 2
                                        ;     Child Loop BB51_11 Depth 2
	s_delay_alu instid0(VALU_DEP_1)
	v_mov_b32_e32 v23, v0
	v_mov_b32_e32 v24, v4
	s_mov_b32 s14, 0
.LBB51_3:                               ;   Parent Loop BB51_2 Depth=1
                                        ; =>  This Inner Loop Header: Depth=2
	s_delay_alu instid0(VALU_DEP_2) | instskip(SKIP_3) | instid1(VALU_DEP_1)
	v_add_nc_u32_e32 v23, 0x80, v23
	ds_store_b32 v24, v2
	v_add_nc_u32_e32 v24, 0x200, v24
	v_cmp_lt_u32_e64 s10, 0x37f, v23
	s_or_b32 s14, s10, s14
	s_delay_alu instid0(SALU_CYCLE_1)
	s_and_not1_b32 exec_lo, exec_lo, s14
	s_cbranch_execnz .LBB51_3
; %bb.4:                                ;   in Loop: Header=BB51_2 Depth=1
	s_or_b32 exec_lo, exec_lo, s14
	ds_load_u16 v23, v15
	s_waitcnt lgkmcnt(0)
	v_add_nc_u16 v23, v23, 1
	ds_store_b16 v15, v23
	ds_load_u16 v23, v16
	s_waitcnt lgkmcnt(0)
	v_add_nc_u16 v23, v23, 1
	ds_store_b16 v16, v23
	;; [unrolled: 4-line block ×8, first 2 shown]
	s_waitcnt lgkmcnt(0)
	s_barrier
	buffer_gl0_inv
	ds_load_2addr_b32 v[23:24], v3 offset1:1
	ds_load_2addr_b32 v[25:26], v3 offset0:2 offset1:3
	ds_load_2addr_b32 v[27:28], v3 offset0:4 offset1:5
	;; [unrolled: 1-line block ×3, first 2 shown]
	s_waitcnt lgkmcnt(3)
	v_add_nc_u32_e32 v23, v24, v23
	s_waitcnt lgkmcnt(2)
	s_delay_alu instid0(VALU_DEP_1) | instskip(SKIP_1) | instid1(VALU_DEP_1)
	v_add3_u32 v23, v23, v25, v26
	s_waitcnt lgkmcnt(1)
	v_add3_u32 v23, v23, v27, v28
	s_waitcnt lgkmcnt(0)
	s_delay_alu instid0(VALU_DEP_1) | instskip(NEXT) | instid1(VALU_DEP_1)
	v_add3_u32 v23, v23, v29, v30
	v_mov_b32_dpp v24, v23 row_shr:1 row_mask:0xf bank_mask:0xf
	s_delay_alu instid0(VALU_DEP_1) | instskip(NEXT) | instid1(VALU_DEP_1)
	v_cndmask_b32_e64 v24, v24, 0, s2
	v_add_nc_u32_e32 v23, v24, v23
	s_delay_alu instid0(VALU_DEP_1) | instskip(NEXT) | instid1(VALU_DEP_1)
	v_mov_b32_dpp v24, v23 row_shr:2 row_mask:0xf bank_mask:0xf
	v_cndmask_b32_e64 v24, 0, v24, s3
	s_delay_alu instid0(VALU_DEP_1) | instskip(NEXT) | instid1(VALU_DEP_1)
	v_add_nc_u32_e32 v23, v23, v24
	v_mov_b32_dpp v24, v23 row_shr:4 row_mask:0xf bank_mask:0xf
	s_delay_alu instid0(VALU_DEP_1) | instskip(NEXT) | instid1(VALU_DEP_1)
	v_cndmask_b32_e64 v24, 0, v24, s4
	v_add_nc_u32_e32 v23, v23, v24
	s_delay_alu instid0(VALU_DEP_1) | instskip(NEXT) | instid1(VALU_DEP_1)
	v_mov_b32_dpp v24, v23 row_shr:8 row_mask:0xf bank_mask:0xf
	v_cndmask_b32_e64 v24, 0, v24, s5
	s_delay_alu instid0(VALU_DEP_1) | instskip(SKIP_3) | instid1(VALU_DEP_1)
	v_add_nc_u32_e32 v23, v23, v24
	ds_swizzle_b32 v24, v23 offset:swizzle(BROADCAST,32,15)
	s_waitcnt lgkmcnt(0)
	v_cndmask_b32_e64 v24, v24, 0, s6
	v_add_nc_u32_e32 v23, v23, v24
	s_and_saveexec_b32 s10, s7
	s_cbranch_execz .LBB51_6
; %bb.5:                                ;   in Loop: Header=BB51_2 Depth=1
	ds_store_b32 v5, v23 offset:4096
.LBB51_6:                               ;   in Loop: Header=BB51_2 Depth=1
	s_or_b32 exec_lo, exec_lo, s10
	s_waitcnt lgkmcnt(0)
	s_barrier
	buffer_gl0_inv
	s_and_saveexec_b32 s10, vcc_lo
	s_cbranch_execz .LBB51_8
; %bb.7:                                ;   in Loop: Header=BB51_2 Depth=1
	ds_load_b32 v24, v4 offset:4096
	s_waitcnt lgkmcnt(0)
	v_mov_b32_dpp v25, v24 row_shr:1 row_mask:0xf bank_mask:0xf
	s_delay_alu instid0(VALU_DEP_1) | instskip(NEXT) | instid1(VALU_DEP_1)
	v_cndmask_b32_e64 v25, v25, 0, s8
	v_add_nc_u32_e32 v24, v25, v24
	s_delay_alu instid0(VALU_DEP_1) | instskip(NEXT) | instid1(VALU_DEP_1)
	v_mov_b32_dpp v25, v24 row_shr:2 row_mask:0xf bank_mask:0xf
	v_cndmask_b32_e64 v25, 0, v25, s9
	s_delay_alu instid0(VALU_DEP_1)
	v_add_nc_u32_e32 v24, v24, v25
	ds_store_b32 v4, v24 offset:4096
.LBB51_8:                               ;   in Loop: Header=BB51_2 Depth=1
	s_or_b32 exec_lo, exec_lo, s10
	v_mov_b32_e32 v24, 0
	s_waitcnt lgkmcnt(0)
	s_barrier
	buffer_gl0_inv
	s_and_saveexec_b32 s10, s0
	s_cbranch_execz .LBB51_10
; %bb.9:                                ;   in Loop: Header=BB51_2 Depth=1
	ds_load_b32 v24, v5 offset:4092
.LBB51_10:                              ;   in Loop: Header=BB51_2 Depth=1
	s_or_b32 exec_lo, exec_lo, s10
	s_waitcnt lgkmcnt(0)
	v_add_nc_u32_e32 v23, v24, v23
	ds_load_b32 v27, v2 offset:4108
	ds_load_2addr_b32 v[25:26], v3 offset1:1
	s_mov_b32 s14, 0
	ds_bpermute_b32 v23, v6, v23
	s_waitcnt lgkmcnt(0)
	v_cndmask_b32_e64 v28, v23, v24, s1
	ds_load_2addr_b32 v[23:24], v3 offset0:2 offset1:3
	v_lshl_add_u32 v29, v27, 16, v28
	ds_load_2addr_b32 v[27:28], v3 offset0:4 offset1:5
	ds_load_b32 v30, v3 offset:24
	v_add_nc_u32_e32 v25, v29, v25
	s_delay_alu instid0(VALU_DEP_1) | instskip(SKIP_1) | instid1(VALU_DEP_1)
	v_add_nc_u32_e32 v26, v26, v25
	s_waitcnt lgkmcnt(2)
	v_add_nc_u32_e32 v31, v23, v26
	v_mov_b32_e32 v23, v0
	s_delay_alu instid0(VALU_DEP_2) | instskip(SKIP_1) | instid1(VALU_DEP_1)
	v_add_nc_u32_e32 v32, v24, v31
	s_waitcnt lgkmcnt(1)
	v_dual_mov_b32 v24, v4 :: v_dual_add_nc_u32 v27, v27, v32
	s_delay_alu instid0(VALU_DEP_1) | instskip(SKIP_1) | instid1(VALU_DEP_1)
	v_add_nc_u32_e32 v28, v28, v27
	s_waitcnt lgkmcnt(0)
	v_add_nc_u32_e32 v30, v30, v28
	ds_store_2addr_b32 v3, v29, v25 offset1:1
	ds_store_2addr_b32 v3, v26, v31 offset0:2 offset1:3
	ds_store_2addr_b32 v3, v32, v27 offset0:4 offset1:5
	;; [unrolled: 1-line block ×3, first 2 shown]
	s_waitcnt lgkmcnt(0)
	s_barrier
	buffer_gl0_inv
.LBB51_11:                              ;   Parent Loop BB51_2 Depth=1
                                        ; =>  This Inner Loop Header: Depth=2
	v_add_nc_u32_e32 v23, 0x80, v23
	ds_store_b32 v24, v2
	v_add_nc_u32_e32 v24, 0x200, v24
	v_cmp_lt_u32_e64 s10, 0x37f, v23
	s_delay_alu instid0(VALU_DEP_1) | instskip(NEXT) | instid1(SALU_CYCLE_1)
	s_or_b32 s14, s10, s14
	s_and_not1_b32 exec_lo, exec_lo, s14
	s_cbranch_execnz .LBB51_11
; %bb.12:                               ;   in Loop: Header=BB51_2 Depth=1
	s_or_b32 exec_lo, exec_lo, s14
	ds_load_u16 v23, v7
	s_waitcnt lgkmcnt(0)
	v_add_nc_u16 v24, v23, 1
	ds_store_b16 v7, v24
	ds_load_u16 v24, v8
	s_waitcnt lgkmcnt(0)
	v_add_nc_u16 v25, v24, 1
	ds_store_b16 v8, v25
	;; [unrolled: 4-line block ×8, first 2 shown]
	s_waitcnt lgkmcnt(0)
	s_barrier
	buffer_gl0_inv
	ds_load_2addr_b32 v[31:32], v3 offset1:1
	ds_load_2addr_b32 v[33:34], v3 offset0:2 offset1:3
	ds_load_2addr_b32 v[35:36], v3 offset0:4 offset1:5
	;; [unrolled: 1-line block ×3, first 2 shown]
	s_waitcnt lgkmcnt(3)
	v_add_nc_u32_e32 v31, v32, v31
	s_waitcnt lgkmcnt(2)
	s_delay_alu instid0(VALU_DEP_1) | instskip(SKIP_1) | instid1(VALU_DEP_1)
	v_add3_u32 v31, v31, v33, v34
	s_waitcnt lgkmcnt(1)
	v_add3_u32 v31, v31, v35, v36
	s_waitcnt lgkmcnt(0)
	s_delay_alu instid0(VALU_DEP_1) | instskip(NEXT) | instid1(VALU_DEP_1)
	v_add3_u32 v31, v31, v37, v38
	v_mov_b32_dpp v32, v31 row_shr:1 row_mask:0xf bank_mask:0xf
	s_delay_alu instid0(VALU_DEP_1) | instskip(NEXT) | instid1(VALU_DEP_1)
	v_cndmask_b32_e64 v32, v32, 0, s2
	v_add_nc_u32_e32 v31, v32, v31
	s_delay_alu instid0(VALU_DEP_1) | instskip(NEXT) | instid1(VALU_DEP_1)
	v_mov_b32_dpp v32, v31 row_shr:2 row_mask:0xf bank_mask:0xf
	v_cndmask_b32_e64 v32, 0, v32, s3
	s_delay_alu instid0(VALU_DEP_1) | instskip(NEXT) | instid1(VALU_DEP_1)
	v_add_nc_u32_e32 v31, v31, v32
	v_mov_b32_dpp v32, v31 row_shr:4 row_mask:0xf bank_mask:0xf
	s_delay_alu instid0(VALU_DEP_1) | instskip(NEXT) | instid1(VALU_DEP_1)
	v_cndmask_b32_e64 v32, 0, v32, s4
	v_add_nc_u32_e32 v31, v31, v32
	s_delay_alu instid0(VALU_DEP_1) | instskip(NEXT) | instid1(VALU_DEP_1)
	v_mov_b32_dpp v32, v31 row_shr:8 row_mask:0xf bank_mask:0xf
	v_cndmask_b32_e64 v32, 0, v32, s5
	s_delay_alu instid0(VALU_DEP_1) | instskip(SKIP_3) | instid1(VALU_DEP_1)
	v_add_nc_u32_e32 v31, v31, v32
	ds_swizzle_b32 v32, v31 offset:swizzle(BROADCAST,32,15)
	s_waitcnt lgkmcnt(0)
	v_cndmask_b32_e64 v32, v32, 0, s6
	v_add_nc_u32_e32 v31, v31, v32
	s_and_saveexec_b32 s10, s7
	s_cbranch_execz .LBB51_14
; %bb.13:                               ;   in Loop: Header=BB51_2 Depth=1
	ds_store_b32 v5, v31 offset:4096
.LBB51_14:                              ;   in Loop: Header=BB51_2 Depth=1
	s_or_b32 exec_lo, exec_lo, s10
	s_waitcnt lgkmcnt(0)
	s_barrier
	buffer_gl0_inv
	s_and_saveexec_b32 s10, vcc_lo
	s_cbranch_execz .LBB51_16
; %bb.15:                               ;   in Loop: Header=BB51_2 Depth=1
	ds_load_b32 v32, v4 offset:4096
	s_waitcnt lgkmcnt(0)
	v_mov_b32_dpp v33, v32 row_shr:1 row_mask:0xf bank_mask:0xf
	s_delay_alu instid0(VALU_DEP_1) | instskip(NEXT) | instid1(VALU_DEP_1)
	v_cndmask_b32_e64 v33, v33, 0, s8
	v_add_nc_u32_e32 v32, v33, v32
	s_delay_alu instid0(VALU_DEP_1) | instskip(NEXT) | instid1(VALU_DEP_1)
	v_mov_b32_dpp v33, v32 row_shr:2 row_mask:0xf bank_mask:0xf
	v_cndmask_b32_e64 v33, 0, v33, s9
	s_delay_alu instid0(VALU_DEP_1)
	v_add_nc_u32_e32 v32, v32, v33
	ds_store_b32 v4, v32 offset:4096
.LBB51_16:                              ;   in Loop: Header=BB51_2 Depth=1
	s_or_b32 exec_lo, exec_lo, s10
	v_mov_b32_e32 v32, 0
	s_waitcnt lgkmcnt(0)
	s_barrier
	buffer_gl0_inv
	s_and_saveexec_b32 s10, s0
	s_cbranch_execz .LBB51_1
; %bb.17:                               ;   in Loop: Header=BB51_2 Depth=1
	ds_load_b32 v32, v5 offset:4092
	s_branch .LBB51_1
.LBB51_18:
	ds_load_u16 v0, v7
	ds_load_u16 v3, v8
	;; [unrolled: 1-line block ×8, first 2 shown]
	v_and_b32_e32 v2, 0xffff, v23
	v_and_b32_e32 v10, 0xffff, v24
	;; [unrolled: 1-line block ×8, first 2 shown]
	s_lshl_b64 s[0:1], s[12:13], 2
	s_delay_alu instid0(SALU_CYCLE_1)
	s_add_u32 s0, s18, s0
	s_addc_u32 s1, s19, s1
	s_waitcnt lgkmcnt(7)
	v_add_nc_u32_e32 v2, v0, v2
	s_waitcnt lgkmcnt(6)
	v_add_nc_u32_e32 v3, v3, v10
	s_waitcnt lgkmcnt(5)
	v_add_nc_u32_e32 v4, v4, v11
	s_waitcnt lgkmcnt(4)
	v_add_nc_u32_e32 v5, v5, v12
	v_lshlrev_b32_e32 v0, 2, v1
	s_waitcnt lgkmcnt(3)
	v_add_nc_u32_e32 v6, v6, v13
	s_waitcnt lgkmcnt(2)
	v_add_nc_u32_e32 v7, v7, v14
	;; [unrolled: 2-line block ×4, first 2 shown]
	s_clause 0x1
	global_store_b128 v0, v[2:5], s[0:1]
	global_store_b128 v0, v[6:9], s[0:1] offset:16
	s_nop 0
	s_sendmsg sendmsg(MSG_DEALLOC_VGPRS)
	s_endpgm
	.section	.rodata,"a",@progbits
	.p2align	6, 0x0
	.amdhsa_kernel _Z11rank_kernelIhLj4ELb0EL18RadixRankAlgorithm0ELj128ELj8ELj10EEvPKT_Pi
		.amdhsa_group_segment_fixed_size 4112
		.amdhsa_private_segment_fixed_size 0
		.amdhsa_kernarg_size 16
		.amdhsa_user_sgpr_count 15
		.amdhsa_user_sgpr_dispatch_ptr 0
		.amdhsa_user_sgpr_queue_ptr 0
		.amdhsa_user_sgpr_kernarg_segment_ptr 1
		.amdhsa_user_sgpr_dispatch_id 0
		.amdhsa_user_sgpr_private_segment_size 0
		.amdhsa_wavefront_size32 1
		.amdhsa_uses_dynamic_stack 0
		.amdhsa_enable_private_segment 0
		.amdhsa_system_sgpr_workgroup_id_x 1
		.amdhsa_system_sgpr_workgroup_id_y 0
		.amdhsa_system_sgpr_workgroup_id_z 0
		.amdhsa_system_sgpr_workgroup_info 0
		.amdhsa_system_vgpr_workitem_id 0
		.amdhsa_next_free_vgpr 42
		.amdhsa_next_free_sgpr 20
		.amdhsa_reserve_vcc 1
		.amdhsa_float_round_mode_32 0
		.amdhsa_float_round_mode_16_64 0
		.amdhsa_float_denorm_mode_32 3
		.amdhsa_float_denorm_mode_16_64 3
		.amdhsa_dx10_clamp 1
		.amdhsa_ieee_mode 1
		.amdhsa_fp16_overflow 0
		.amdhsa_workgroup_processor_mode 1
		.amdhsa_memory_ordered 1
		.amdhsa_forward_progress 0
		.amdhsa_shared_vgpr_count 0
		.amdhsa_exception_fp_ieee_invalid_op 0
		.amdhsa_exception_fp_denorm_src 0
		.amdhsa_exception_fp_ieee_div_zero 0
		.amdhsa_exception_fp_ieee_overflow 0
		.amdhsa_exception_fp_ieee_underflow 0
		.amdhsa_exception_fp_ieee_inexact 0
		.amdhsa_exception_int_div_zero 0
	.end_amdhsa_kernel
	.section	.text._Z11rank_kernelIhLj4ELb0EL18RadixRankAlgorithm0ELj128ELj8ELj10EEvPKT_Pi,"axG",@progbits,_Z11rank_kernelIhLj4ELb0EL18RadixRankAlgorithm0ELj128ELj8ELj10EEvPKT_Pi,comdat
.Lfunc_end51:
	.size	_Z11rank_kernelIhLj4ELb0EL18RadixRankAlgorithm0ELj128ELj8ELj10EEvPKT_Pi, .Lfunc_end51-_Z11rank_kernelIhLj4ELb0EL18RadixRankAlgorithm0ELj128ELj8ELj10EEvPKT_Pi
                                        ; -- End function
	.section	.AMDGPU.csdata,"",@progbits
; Kernel info:
; codeLenInByte = 2708
; NumSgprs: 22
; NumVgprs: 42
; ScratchSize: 0
; MemoryBound: 0
; FloatMode: 240
; IeeeMode: 1
; LDSByteSize: 4112 bytes/workgroup (compile time only)
; SGPRBlocks: 2
; VGPRBlocks: 5
; NumSGPRsForWavesPerEU: 22
; NumVGPRsForWavesPerEU: 42
; Occupancy: 16
; WaveLimiterHint : 0
; COMPUTE_PGM_RSRC2:SCRATCH_EN: 0
; COMPUTE_PGM_RSRC2:USER_SGPR: 15
; COMPUTE_PGM_RSRC2:TRAP_HANDLER: 0
; COMPUTE_PGM_RSRC2:TGID_X_EN: 1
; COMPUTE_PGM_RSRC2:TGID_Y_EN: 0
; COMPUTE_PGM_RSRC2:TGID_Z_EN: 0
; COMPUTE_PGM_RSRC2:TIDIG_COMP_CNT: 0
	.section	.text._Z11rank_kernelIhLj4ELb0EL18RadixRankAlgorithm1ELj128ELj8ELj10EEvPKT_Pi,"axG",@progbits,_Z11rank_kernelIhLj4ELb0EL18RadixRankAlgorithm1ELj128ELj8ELj10EEvPKT_Pi,comdat
	.protected	_Z11rank_kernelIhLj4ELb0EL18RadixRankAlgorithm1ELj128ELj8ELj10EEvPKT_Pi ; -- Begin function _Z11rank_kernelIhLj4ELb0EL18RadixRankAlgorithm1ELj128ELj8ELj10EEvPKT_Pi
	.globl	_Z11rank_kernelIhLj4ELb0EL18RadixRankAlgorithm1ELj128ELj8ELj10EEvPKT_Pi
	.p2align	8
	.type	_Z11rank_kernelIhLj4ELb0EL18RadixRankAlgorithm1ELj128ELj8ELj10EEvPKT_Pi,@function
_Z11rank_kernelIhLj4ELb0EL18RadixRankAlgorithm1ELj128ELj8ELj10EEvPKT_Pi: ; @_Z11rank_kernelIhLj4ELb0EL18RadixRankAlgorithm1ELj128ELj8ELj10EEvPKT_Pi
; %bb.0:
	s_load_b128 s[16:19], s[0:1], 0x0
	s_lshl_b32 s12, s15, 10
	v_dual_mov_b32 v9, 0 :: v_dual_lshlrev_b32 v8, 3, v0
	v_mbcnt_lo_u32_b32 v3, -1, 0
	v_or_b32_e32 v6, 31, v0
	v_lshrrev_b32_e32 v12, 3, v0
	v_lshlrev_b32_e32 v10, 5, v0
	v_cmp_gt_u32_e32 vcc_lo, 4, v0
	v_add_nc_u32_e32 v7, -1, v3
	v_and_b32_e32 v4, 15, v3
	v_and_b32_e32 v5, 16, v3
	;; [unrolled: 1-line block ×3, first 2 shown]
	v_lshlrev_b32_e32 v11, 2, v0
	v_cmp_gt_i32_e64 s7, 0, v7
	v_cmp_eq_u32_e64 s2, 0, v4
	v_cmp_lt_u32_e64 s3, 1, v4
	v_cmp_lt_u32_e64 s4, 3, v4
	;; [unrolled: 1-line block ×3, first 2 shown]
	v_cmp_eq_u32_e64 s6, 0, v5
	s_waitcnt lgkmcnt(0)
	s_add_u32 s0, s16, s12
	s_addc_u32 s1, s17, 0
	v_cmp_eq_u32_e64 s8, 0, v13
	global_load_b64 v[1:2], v8, s[0:1]
	v_cmp_eq_u32_e64 s1, 0, v3
	v_cndmask_b32_e64 v3, v7, v3, s7
	v_cmp_eq_u32_e64 s7, v6, v0
	v_cmp_lt_u32_e64 s9, 1, v13
	v_cmp_lt_u32_e64 s0, 31, v0
	v_and_b32_e32 v12, 12, v12
	v_lshlrev_b32_e32 v13, 2, v3
	s_mov_b32 s13, 0
	s_delay_alu instid0(SALU_CYCLE_1)
	s_mov_b32 s11, s13
	s_waitcnt vmcnt(0)
	v_lshrrev_b32_e32 v31, 21, v1
	v_lshrrev_b32_e32 v38, 21, v2
	v_lshlrev_b32_e32 v3, 3, v1
	v_lshrrev_b32_e32 v4, 6, v1
	v_lshlrev_b32_e32 v5, 7, v1
	v_lshrrev_b32_e32 v6, 2, v1
	v_lshrrev_b32_e32 v7, 1, v1
	;; [unrolled: 1-line block ×7, first 2 shown]
	v_lshlrev_b32_e32 v19, 7, v2
	v_lshrrev_b32_e32 v20, 2, v2
	v_lshrrev_b32_e32 v21, 1, v2
	;; [unrolled: 1-line block ×11, first 2 shown]
	v_lshlrev_b32_e32 v32, 3, v2
	v_lshrrev_b32_e32 v33, 6, v2
	v_lshrrev_b32_e32 v34, 5, v2
	;; [unrolled: 1-line block ×5, first 2 shown]
	v_and_or_b32 v31, 0x380, v31, v0
	v_and_or_b32 v38, 0x380, v38, v0
	;; [unrolled: 1-line block ×3, first 2 shown]
	v_and_b32_e32 v4, 2, v4
	v_and_or_b32 v5, 0x380, v5, v0
	v_and_b32_e32 v6, 2, v6
	v_and_or_b32 v7, 0x380, v7, v0
	v_and_b32_e32 v39, 2, v14
	v_and_or_b32 v15, 0x380, v15, v0
	v_and_b32_e32 v16, 2, v16
	v_and_or_b32 v17, 0x380, v17, v0
	v_and_b32_e32 v18, 2, v18
	v_and_or_b32 v19, 0x380, v19, v0
	v_and_b32_e32 v20, 2, v20
	v_and_or_b32 v21, 0x380, v21, v0
	v_and_b32_e32 v40, 2, v22
	v_and_or_b32 v41, 0x380, v23, v0
	v_and_b32_e32 v42, 2, v24
	v_and_or_b32 v43, 0x380, v25, v0
	v_and_b32_e32 v44, 2, v26
	v_and_or_b32 v45, 0x380, v27, v0
	v_and_b32_e32 v46, 2, v28
	v_and_or_b32 v47, 0x380, v29, v0
	v_and_b32_e32 v30, 2, v30
	v_and_or_b32 v32, 0x380, v32, v0
	v_and_b32_e32 v33, 2, v33
	v_and_or_b32 v34, 0x380, v34, v0
	v_and_b32_e32 v35, 2, v35
	v_and_or_b32 v36, 0x380, v36, v0
	v_and_b32_e32 v37, 2, v37
	v_alignbit_b32 v1, v31, v1, 30
	v_alignbit_b32 v2, v38, v2, 30
	v_lshl_or_b32 v14, v3, 2, v4
	v_lshl_or_b32 v22, v5, 2, v6
	;; [unrolled: 1-line block ×14, first 2 shown]
	v_and_b32_e32 v21, 0xffe, v1
	v_and_b32_e32 v20, 0xffe, v2
	v_or_b32_e32 v30, 0xffffff80, v0
	s_branch .LBB52_2
.LBB52_1:                               ;   in Loop: Header=BB52_2 Depth=1
	s_or_b32 exec_lo, exec_lo, s10
	s_waitcnt lgkmcnt(0)
	v_add_nc_u32_e32 v1, v39, v1
	ds_load_b32 v40, v9 offset:4108
	s_add_i32 s11, s11, 1
	s_delay_alu instid0(SALU_CYCLE_1) | instskip(SKIP_3) | instid1(VALU_DEP_1)
	s_cmp_eq_u32 s11, 10
	ds_bpermute_b32 v1, v13, v1
	s_waitcnt lgkmcnt(0)
	v_cndmask_b32_e64 v1, v1, v39, s1
	v_lshl_add_u32 v1, v40, 16, v1
	s_delay_alu instid0(VALU_DEP_1) | instskip(NEXT) | instid1(VALU_DEP_1)
	v_add_nc_u32_e32 v6, v1, v6
	v_add_nc_u32_e32 v7, v6, v7
	s_delay_alu instid0(VALU_DEP_1) | instskip(NEXT) | instid1(VALU_DEP_1)
	v_add_nc_u32_e32 v4, v7, v4
	v_add_nc_u32_e32 v5, v4, v5
	;; [unrolled: 3-line block ×3, first 2 shown]
	s_delay_alu instid0(VALU_DEP_1)
	v_add_nc_u32_e32 v0, v3, v0
	ds_store_2addr_b32 v10, v1, v6 offset1:1
	ds_store_2addr_b32 v10, v7, v4 offset0:2 offset1:3
	ds_store_2addr_b32 v10, v5, v2 offset0:4 offset1:5
	;; [unrolled: 1-line block ×3, first 2 shown]
	s_waitcnt lgkmcnt(0)
	s_barrier
	buffer_gl0_inv
	s_cbranch_scc1 .LBB52_18
.LBB52_2:                               ; =>This Loop Header: Depth=1
                                        ;     Child Loop BB52_3 Depth 2
                                        ;     Child Loop BB52_11 Depth 2
	s_delay_alu instid0(VALU_DEP_1)
	v_dual_mov_b32 v0, v30 :: v_dual_mov_b32 v1, v11
	s_mov_b32 s14, 0
.LBB52_3:                               ;   Parent Loop BB52_2 Depth=1
                                        ; =>  This Inner Loop Header: Depth=2
	s_delay_alu instid0(VALU_DEP_1) | instskip(SKIP_3) | instid1(VALU_DEP_1)
	v_add_nc_u32_e32 v0, 0x80, v0
	ds_store_b32 v1, v9
	v_add_nc_u32_e32 v1, 0x200, v1
	v_cmp_lt_u32_e64 s10, 0x37f, v0
	s_or_b32 s14, s10, s14
	s_delay_alu instid0(SALU_CYCLE_1)
	s_and_not1_b32 exec_lo, exec_lo, s14
	s_cbranch_execnz .LBB52_3
; %bb.4:                                ;   in Loop: Header=BB52_2 Depth=1
	s_or_b32 exec_lo, exec_lo, s14
	ds_load_u16 v0, v22
	s_waitcnt lgkmcnt(0)
	v_add_nc_u16 v0, v0, 1
	ds_store_b16 v22, v0
	ds_load_u16 v0, v23
	s_waitcnt lgkmcnt(0)
	v_add_nc_u16 v0, v0, 1
	ds_store_b16 v23, v0
	;; [unrolled: 4-line block ×8, first 2 shown]
	s_waitcnt lgkmcnt(0)
	s_barrier
	buffer_gl0_inv
	ds_load_2addr_b32 v[6:7], v10 offset1:1
	ds_load_2addr_b32 v[4:5], v10 offset0:2 offset1:3
	ds_load_2addr_b32 v[2:3], v10 offset0:4 offset1:5
	;; [unrolled: 1-line block ×3, first 2 shown]
	s_waitcnt lgkmcnt(3)
	v_add_nc_u32_e32 v31, v7, v6
	s_waitcnt lgkmcnt(2)
	s_delay_alu instid0(VALU_DEP_1) | instskip(SKIP_1) | instid1(VALU_DEP_1)
	v_add3_u32 v31, v31, v4, v5
	s_waitcnt lgkmcnt(1)
	v_add3_u32 v31, v31, v2, v3
	s_waitcnt lgkmcnt(0)
	s_delay_alu instid0(VALU_DEP_1) | instskip(NEXT) | instid1(VALU_DEP_1)
	v_add3_u32 v1, v31, v0, v1
	v_mov_b32_dpp v31, v1 row_shr:1 row_mask:0xf bank_mask:0xf
	s_delay_alu instid0(VALU_DEP_1) | instskip(NEXT) | instid1(VALU_DEP_1)
	v_cndmask_b32_e64 v31, v31, 0, s2
	v_add_nc_u32_e32 v1, v31, v1
	s_delay_alu instid0(VALU_DEP_1) | instskip(NEXT) | instid1(VALU_DEP_1)
	v_mov_b32_dpp v31, v1 row_shr:2 row_mask:0xf bank_mask:0xf
	v_cndmask_b32_e64 v31, 0, v31, s3
	s_delay_alu instid0(VALU_DEP_1) | instskip(NEXT) | instid1(VALU_DEP_1)
	v_add_nc_u32_e32 v1, v1, v31
	v_mov_b32_dpp v31, v1 row_shr:4 row_mask:0xf bank_mask:0xf
	s_delay_alu instid0(VALU_DEP_1) | instskip(NEXT) | instid1(VALU_DEP_1)
	v_cndmask_b32_e64 v31, 0, v31, s4
	v_add_nc_u32_e32 v1, v1, v31
	s_delay_alu instid0(VALU_DEP_1) | instskip(NEXT) | instid1(VALU_DEP_1)
	v_mov_b32_dpp v31, v1 row_shr:8 row_mask:0xf bank_mask:0xf
	v_cndmask_b32_e64 v31, 0, v31, s5
	s_delay_alu instid0(VALU_DEP_1) | instskip(SKIP_3) | instid1(VALU_DEP_1)
	v_add_nc_u32_e32 v1, v1, v31
	ds_swizzle_b32 v31, v1 offset:swizzle(BROADCAST,32,15)
	s_waitcnt lgkmcnt(0)
	v_cndmask_b32_e64 v31, v31, 0, s6
	v_add_nc_u32_e32 v1, v1, v31
	s_and_saveexec_b32 s10, s7
	s_cbranch_execz .LBB52_6
; %bb.5:                                ;   in Loop: Header=BB52_2 Depth=1
	ds_store_b32 v12, v1 offset:4096
.LBB52_6:                               ;   in Loop: Header=BB52_2 Depth=1
	s_or_b32 exec_lo, exec_lo, s10
	s_waitcnt lgkmcnt(0)
	s_barrier
	buffer_gl0_inv
	s_and_saveexec_b32 s10, vcc_lo
	s_cbranch_execz .LBB52_8
; %bb.7:                                ;   in Loop: Header=BB52_2 Depth=1
	ds_load_b32 v31, v11 offset:4096
	s_waitcnt lgkmcnt(0)
	v_mov_b32_dpp v32, v31 row_shr:1 row_mask:0xf bank_mask:0xf
	s_delay_alu instid0(VALU_DEP_1) | instskip(NEXT) | instid1(VALU_DEP_1)
	v_cndmask_b32_e64 v32, v32, 0, s8
	v_add_nc_u32_e32 v31, v32, v31
	s_delay_alu instid0(VALU_DEP_1) | instskip(NEXT) | instid1(VALU_DEP_1)
	v_mov_b32_dpp v32, v31 row_shr:2 row_mask:0xf bank_mask:0xf
	v_cndmask_b32_e64 v32, 0, v32, s9
	s_delay_alu instid0(VALU_DEP_1)
	v_add_nc_u32_e32 v31, v31, v32
	ds_store_b32 v11, v31 offset:4096
.LBB52_8:                               ;   in Loop: Header=BB52_2 Depth=1
	s_or_b32 exec_lo, exec_lo, s10
	v_mov_b32_e32 v31, 0
	s_waitcnt lgkmcnt(0)
	s_barrier
	buffer_gl0_inv
	s_and_saveexec_b32 s10, s0
	s_cbranch_execz .LBB52_10
; %bb.9:                                ;   in Loop: Header=BB52_2 Depth=1
	ds_load_b32 v31, v12 offset:4092
.LBB52_10:                              ;   in Loop: Header=BB52_2 Depth=1
	s_or_b32 exec_lo, exec_lo, s10
	s_waitcnt lgkmcnt(0)
	v_add_nc_u32_e32 v1, v31, v1
	ds_load_b32 v32, v9 offset:4108
	s_mov_b32 s14, 0
	ds_bpermute_b32 v1, v13, v1
	s_waitcnt lgkmcnt(0)
	v_cndmask_b32_e64 v1, v1, v31, s1
	s_delay_alu instid0(VALU_DEP_1) | instskip(NEXT) | instid1(VALU_DEP_1)
	v_lshl_add_u32 v31, v32, 16, v1
	v_dual_mov_b32 v1, v30 :: v_dual_add_nc_u32 v6, v31, v6
	s_delay_alu instid0(VALU_DEP_1) | instskip(NEXT) | instid1(VALU_DEP_1)
	v_add_nc_u32_e32 v7, v6, v7
	v_add_nc_u32_e32 v4, v7, v4
	s_delay_alu instid0(VALU_DEP_1) | instskip(NEXT) | instid1(VALU_DEP_1)
	v_add_nc_u32_e32 v5, v4, v5
	v_add_nc_u32_e32 v2, v5, v2
	;; [unrolled: 3-line block ×3, first 2 shown]
	v_mov_b32_e32 v0, v11
	ds_store_2addr_b32 v10, v31, v6 offset1:1
	ds_store_2addr_b32 v10, v7, v4 offset0:2 offset1:3
	ds_store_2addr_b32 v10, v5, v2 offset0:4 offset1:5
	;; [unrolled: 1-line block ×3, first 2 shown]
	s_waitcnt lgkmcnt(0)
	s_barrier
	buffer_gl0_inv
.LBB52_11:                              ;   Parent Loop BB52_2 Depth=1
                                        ; =>  This Inner Loop Header: Depth=2
	v_add_nc_u32_e32 v1, 0x80, v1
	ds_store_b32 v0, v9
	v_add_nc_u32_e32 v0, 0x200, v0
	v_cmp_lt_u32_e64 s10, 0x37f, v1
	s_delay_alu instid0(VALU_DEP_1) | instskip(NEXT) | instid1(SALU_CYCLE_1)
	s_or_b32 s14, s10, s14
	s_and_not1_b32 exec_lo, exec_lo, s14
	s_cbranch_execnz .LBB52_11
; %bb.12:                               ;   in Loop: Header=BB52_2 Depth=1
	s_or_b32 exec_lo, exec_lo, s14
	ds_load_u16 v31, v14
	s_waitcnt lgkmcnt(0)
	v_add_nc_u16 v0, v31, 1
	ds_store_b16 v14, v0
	ds_load_u16 v32, v15
	s_waitcnt lgkmcnt(0)
	v_add_nc_u16 v0, v32, 1
	ds_store_b16 v15, v0
	ds_load_u16 v33, v16
	s_waitcnt lgkmcnt(0)
	v_add_nc_u16 v0, v33, 1
	ds_store_b16 v16, v0
	ds_load_u16 v34, v21
	s_waitcnt lgkmcnt(0)
	v_add_nc_u16 v0, v34, 1
	ds_store_b16 v21, v0
	ds_load_u16 v35, v17
	s_waitcnt lgkmcnt(0)
	v_add_nc_u16 v0, v35, 1
	ds_store_b16 v17, v0
	ds_load_u16 v36, v18
	s_waitcnt lgkmcnt(0)
	v_add_nc_u16 v0, v36, 1
	ds_store_b16 v18, v0
	ds_load_u16 v37, v19
	s_waitcnt lgkmcnt(0)
	v_add_nc_u16 v0, v37, 1
	ds_store_b16 v19, v0
	ds_load_u16 v38, v20
	s_waitcnt lgkmcnt(0)
	v_add_nc_u16 v0, v38, 1
	ds_store_b16 v20, v0
	s_waitcnt lgkmcnt(0)
	s_barrier
	buffer_gl0_inv
	ds_load_2addr_b32 v[6:7], v10 offset1:1
	ds_load_2addr_b32 v[4:5], v10 offset0:2 offset1:3
	ds_load_2addr_b32 v[2:3], v10 offset0:4 offset1:5
	;; [unrolled: 1-line block ×3, first 2 shown]
	s_waitcnt lgkmcnt(3)
	v_add_nc_u32_e32 v39, v7, v6
	s_waitcnt lgkmcnt(2)
	s_delay_alu instid0(VALU_DEP_1) | instskip(SKIP_1) | instid1(VALU_DEP_1)
	v_add3_u32 v39, v39, v4, v5
	s_waitcnt lgkmcnt(1)
	v_add3_u32 v39, v39, v2, v3
	s_waitcnt lgkmcnt(0)
	s_delay_alu instid0(VALU_DEP_1) | instskip(NEXT) | instid1(VALU_DEP_1)
	v_add3_u32 v1, v39, v0, v1
	v_mov_b32_dpp v39, v1 row_shr:1 row_mask:0xf bank_mask:0xf
	s_delay_alu instid0(VALU_DEP_1) | instskip(NEXT) | instid1(VALU_DEP_1)
	v_cndmask_b32_e64 v39, v39, 0, s2
	v_add_nc_u32_e32 v1, v39, v1
	s_delay_alu instid0(VALU_DEP_1) | instskip(NEXT) | instid1(VALU_DEP_1)
	v_mov_b32_dpp v39, v1 row_shr:2 row_mask:0xf bank_mask:0xf
	v_cndmask_b32_e64 v39, 0, v39, s3
	s_delay_alu instid0(VALU_DEP_1) | instskip(NEXT) | instid1(VALU_DEP_1)
	v_add_nc_u32_e32 v1, v1, v39
	v_mov_b32_dpp v39, v1 row_shr:4 row_mask:0xf bank_mask:0xf
	s_delay_alu instid0(VALU_DEP_1) | instskip(NEXT) | instid1(VALU_DEP_1)
	v_cndmask_b32_e64 v39, 0, v39, s4
	v_add_nc_u32_e32 v1, v1, v39
	s_delay_alu instid0(VALU_DEP_1) | instskip(NEXT) | instid1(VALU_DEP_1)
	v_mov_b32_dpp v39, v1 row_shr:8 row_mask:0xf bank_mask:0xf
	v_cndmask_b32_e64 v39, 0, v39, s5
	s_delay_alu instid0(VALU_DEP_1) | instskip(SKIP_3) | instid1(VALU_DEP_1)
	v_add_nc_u32_e32 v1, v1, v39
	ds_swizzle_b32 v39, v1 offset:swizzle(BROADCAST,32,15)
	s_waitcnt lgkmcnt(0)
	v_cndmask_b32_e64 v39, v39, 0, s6
	v_add_nc_u32_e32 v1, v1, v39
	s_and_saveexec_b32 s10, s7
	s_cbranch_execz .LBB52_14
; %bb.13:                               ;   in Loop: Header=BB52_2 Depth=1
	ds_store_b32 v12, v1 offset:4096
.LBB52_14:                              ;   in Loop: Header=BB52_2 Depth=1
	s_or_b32 exec_lo, exec_lo, s10
	s_waitcnt lgkmcnt(0)
	s_barrier
	buffer_gl0_inv
	s_and_saveexec_b32 s10, vcc_lo
	s_cbranch_execz .LBB52_16
; %bb.15:                               ;   in Loop: Header=BB52_2 Depth=1
	ds_load_b32 v39, v11 offset:4096
	s_waitcnt lgkmcnt(0)
	v_mov_b32_dpp v40, v39 row_shr:1 row_mask:0xf bank_mask:0xf
	s_delay_alu instid0(VALU_DEP_1) | instskip(NEXT) | instid1(VALU_DEP_1)
	v_cndmask_b32_e64 v40, v40, 0, s8
	v_add_nc_u32_e32 v39, v40, v39
	s_delay_alu instid0(VALU_DEP_1) | instskip(NEXT) | instid1(VALU_DEP_1)
	v_mov_b32_dpp v40, v39 row_shr:2 row_mask:0xf bank_mask:0xf
	v_cndmask_b32_e64 v40, 0, v40, s9
	s_delay_alu instid0(VALU_DEP_1)
	v_add_nc_u32_e32 v39, v39, v40
	ds_store_b32 v11, v39 offset:4096
.LBB52_16:                              ;   in Loop: Header=BB52_2 Depth=1
	s_or_b32 exec_lo, exec_lo, s10
	v_mov_b32_e32 v39, 0
	s_waitcnt lgkmcnt(0)
	s_barrier
	buffer_gl0_inv
	s_and_saveexec_b32 s10, s0
	s_cbranch_execz .LBB52_1
; %bb.17:                               ;   in Loop: Header=BB52_2 Depth=1
	ds_load_b32 v39, v12 offset:4092
	s_branch .LBB52_1
.LBB52_18:
	ds_load_u16 v0, v14
	ds_load_u16 v1, v15
	ds_load_u16 v2, v16
	ds_load_u16 v3, v21
	ds_load_u16 v4, v17
	ds_load_u16 v5, v18
	ds_load_u16 v6, v19
	ds_load_u16 v7, v20
	v_and_b32_e32 v9, 0xffff, v31
	v_and_b32_e32 v10, 0xffff, v32
	;; [unrolled: 1-line block ×8, first 2 shown]
	s_lshl_b64 s[0:1], s[12:13], 2
	v_lshlrev_b32_e32 v8, 2, v8
	s_add_u32 s0, s18, s0
	s_addc_u32 s1, s19, s1
	s_waitcnt lgkmcnt(7)
	v_add_nc_u32_e32 v0, v0, v9
	s_waitcnt lgkmcnt(6)
	v_add_nc_u32_e32 v1, v1, v10
	;; [unrolled: 2-line block ×8, first 2 shown]
	s_clause 0x1
	global_store_b128 v8, v[0:3], s[0:1]
	global_store_b128 v8, v[4:7], s[0:1] offset:16
	s_nop 0
	s_sendmsg sendmsg(MSG_DEALLOC_VGPRS)
	s_endpgm
	.section	.rodata,"a",@progbits
	.p2align	6, 0x0
	.amdhsa_kernel _Z11rank_kernelIhLj4ELb0EL18RadixRankAlgorithm1ELj128ELj8ELj10EEvPKT_Pi
		.amdhsa_group_segment_fixed_size 4112
		.amdhsa_private_segment_fixed_size 0
		.amdhsa_kernarg_size 16
		.amdhsa_user_sgpr_count 15
		.amdhsa_user_sgpr_dispatch_ptr 0
		.amdhsa_user_sgpr_queue_ptr 0
		.amdhsa_user_sgpr_kernarg_segment_ptr 1
		.amdhsa_user_sgpr_dispatch_id 0
		.amdhsa_user_sgpr_private_segment_size 0
		.amdhsa_wavefront_size32 1
		.amdhsa_uses_dynamic_stack 0
		.amdhsa_enable_private_segment 0
		.amdhsa_system_sgpr_workgroup_id_x 1
		.amdhsa_system_sgpr_workgroup_id_y 0
		.amdhsa_system_sgpr_workgroup_id_z 0
		.amdhsa_system_sgpr_workgroup_info 0
		.amdhsa_system_vgpr_workitem_id 0
		.amdhsa_next_free_vgpr 48
		.amdhsa_next_free_sgpr 20
		.amdhsa_reserve_vcc 1
		.amdhsa_float_round_mode_32 0
		.amdhsa_float_round_mode_16_64 0
		.amdhsa_float_denorm_mode_32 3
		.amdhsa_float_denorm_mode_16_64 3
		.amdhsa_dx10_clamp 1
		.amdhsa_ieee_mode 1
		.amdhsa_fp16_overflow 0
		.amdhsa_workgroup_processor_mode 1
		.amdhsa_memory_ordered 1
		.amdhsa_forward_progress 0
		.amdhsa_shared_vgpr_count 0
		.amdhsa_exception_fp_ieee_invalid_op 0
		.amdhsa_exception_fp_denorm_src 0
		.amdhsa_exception_fp_ieee_div_zero 0
		.amdhsa_exception_fp_ieee_overflow 0
		.amdhsa_exception_fp_ieee_underflow 0
		.amdhsa_exception_fp_ieee_inexact 0
		.amdhsa_exception_int_div_zero 0
	.end_amdhsa_kernel
	.section	.text._Z11rank_kernelIhLj4ELb0EL18RadixRankAlgorithm1ELj128ELj8ELj10EEvPKT_Pi,"axG",@progbits,_Z11rank_kernelIhLj4ELb0EL18RadixRankAlgorithm1ELj128ELj8ELj10EEvPKT_Pi,comdat
.Lfunc_end52:
	.size	_Z11rank_kernelIhLj4ELb0EL18RadixRankAlgorithm1ELj128ELj8ELj10EEvPKT_Pi, .Lfunc_end52-_Z11rank_kernelIhLj4ELb0EL18RadixRankAlgorithm1ELj128ELj8ELj10EEvPKT_Pi
                                        ; -- End function
	.section	.AMDGPU.csdata,"",@progbits
; Kernel info:
; codeLenInByte = 2628
; NumSgprs: 22
; NumVgprs: 48
; ScratchSize: 0
; MemoryBound: 0
; FloatMode: 240
; IeeeMode: 1
; LDSByteSize: 4112 bytes/workgroup (compile time only)
; SGPRBlocks: 2
; VGPRBlocks: 5
; NumSGPRsForWavesPerEU: 22
; NumVGPRsForWavesPerEU: 48
; Occupancy: 16
; WaveLimiterHint : 0
; COMPUTE_PGM_RSRC2:SCRATCH_EN: 0
; COMPUTE_PGM_RSRC2:USER_SGPR: 15
; COMPUTE_PGM_RSRC2:TRAP_HANDLER: 0
; COMPUTE_PGM_RSRC2:TGID_X_EN: 1
; COMPUTE_PGM_RSRC2:TGID_Y_EN: 0
; COMPUTE_PGM_RSRC2:TGID_Z_EN: 0
; COMPUTE_PGM_RSRC2:TIDIG_COMP_CNT: 0
	.section	.text._Z11rank_kernelIhLj4ELb0EL18RadixRankAlgorithm2ELj128ELj8ELj10EEvPKT_Pi,"axG",@progbits,_Z11rank_kernelIhLj4ELb0EL18RadixRankAlgorithm2ELj128ELj8ELj10EEvPKT_Pi,comdat
	.protected	_Z11rank_kernelIhLj4ELb0EL18RadixRankAlgorithm2ELj128ELj8ELj10EEvPKT_Pi ; -- Begin function _Z11rank_kernelIhLj4ELb0EL18RadixRankAlgorithm2ELj128ELj8ELj10EEvPKT_Pi
	.globl	_Z11rank_kernelIhLj4ELb0EL18RadixRankAlgorithm2ELj128ELj8ELj10EEvPKT_Pi
	.p2align	8
	.type	_Z11rank_kernelIhLj4ELb0EL18RadixRankAlgorithm2ELj128ELj8ELj10EEvPKT_Pi,@function
_Z11rank_kernelIhLj4ELb0EL18RadixRankAlgorithm2ELj128ELj8ELj10EEvPKT_Pi: ; @_Z11rank_kernelIhLj4ELb0EL18RadixRankAlgorithm2ELj128ELj8ELj10EEvPKT_Pi
; %bb.0:
	s_clause 0x1
	s_load_b128 s[60:63], s[0:1], 0x0
	s_load_b32 s7, s[0:1], 0x1c
	v_and_b32_e32 v4, 0x3ff, v0
	s_lshl_b32 s64, s15, 10
	v_mbcnt_lo_u32_b32 v3, -1, 0
	v_mov_b32_e32 v2, 0
	v_bfe_u32 v5, v0, 10, 10
	v_lshlrev_b32_e32 v1, 3, v4
	v_bfe_u32 v8, v0, 20, 10
	v_and_b32_e32 v9, 15, v3
	v_and_b32_e32 v10, 16, v3
	v_add_nc_u32_e32 v11, -1, v3
	v_and_b32_e32 v12, 3, v3
	v_lshrrev_b32_e32 v13, 3, v4
	v_cmp_lt_u32_e64 s2, 3, v9
	v_cmp_lt_u32_e64 s3, 7, v9
	v_cmp_eq_u32_e64 s4, 0, v10
	v_or_b32_e32 v10, 31, v4
	v_cmp_eq_u32_e32 vcc_lo, 0, v3
	v_cmp_lt_u32_e64 s8, 1, v12
	s_waitcnt lgkmcnt(0)
	s_add_u32 s0, s60, s64
	s_addc_u32 s1, s61, 0
	s_lshr_b32 s6, s7, 16
	global_load_b64 v[6:7], v1, s[0:1]
	v_mad_u32_u24 v5, v8, s6, v5
	s_and_b32 s7, s7, 0xffff
	v_cmp_eq_u32_e64 s0, 0, v9
	v_cmp_lt_u32_e64 s1, 1, v9
	v_cmp_eq_u32_e64 s9, v10, v4
	v_mad_u64_u32 v[8:9], null, v5, s7, v[4:5]
	v_cmp_gt_i32_e64 s7, 0, v11
	v_lshlrev_b32_e32 v0, 2, v4
	v_cmp_gt_u32_e64 s5, 4, v4
	v_cmp_lt_u32_e64 s6, 31, v4
	s_mov_b32 s81, 10
	v_cndmask_b32_e64 v5, v11, v3, s7
	v_and_b32_e32 v3, 12, v13
	v_cmp_eq_u32_e64 s7, 0, v12
	v_lshrrev_b32_e32 v44, 5, v8
	s_mov_b32 s65, 0
	v_lshlrev_b32_e32 v4, 2, v5
	v_add_nc_u32_e32 v5, -4, v3
	s_waitcnt vmcnt(0)
	v_lshrrev_b32_e32 v8, 8, v6
	v_lshrrev_b32_e32 v9, 16, v6
	;; [unrolled: 1-line block ×7, first 2 shown]
	v_and_b32_e32 v11, 15, v6
	v_and_b32_e32 v15, 1, v6
	v_lshlrev_b32_e32 v16, 30, v6
	v_lshlrev_b32_e32 v17, 29, v6
	;; [unrolled: 1-line block ×3, first 2 shown]
	v_bfe_u32 v19, v6, 8, 4
	v_bfe_u32 v21, v6, 8, 1
	;; [unrolled: 1-line block ×5, first 2 shown]
	v_and_b32_e32 v26, 15, v7
	v_lshlrev_b32_e32 v28, 30, v7
	v_lshlrev_b32_e32 v29, 29, v7
	;; [unrolled: 1-line block ×3, first 2 shown]
	v_bfe_u32 v31, v7, 8, 4
	v_bfe_u32 v33, v7, 16, 4
	;; [unrolled: 1-line block ×3, first 2 shown]
	v_lshrrev_b32_e32 v37, 4, v6
	v_bfe_u32 v38, v6, 4, 4
	v_bfe_u32 v39, v6, 4, 1
	v_lshrrev_b32_e32 v40, 12, v6
	v_bfe_u32 v41, v6, 12, 4
	v_bfe_u32 v42, v6, 12, 1
	v_lshrrev_b32_e32 v43, 20, v6
	v_bfe_u32 v46, v6, 20, 1
	v_lshrrev_b32_e32 v47, 28, v6
	v_bfe_u32 v48, v6, 28, 1
	v_and_b32_e32 v49, 0xf0000000, v6
	v_not_b32_e32 v50, v6
	v_lshrrev_b32_e32 v51, 4, v7
	v_bfe_u32 v52, v7, 4, 4
	v_bfe_u32 v53, v7, 4, 1
	v_lshrrev_b32_e32 v54, 12, v7
	v_bfe_u32 v55, v7, 12, 4
	v_bfe_u32 v56, v7, 12, 1
	v_lshrrev_b32_e32 v57, 20, v7
	v_bfe_u32 v59, v7, 20, 1
	v_bfe_u32 v60, v7, 28, 1
	v_bfe_u32 v25, v6, 24, 1
	v_and_b32_e32 v27, 1, v7
	v_bfe_u32 v32, v7, 8, 1
	v_bfe_u32 v34, v7, 16, 1
	v_bfe_u32 v36, v7, 24, 1
	v_bfe_u32 v45, v6, 20, 4
	v_bfe_u32 v58, v7, 20, 4
	v_and_b32_e32 v61, 0xf0000000, v7
	v_not_b32_e32 v85, v7
	v_mul_u32_u24_e32 v62, 5, v20
	v_add_co_u32 v6, s61, v15, -1
	v_cmp_gt_i32_e64 s10, 0, v16
	v_not_b32_e32 v63, v16
	v_cmp_gt_i32_e64 s11, 0, v17
	v_not_b32_e32 v64, v17
	;; [unrolled: 2-line block ×3, first 2 shown]
	v_mul_u32_u24_e32 v66, 5, v11
	v_mul_u32_u24_e32 v67, 5, v19
	v_add_co_u32 v7, s66, v21, -1
	v_lshlrev_b32_e32 v68, 30, v8
	v_lshlrev_b32_e32 v69, 29, v8
	;; [unrolled: 1-line block ×3, first 2 shown]
	v_mul_u32_u24_e32 v71, 5, v22
	v_add_co_u32 v8, s67, v23, -1
	v_lshlrev_b32_e32 v72, 30, v9
	v_lshlrev_b32_e32 v73, 29, v9
	;; [unrolled: 1-line block ×3, first 2 shown]
	v_mul_u32_u24_e32 v75, 5, v24
	v_lshlrev_b32_e32 v76, 30, v10
	v_lshlrev_b32_e32 v77, 29, v10
	;; [unrolled: 1-line block ×3, first 2 shown]
	v_mul_u32_u24_e32 v79, 5, v26
	v_not_b32_e32 v80, v28
	v_not_b32_e32 v81, v29
	;; [unrolled: 1-line block ×3, first 2 shown]
	v_mul_u32_u24_e32 v83, 5, v31
	v_lshlrev_b32_e32 v84, 30, v12
	v_lshlrev_b32_e32 v86, 29, v12
	v_lshlrev_b32_e32 v87, 28, v12
	v_mul_u32_u24_e32 v88, 5, v33
	v_lshlrev_b32_e32 v89, 30, v13
	v_lshlrev_b32_e32 v90, 29, v13
	v_lshlrev_b32_e32 v91, 28, v13
	;; [unrolled: 4-line block ×3, first 2 shown]
	v_mul_u32_u24_e32 v96, 5, v38
	v_add_co_u32 v14, s73, v39, -1
	v_lshlrev_b32_e32 v39, 30, v37
	v_lshlrev_b32_e32 v97, 29, v37
	;; [unrolled: 1-line block ×3, first 2 shown]
	v_mul_u32_u24_e32 v41, 5, v41
	v_add_co_u32 v15, s74, v42, -1
	v_lshlrev_b32_e32 v42, 30, v40
	v_lshlrev_b32_e32 v99, 29, v40
	;; [unrolled: 1-line block ×3, first 2 shown]
	v_add_co_u32 v16, s75, v46, -1
	v_lshlrev_b32_e32 v46, 30, v43
	v_lshlrev_b32_e32 v100, 29, v43
	;; [unrolled: 1-line block ×3, first 2 shown]
	v_mul_u32_u24_e32 v101, 5, v47
	v_add_co_u32 v17, s76, v48, -1
	v_lshlrev_b32_e32 v48, 30, v47
	v_lshlrev_b32_e32 v47, 29, v47
	v_cmp_gt_i32_e64 s16, 0, v49
	v_ashrrev_i32_e32 v18, 31, v50
	v_mul_u32_u24_e32 v49, 5, v52
	v_add_co_u32 v19, s77, v53, -1
	v_lshlrev_b32_e32 v50, 30, v51
	v_lshlrev_b32_e32 v52, 29, v51
	;; [unrolled: 1-line block ×3, first 2 shown]
	v_mul_u32_u24_e32 v53, 5, v55
	v_add_co_u32 v21, s78, v56, -1
	v_lshlrev_b32_e32 v55, 30, v54
	v_lshlrev_b32_e32 v56, 29, v54
	;; [unrolled: 1-line block ×3, first 2 shown]
	v_add_co_u32 v22, s79, v59, -1
	v_lshlrev_b32_e32 v59, 30, v57
	v_lshlrev_b32_e32 v102, 29, v57
	;; [unrolled: 1-line block ×3, first 2 shown]
	v_add_co_u32 v23, s80, v60, -1
	v_lshlrev_b32_e32 v60, 30, v20
	v_lshlrev_b32_e32 v103, 29, v20
	v_add_co_u32 v9, s68, v25, -1
	v_add_co_u32 v10, s69, v27, -1
	v_cmp_gt_i32_e64 s13, 0, v28
	v_cmp_gt_i32_e64 s14, 0, v29
	;; [unrolled: 1-line block ×3, first 2 shown]
	v_add_co_u32 v11, s70, v32, -1
	v_add_co_u32 v12, s71, v34, -1
	;; [unrolled: 1-line block ×3, first 2 shown]
	v_mul_u32_u24_e32 v45, 5, v45
	v_mul_u32_u24_e32 v58, 5, v58
	v_cmp_gt_i32_e64 s17, 0, v61
	v_add_lshl_u32 v20, v44, v62, 2
	v_ashrrev_i32_e32 v24, 31, v63
	v_ashrrev_i32_e32 v25, 31, v64
	;; [unrolled: 1-line block ×3, first 2 shown]
	v_add_lshl_u32 v27, v44, v66, 2
	v_add_lshl_u32 v28, v44, v67, 2
	v_cmp_gt_i32_e64 s18, 0, v68
	v_not_b32_e32 v61, v68
	v_cmp_gt_i32_e64 s19, 0, v69
	v_not_b32_e32 v62, v69
	v_cmp_gt_i32_e64 s20, 0, v70
	v_not_b32_e32 v63, v70
	v_add_lshl_u32 v29, v44, v71, 2
	v_cmp_gt_i32_e64 s21, 0, v72
	v_not_b32_e32 v64, v72
	v_cmp_gt_i32_e64 s22, 0, v73
	v_not_b32_e32 v65, v73
	v_cmp_gt_i32_e64 s23, 0, v74
	v_not_b32_e32 v66, v74
	;; [unrolled: 7-line block ×3, first 2 shown]
	v_add_lshl_u32 v31, v44, v79, 2
	v_ashrrev_i32_e32 v32, 31, v80
	v_ashrrev_i32_e32 v33, 31, v81
	;; [unrolled: 1-line block ×3, first 2 shown]
	v_add_lshl_u32 v35, v44, v83, 2
	v_cmp_gt_i32_e64 s27, 0, v84
	v_not_b32_e32 v70, v84
	v_cmp_gt_i32_e64 s28, 0, v86
	v_not_b32_e32 v71, v86
	v_cmp_gt_i32_e64 s29, 0, v87
	v_not_b32_e32 v72, v87
	v_add_lshl_u32 v36, v44, v88, 2
	v_cmp_gt_i32_e64 s30, 0, v89
	v_not_b32_e32 v73, v89
	v_cmp_gt_i32_e64 s31, 0, v90
	v_not_b32_e32 v74, v90
	v_cmp_gt_i32_e64 s33, 0, v91
	v_not_b32_e32 v75, v91
	;; [unrolled: 7-line block ×4, first 2 shown]
	v_add_lshl_u32 v39, v44, v41, 2
	v_not_b32_e32 v82, v42
	v_cmp_gt_i32_e64 s41, 0, v99
	v_not_b32_e32 v83, v99
	v_not_b32_e32 v84, v40
	;; [unrolled: 1-line block ×3, first 2 shown]
	v_cmp_gt_i32_e64 s44, 0, v100
	v_not_b32_e32 v87, v100
	v_not_b32_e32 v88, v43
	v_add_lshl_u32 v41, v44, v101, 2
	v_not_b32_e32 v89, v48
	v_not_b32_e32 v90, v47
	;; [unrolled: 1-line block ×13, first 2 shown]
	v_cmp_gt_i32_e64 s40, 0, v42
	v_cmp_gt_i32_e64 s42, 0, v40
	v_add_lshl_u32 v40, v44, v45, 2
	v_cmp_gt_i32_e64 s43, 0, v46
	v_cmp_gt_i32_e64 s45, 0, v43
	;; [unrolled: 1-line block ×4, first 2 shown]
	v_add_lshl_u32 v42, v44, v49, 2
	v_cmp_gt_i32_e64 s48, 0, v50
	v_cmp_gt_i32_e64 s49, 0, v52
	v_cmp_gt_i32_e64 s50, 0, v51
	v_add_lshl_u32 v43, v44, v53, 2
	v_cmp_gt_i32_e64 s51, 0, v55
	v_cmp_gt_i32_e64 s52, 0, v56
	v_cmp_gt_i32_e64 s53, 0, v54
	;; [unrolled: 4-line block ×3, first 2 shown]
	v_cmp_gt_i32_e64 s57, 0, v60
	v_cmp_gt_i32_e64 s58, 0, v103
	v_ashrrev_i32_e32 v45, 31, v61
	v_ashrrev_i32_e32 v46, 31, v62
	;; [unrolled: 1-line block ×41, first 2 shown]
	s_branch .LBB53_2
.LBB53_1:                               ;   in Loop: Header=BB53_2 Depth=1
	s_or_b32 exec_lo, exec_lo, s59
	s_waitcnt lgkmcnt(0)
	v_add_nc_u32_e32 v101, v102, v101
	s_add_i32 s81, s81, -1
	s_delay_alu instid0(SALU_CYCLE_1)
	s_cmp_eq_u32 s81, 0
	ds_bpermute_b32 v101, v4, v101
	s_waitcnt lgkmcnt(0)
	v_cndmask_b32_e32 v101, v101, v102, vcc_lo
	ds_store_b32 v0, v101 offset:16
	s_waitcnt lgkmcnt(0)
	s_barrier
	buffer_gl0_inv
	s_cbranch_scc1 .LBB53_46
.LBB53_2:                               ; =>This Inner Loop Header: Depth=1
	v_cndmask_b32_e64 v86, 0, 1, s61
	v_cndmask_b32_e64 v87, 0, 1, s10
	;; [unrolled: 1-line block ×3, first 2 shown]
	ds_store_b32 v0, v2 offset:16
	s_waitcnt lgkmcnt(0)
	v_cmp_ne_u32_e64 s59, 0, v86
	v_cndmask_b32_e64 v86, 0, 1, s11
	v_cmp_ne_u32_e64 s60, 0, v87
	s_barrier
	buffer_gl0_inv
	v_xor_b32_e32 v87, s59, v6
	v_cmp_ne_u32_e64 s59, 0, v86
	v_xor_b32_e32 v86, s60, v24
	v_cmp_ne_u32_e64 s60, 0, v88
	s_delay_alu instid0(VALU_DEP_4) | instskip(NEXT) | instid1(VALU_DEP_4)
	v_and_b32_e32 v87, exec_lo, v87
	v_xor_b32_e32 v88, s59, v25
	; wave barrier
	s_delay_alu instid0(VALU_DEP_2) | instskip(NEXT) | instid1(VALU_DEP_4)
	v_and_b32_e32 v86, v87, v86
	v_xor_b32_e32 v87, s60, v26
	s_delay_alu instid0(VALU_DEP_2) | instskip(NEXT) | instid1(VALU_DEP_1)
	v_and_b32_e32 v86, v86, v88
	v_and_b32_e32 v86, v86, v87
	s_delay_alu instid0(VALU_DEP_1) | instskip(SKIP_1) | instid1(VALU_DEP_2)
	v_mbcnt_lo_u32_b32 v87, v86, 0
	v_cmp_ne_u32_e64 s60, 0, v86
	v_cmp_eq_u32_e64 s59, 0, v87
	s_delay_alu instid0(VALU_DEP_1) | instskip(NEXT) | instid1(SALU_CYCLE_1)
	s_and_b32 s60, s60, s59
	s_and_saveexec_b32 s59, s60
	s_cbranch_execz .LBB53_4
; %bb.3:                                ;   in Loop: Header=BB53_2 Depth=1
	v_bcnt_u32_b32 v86, v86, 0
	ds_store_b32 v27, v86 offset:16
.LBB53_4:                               ;   in Loop: Header=BB53_2 Depth=1
	s_or_b32 exec_lo, exec_lo, s59
	v_cndmask_b32_e64 v86, 0, 1, s66
	v_cndmask_b32_e64 v87, 0, 1, s18
	;; [unrolled: 1-line block ×3, first 2 shown]
	; wave barrier
	s_delay_alu instid0(VALU_DEP_3) | instskip(SKIP_1) | instid1(VALU_DEP_4)
	v_cmp_ne_u32_e64 s59, 0, v86
	v_cndmask_b32_e64 v86, 0, 1, s19
	v_cmp_ne_u32_e64 s60, 0, v87
	s_delay_alu instid0(VALU_DEP_3) | instskip(NEXT) | instid1(VALU_DEP_3)
	v_xor_b32_e32 v87, s59, v7
	v_cmp_ne_u32_e64 s59, 0, v86
	s_delay_alu instid0(VALU_DEP_3) | instskip(SKIP_1) | instid1(VALU_DEP_4)
	v_xor_b32_e32 v86, s60, v45
	v_cmp_ne_u32_e64 s60, 0, v88
	v_and_b32_e32 v87, exec_lo, v87
	s_delay_alu instid0(VALU_DEP_4) | instskip(NEXT) | instid1(VALU_DEP_2)
	v_xor_b32_e32 v88, s59, v46
	v_and_b32_e32 v86, v87, v86
	s_delay_alu instid0(VALU_DEP_4) | instskip(NEXT) | instid1(VALU_DEP_2)
	v_xor_b32_e32 v87, s60, v47
	v_and_b32_e32 v88, v86, v88
	ds_load_b32 v86, v28 offset:16
	; wave barrier
	v_and_b32_e32 v87, v88, v87
	s_delay_alu instid0(VALU_DEP_1) | instskip(SKIP_1) | instid1(VALU_DEP_2)
	v_mbcnt_lo_u32_b32 v88, v87, 0
	v_cmp_ne_u32_e64 s60, 0, v87
	v_cmp_eq_u32_e64 s59, 0, v88
	s_delay_alu instid0(VALU_DEP_1) | instskip(NEXT) | instid1(SALU_CYCLE_1)
	s_and_b32 s60, s60, s59
	s_and_saveexec_b32 s59, s60
	s_cbranch_execz .LBB53_6
; %bb.5:                                ;   in Loop: Header=BB53_2 Depth=1
	s_waitcnt lgkmcnt(0)
	v_bcnt_u32_b32 v86, v87, v86
	ds_store_b32 v28, v86 offset:16
.LBB53_6:                               ;   in Loop: Header=BB53_2 Depth=1
	s_or_b32 exec_lo, exec_lo, s59
	s_waitcnt lgkmcnt(0)
	v_cndmask_b32_e64 v86, 0, 1, s67
	v_cndmask_b32_e64 v87, 0, 1, s21
	;; [unrolled: 1-line block ×3, first 2 shown]
	; wave barrier
	s_delay_alu instid0(VALU_DEP_3) | instskip(SKIP_1) | instid1(VALU_DEP_4)
	v_cmp_ne_u32_e64 s59, 0, v86
	v_cndmask_b32_e64 v86, 0, 1, s22
	v_cmp_ne_u32_e64 s60, 0, v87
	s_delay_alu instid0(VALU_DEP_3) | instskip(NEXT) | instid1(VALU_DEP_3)
	v_xor_b32_e32 v87, s59, v8
	v_cmp_ne_u32_e64 s59, 0, v86
	s_delay_alu instid0(VALU_DEP_3) | instskip(SKIP_1) | instid1(VALU_DEP_4)
	v_xor_b32_e32 v86, s60, v48
	v_cmp_ne_u32_e64 s60, 0, v88
	v_and_b32_e32 v87, exec_lo, v87
	s_delay_alu instid0(VALU_DEP_4) | instskip(NEXT) | instid1(VALU_DEP_2)
	v_xor_b32_e32 v88, s59, v49
	v_and_b32_e32 v86, v87, v86
	s_delay_alu instid0(VALU_DEP_4) | instskip(NEXT) | instid1(VALU_DEP_2)
	v_xor_b32_e32 v87, s60, v50
	v_and_b32_e32 v88, v86, v88
	ds_load_b32 v86, v29 offset:16
	; wave barrier
	v_and_b32_e32 v87, v88, v87
	s_delay_alu instid0(VALU_DEP_1) | instskip(SKIP_1) | instid1(VALU_DEP_2)
	v_mbcnt_lo_u32_b32 v88, v87, 0
	v_cmp_ne_u32_e64 s60, 0, v87
	v_cmp_eq_u32_e64 s59, 0, v88
	s_delay_alu instid0(VALU_DEP_1) | instskip(NEXT) | instid1(SALU_CYCLE_1)
	s_and_b32 s60, s60, s59
	s_and_saveexec_b32 s59, s60
	s_cbranch_execz .LBB53_8
; %bb.7:                                ;   in Loop: Header=BB53_2 Depth=1
	s_waitcnt lgkmcnt(0)
	v_bcnt_u32_b32 v86, v87, v86
	ds_store_b32 v29, v86 offset:16
.LBB53_8:                               ;   in Loop: Header=BB53_2 Depth=1
	s_or_b32 exec_lo, exec_lo, s59
	s_waitcnt lgkmcnt(0)
	v_cndmask_b32_e64 v86, 0, 1, s68
	v_cndmask_b32_e64 v87, 0, 1, s24
	;; [unrolled: 1-line block ×3, first 2 shown]
	; wave barrier
	s_delay_alu instid0(VALU_DEP_3) | instskip(SKIP_1) | instid1(VALU_DEP_4)
	v_cmp_ne_u32_e64 s59, 0, v86
	v_cndmask_b32_e64 v86, 0, 1, s25
	v_cmp_ne_u32_e64 s60, 0, v87
	s_delay_alu instid0(VALU_DEP_3) | instskip(NEXT) | instid1(VALU_DEP_3)
	v_xor_b32_e32 v87, s59, v9
	v_cmp_ne_u32_e64 s59, 0, v86
	s_delay_alu instid0(VALU_DEP_3) | instskip(SKIP_1) | instid1(VALU_DEP_4)
	v_xor_b32_e32 v86, s60, v51
	v_cmp_ne_u32_e64 s60, 0, v88
	v_and_b32_e32 v87, exec_lo, v87
	s_delay_alu instid0(VALU_DEP_4) | instskip(NEXT) | instid1(VALU_DEP_2)
	v_xor_b32_e32 v88, s59, v52
	v_and_b32_e32 v86, v87, v86
	s_delay_alu instid0(VALU_DEP_4) | instskip(NEXT) | instid1(VALU_DEP_2)
	v_xor_b32_e32 v87, s60, v53
	v_and_b32_e32 v88, v86, v88
	ds_load_b32 v86, v30 offset:16
	; wave barrier
	v_and_b32_e32 v87, v88, v87
	s_delay_alu instid0(VALU_DEP_1) | instskip(SKIP_1) | instid1(VALU_DEP_2)
	v_mbcnt_lo_u32_b32 v88, v87, 0
	v_cmp_ne_u32_e64 s60, 0, v87
	v_cmp_eq_u32_e64 s59, 0, v88
	s_delay_alu instid0(VALU_DEP_1) | instskip(NEXT) | instid1(SALU_CYCLE_1)
	s_and_b32 s60, s60, s59
	s_and_saveexec_b32 s59, s60
	s_cbranch_execz .LBB53_10
; %bb.9:                                ;   in Loop: Header=BB53_2 Depth=1
	s_waitcnt lgkmcnt(0)
	v_bcnt_u32_b32 v86, v87, v86
	ds_store_b32 v30, v86 offset:16
.LBB53_10:                              ;   in Loop: Header=BB53_2 Depth=1
	s_or_b32 exec_lo, exec_lo, s59
	s_waitcnt lgkmcnt(0)
	v_cndmask_b32_e64 v86, 0, 1, s69
	v_cndmask_b32_e64 v87, 0, 1, s13
	v_cndmask_b32_e64 v88, 0, 1, s15
	; wave barrier
	s_delay_alu instid0(VALU_DEP_3) | instskip(SKIP_1) | instid1(VALU_DEP_4)
	v_cmp_ne_u32_e64 s59, 0, v86
	v_cndmask_b32_e64 v86, 0, 1, s14
	v_cmp_ne_u32_e64 s60, 0, v87
	s_delay_alu instid0(VALU_DEP_3) | instskip(NEXT) | instid1(VALU_DEP_3)
	v_xor_b32_e32 v87, s59, v10
	v_cmp_ne_u32_e64 s59, 0, v86
	s_delay_alu instid0(VALU_DEP_3) | instskip(SKIP_1) | instid1(VALU_DEP_4)
	v_xor_b32_e32 v86, s60, v32
	v_cmp_ne_u32_e64 s60, 0, v88
	v_and_b32_e32 v87, exec_lo, v87
	s_delay_alu instid0(VALU_DEP_4) | instskip(NEXT) | instid1(VALU_DEP_2)
	v_xor_b32_e32 v88, s59, v33
	v_and_b32_e32 v86, v87, v86
	s_delay_alu instid0(VALU_DEP_4) | instskip(NEXT) | instid1(VALU_DEP_2)
	v_xor_b32_e32 v87, s60, v34
	v_and_b32_e32 v88, v86, v88
	ds_load_b32 v86, v31 offset:16
	; wave barrier
	v_and_b32_e32 v87, v88, v87
	s_delay_alu instid0(VALU_DEP_1) | instskip(SKIP_1) | instid1(VALU_DEP_2)
	v_mbcnt_lo_u32_b32 v88, v87, 0
	v_cmp_ne_u32_e64 s60, 0, v87
	v_cmp_eq_u32_e64 s59, 0, v88
	s_delay_alu instid0(VALU_DEP_1) | instskip(NEXT) | instid1(SALU_CYCLE_1)
	s_and_b32 s60, s60, s59
	s_and_saveexec_b32 s59, s60
	s_cbranch_execz .LBB53_12
; %bb.11:                               ;   in Loop: Header=BB53_2 Depth=1
	s_waitcnt lgkmcnt(0)
	v_bcnt_u32_b32 v86, v87, v86
	ds_store_b32 v31, v86 offset:16
.LBB53_12:                              ;   in Loop: Header=BB53_2 Depth=1
	s_or_b32 exec_lo, exec_lo, s59
	s_waitcnt lgkmcnt(0)
	v_cndmask_b32_e64 v86, 0, 1, s70
	v_cndmask_b32_e64 v87, 0, 1, s27
	v_cndmask_b32_e64 v88, 0, 1, s29
	; wave barrier
	s_delay_alu instid0(VALU_DEP_3) | instskip(SKIP_1) | instid1(VALU_DEP_4)
	v_cmp_ne_u32_e64 s59, 0, v86
	v_cndmask_b32_e64 v86, 0, 1, s28
	v_cmp_ne_u32_e64 s60, 0, v87
	s_delay_alu instid0(VALU_DEP_3) | instskip(NEXT) | instid1(VALU_DEP_3)
	v_xor_b32_e32 v87, s59, v11
	v_cmp_ne_u32_e64 s59, 0, v86
	s_delay_alu instid0(VALU_DEP_3) | instskip(SKIP_1) | instid1(VALU_DEP_4)
	v_xor_b32_e32 v86, s60, v54
	v_cmp_ne_u32_e64 s60, 0, v88
	v_and_b32_e32 v87, exec_lo, v87
	s_delay_alu instid0(VALU_DEP_4) | instskip(NEXT) | instid1(VALU_DEP_2)
	v_xor_b32_e32 v88, s59, v55
	v_and_b32_e32 v86, v87, v86
	s_delay_alu instid0(VALU_DEP_4) | instskip(NEXT) | instid1(VALU_DEP_2)
	v_xor_b32_e32 v87, s60, v56
	v_and_b32_e32 v88, v86, v88
	ds_load_b32 v86, v35 offset:16
	; wave barrier
	v_and_b32_e32 v87, v88, v87
	s_delay_alu instid0(VALU_DEP_1) | instskip(SKIP_1) | instid1(VALU_DEP_2)
	v_mbcnt_lo_u32_b32 v88, v87, 0
	v_cmp_ne_u32_e64 s60, 0, v87
	v_cmp_eq_u32_e64 s59, 0, v88
	s_delay_alu instid0(VALU_DEP_1) | instskip(NEXT) | instid1(SALU_CYCLE_1)
	s_and_b32 s60, s60, s59
	s_and_saveexec_b32 s59, s60
	s_cbranch_execz .LBB53_14
; %bb.13:                               ;   in Loop: Header=BB53_2 Depth=1
	s_waitcnt lgkmcnt(0)
	v_bcnt_u32_b32 v86, v87, v86
	ds_store_b32 v35, v86 offset:16
.LBB53_14:                              ;   in Loop: Header=BB53_2 Depth=1
	;; [unrolled: 39-line block ×4, first 2 shown]
	s_or_b32 exec_lo, exec_lo, s59
	; wave barrier
	s_waitcnt lgkmcnt(0)
	s_barrier
	buffer_gl0_inv
	ds_load_b32 v86, v0 offset:16
	s_waitcnt lgkmcnt(0)
	v_mov_b32_dpp v87, v86 row_shr:1 row_mask:0xf bank_mask:0xf
	s_delay_alu instid0(VALU_DEP_1) | instskip(NEXT) | instid1(VALU_DEP_1)
	v_cndmask_b32_e64 v87, v87, 0, s0
	v_add_nc_u32_e32 v86, v87, v86
	s_delay_alu instid0(VALU_DEP_1) | instskip(NEXT) | instid1(VALU_DEP_1)
	v_mov_b32_dpp v87, v86 row_shr:2 row_mask:0xf bank_mask:0xf
	v_cndmask_b32_e64 v87, 0, v87, s1
	s_delay_alu instid0(VALU_DEP_1) | instskip(NEXT) | instid1(VALU_DEP_1)
	v_add_nc_u32_e32 v86, v86, v87
	v_mov_b32_dpp v87, v86 row_shr:4 row_mask:0xf bank_mask:0xf
	s_delay_alu instid0(VALU_DEP_1) | instskip(NEXT) | instid1(VALU_DEP_1)
	v_cndmask_b32_e64 v87, 0, v87, s2
	v_add_nc_u32_e32 v86, v86, v87
	s_delay_alu instid0(VALU_DEP_1) | instskip(NEXT) | instid1(VALU_DEP_1)
	v_mov_b32_dpp v87, v86 row_shr:8 row_mask:0xf bank_mask:0xf
	v_cndmask_b32_e64 v87, 0, v87, s3
	s_delay_alu instid0(VALU_DEP_1) | instskip(SKIP_3) | instid1(VALU_DEP_1)
	v_add_nc_u32_e32 v86, v86, v87
	ds_swizzle_b32 v87, v86 offset:swizzle(BROADCAST,32,15)
	s_waitcnt lgkmcnt(0)
	v_cndmask_b32_e64 v87, v87, 0, s4
	v_add_nc_u32_e32 v86, v86, v87
	s_and_saveexec_b32 s59, s9
	s_delay_alu instid0(SALU_CYCLE_1)
	s_xor_b32 s59, exec_lo, s59
	s_cbranch_execz .LBB53_20
; %bb.19:                               ;   in Loop: Header=BB53_2 Depth=1
	ds_store_b32 v3, v86
.LBB53_20:                              ;   in Loop: Header=BB53_2 Depth=1
	s_or_b32 exec_lo, exec_lo, s59
	s_waitcnt lgkmcnt(0)
	s_barrier
	buffer_gl0_inv
	s_and_saveexec_b32 s59, s5
	s_cbranch_execz .LBB53_22
; %bb.21:                               ;   in Loop: Header=BB53_2 Depth=1
	ds_load_b32 v87, v0
	s_waitcnt lgkmcnt(0)
	v_mov_b32_dpp v88, v87 row_shr:1 row_mask:0xf bank_mask:0xf
	s_delay_alu instid0(VALU_DEP_1) | instskip(NEXT) | instid1(VALU_DEP_1)
	v_cndmask_b32_e64 v88, v88, 0, s7
	v_add_nc_u32_e32 v87, v88, v87
	s_delay_alu instid0(VALU_DEP_1) | instskip(NEXT) | instid1(VALU_DEP_1)
	v_mov_b32_dpp v88, v87 row_shr:2 row_mask:0xf bank_mask:0xf
	v_cndmask_b32_e64 v88, 0, v88, s8
	s_delay_alu instid0(VALU_DEP_1)
	v_add_nc_u32_e32 v87, v87, v88
	ds_store_b32 v0, v87
.LBB53_22:                              ;   in Loop: Header=BB53_2 Depth=1
	s_or_b32 exec_lo, exec_lo, s59
	v_mov_b32_e32 v87, 0
	s_waitcnt lgkmcnt(0)
	s_barrier
	buffer_gl0_inv
	s_and_saveexec_b32 s59, s6
	s_cbranch_execz .LBB53_24
; %bb.23:                               ;   in Loop: Header=BB53_2 Depth=1
	ds_load_b32 v87, v5
.LBB53_24:                              ;   in Loop: Header=BB53_2 Depth=1
	s_or_b32 exec_lo, exec_lo, s59
	s_waitcnt lgkmcnt(0)
	v_add_nc_u32_e32 v86, v87, v86
	v_cndmask_b32_e64 v88, 0, 1, s73
	v_cndmask_b32_e64 v89, 0, 1, s37
	;; [unrolled: 1-line block ×3, first 2 shown]
	ds_bpermute_b32 v86, v4, v86
	v_cmp_ne_u32_e64 s59, 0, v88
	v_cndmask_b32_e64 v88, 0, 1, s38
	v_cmp_ne_u32_e64 s60, 0, v89
	s_delay_alu instid0(VALU_DEP_3) | instskip(NEXT) | instid1(VALU_DEP_3)
	v_xor_b32_e32 v89, s59, v14
	v_cmp_ne_u32_e64 s59, 0, v88
	s_delay_alu instid0(VALU_DEP_3) | instskip(SKIP_1) | instid1(VALU_DEP_4)
	v_xor_b32_e32 v88, s60, v63
	v_cmp_ne_u32_e64 s60, 0, v90
	v_and_b32_e32 v89, exec_lo, v89
	s_delay_alu instid0(VALU_DEP_4) | instskip(SKIP_2) | instid1(VALU_DEP_3)
	v_xor_b32_e32 v90, s59, v64
	s_waitcnt lgkmcnt(0)
	v_cndmask_b32_e32 v86, v86, v87, vcc_lo
	v_and_b32_e32 v88, v89, v88
	v_xor_b32_e32 v89, s60, v65
	ds_store_b32 v0, v86 offset:16
	v_and_b32_e32 v88, v88, v90
	s_waitcnt lgkmcnt(0)
	s_barrier
	buffer_gl0_inv
	ds_store_b32 v0, v2 offset:16
	v_and_b32_e32 v87, v88, v89
	s_waitcnt lgkmcnt(0)
	s_barrier
	buffer_gl0_inv
	v_mbcnt_lo_u32_b32 v86, v87, 0
	v_cmp_ne_u32_e64 s60, 0, v87
	; wave barrier
	s_delay_alu instid0(VALU_DEP_2) | instskip(NEXT) | instid1(VALU_DEP_1)
	v_cmp_eq_u32_e64 s59, 0, v86
	s_and_b32 s60, s60, s59
	s_delay_alu instid0(SALU_CYCLE_1)
	s_and_saveexec_b32 s59, s60
	s_cbranch_execz .LBB53_26
; %bb.25:                               ;   in Loop: Header=BB53_2 Depth=1
	v_bcnt_u32_b32 v87, v87, 0
	ds_store_b32 v37, v87 offset:16
.LBB53_26:                              ;   in Loop: Header=BB53_2 Depth=1
	s_or_b32 exec_lo, exec_lo, s59
	v_cndmask_b32_e64 v87, 0, 1, s74
	v_cndmask_b32_e64 v88, 0, 1, s40
	v_cndmask_b32_e64 v89, 0, 1, s42
	; wave barrier
	s_delay_alu instid0(VALU_DEP_3) | instskip(SKIP_1) | instid1(VALU_DEP_4)
	v_cmp_ne_u32_e64 s59, 0, v87
	v_cndmask_b32_e64 v87, 0, 1, s41
	v_cmp_ne_u32_e64 s60, 0, v88
	s_delay_alu instid0(VALU_DEP_3) | instskip(NEXT) | instid1(VALU_DEP_3)
	v_xor_b32_e32 v88, s59, v15
	v_cmp_ne_u32_e64 s59, 0, v87
	s_delay_alu instid0(VALU_DEP_3) | instskip(SKIP_1) | instid1(VALU_DEP_4)
	v_xor_b32_e32 v87, s60, v66
	v_cmp_ne_u32_e64 s60, 0, v89
	v_and_b32_e32 v88, exec_lo, v88
	s_delay_alu instid0(VALU_DEP_4) | instskip(NEXT) | instid1(VALU_DEP_2)
	v_xor_b32_e32 v89, s59, v67
	v_and_b32_e32 v87, v88, v87
	s_delay_alu instid0(VALU_DEP_4) | instskip(NEXT) | instid1(VALU_DEP_2)
	v_xor_b32_e32 v88, s60, v68
	v_and_b32_e32 v89, v87, v89
	ds_load_b32 v87, v39 offset:16
	; wave barrier
	v_and_b32_e32 v89, v89, v88
	s_delay_alu instid0(VALU_DEP_1) | instskip(SKIP_1) | instid1(VALU_DEP_2)
	v_mbcnt_lo_u32_b32 v88, v89, 0
	v_cmp_ne_u32_e64 s60, 0, v89
	v_cmp_eq_u32_e64 s59, 0, v88
	s_delay_alu instid0(VALU_DEP_1) | instskip(NEXT) | instid1(SALU_CYCLE_1)
	s_and_b32 s60, s60, s59
	s_and_saveexec_b32 s59, s60
	s_cbranch_execz .LBB53_28
; %bb.27:                               ;   in Loop: Header=BB53_2 Depth=1
	s_waitcnt lgkmcnt(0)
	v_bcnt_u32_b32 v89, v89, v87
	ds_store_b32 v39, v89 offset:16
.LBB53_28:                              ;   in Loop: Header=BB53_2 Depth=1
	s_or_b32 exec_lo, exec_lo, s59
	v_cndmask_b32_e64 v89, 0, 1, s75
	v_cndmask_b32_e64 v90, 0, 1, s43
	v_cndmask_b32_e64 v91, 0, 1, s45
	; wave barrier
	s_delay_alu instid0(VALU_DEP_3) | instskip(SKIP_1) | instid1(VALU_DEP_4)
	v_cmp_ne_u32_e64 s59, 0, v89
	v_cndmask_b32_e64 v89, 0, 1, s44
	v_cmp_ne_u32_e64 s60, 0, v90
	s_delay_alu instid0(VALU_DEP_3) | instskip(NEXT) | instid1(VALU_DEP_3)
	v_xor_b32_e32 v90, s59, v16
	v_cmp_ne_u32_e64 s59, 0, v89
	s_delay_alu instid0(VALU_DEP_3) | instskip(SKIP_1) | instid1(VALU_DEP_4)
	v_xor_b32_e32 v89, s60, v69
	v_cmp_ne_u32_e64 s60, 0, v91
	v_and_b32_e32 v90, exec_lo, v90
	s_delay_alu instid0(VALU_DEP_4) | instskip(NEXT) | instid1(VALU_DEP_2)
	v_xor_b32_e32 v91, s59, v70
	v_and_b32_e32 v89, v90, v89
	s_delay_alu instid0(VALU_DEP_4) | instskip(NEXT) | instid1(VALU_DEP_2)
	v_xor_b32_e32 v90, s60, v71
	v_and_b32_e32 v91, v89, v91
	ds_load_b32 v89, v40 offset:16
	; wave barrier
	v_and_b32_e32 v91, v91, v90
	s_delay_alu instid0(VALU_DEP_1) | instskip(SKIP_1) | instid1(VALU_DEP_2)
	v_mbcnt_lo_u32_b32 v90, v91, 0
	v_cmp_ne_u32_e64 s60, 0, v91
	v_cmp_eq_u32_e64 s59, 0, v90
	s_delay_alu instid0(VALU_DEP_1) | instskip(NEXT) | instid1(SALU_CYCLE_1)
	s_and_b32 s60, s60, s59
	s_and_saveexec_b32 s59, s60
	s_cbranch_execz .LBB53_30
; %bb.29:                               ;   in Loop: Header=BB53_2 Depth=1
	s_waitcnt lgkmcnt(0)
	v_bcnt_u32_b32 v91, v91, v89
	ds_store_b32 v40, v91 offset:16
.LBB53_30:                              ;   in Loop: Header=BB53_2 Depth=1
	;; [unrolled: 38-line block ×7, first 2 shown]
	s_or_b32 exec_lo, exec_lo, s59
	; wave barrier
	s_waitcnt lgkmcnt(0)
	s_barrier
	buffer_gl0_inv
	ds_load_b32 v101, v0 offset:16
	s_waitcnt lgkmcnt(0)
	v_mov_b32_dpp v102, v101 row_shr:1 row_mask:0xf bank_mask:0xf
	s_delay_alu instid0(VALU_DEP_1) | instskip(NEXT) | instid1(VALU_DEP_1)
	v_cndmask_b32_e64 v102, v102, 0, s0
	v_add_nc_u32_e32 v101, v102, v101
	s_delay_alu instid0(VALU_DEP_1) | instskip(NEXT) | instid1(VALU_DEP_1)
	v_mov_b32_dpp v102, v101 row_shr:2 row_mask:0xf bank_mask:0xf
	v_cndmask_b32_e64 v102, 0, v102, s1
	s_delay_alu instid0(VALU_DEP_1) | instskip(NEXT) | instid1(VALU_DEP_1)
	v_add_nc_u32_e32 v101, v101, v102
	v_mov_b32_dpp v102, v101 row_shr:4 row_mask:0xf bank_mask:0xf
	s_delay_alu instid0(VALU_DEP_1) | instskip(NEXT) | instid1(VALU_DEP_1)
	v_cndmask_b32_e64 v102, 0, v102, s2
	v_add_nc_u32_e32 v101, v101, v102
	s_delay_alu instid0(VALU_DEP_1) | instskip(NEXT) | instid1(VALU_DEP_1)
	v_mov_b32_dpp v102, v101 row_shr:8 row_mask:0xf bank_mask:0xf
	v_cndmask_b32_e64 v102, 0, v102, s3
	s_delay_alu instid0(VALU_DEP_1) | instskip(SKIP_3) | instid1(VALU_DEP_1)
	v_add_nc_u32_e32 v101, v101, v102
	ds_swizzle_b32 v102, v101 offset:swizzle(BROADCAST,32,15)
	s_waitcnt lgkmcnt(0)
	v_cndmask_b32_e64 v102, v102, 0, s4
	v_add_nc_u32_e32 v101, v101, v102
	s_and_saveexec_b32 s59, s9
	s_cbranch_execz .LBB53_42
; %bb.41:                               ;   in Loop: Header=BB53_2 Depth=1
	ds_store_b32 v3, v101
.LBB53_42:                              ;   in Loop: Header=BB53_2 Depth=1
	s_or_b32 exec_lo, exec_lo, s59
	s_waitcnt lgkmcnt(0)
	s_barrier
	buffer_gl0_inv
	s_and_saveexec_b32 s59, s5
	s_cbranch_execz .LBB53_44
; %bb.43:                               ;   in Loop: Header=BB53_2 Depth=1
	ds_load_b32 v102, v0
	s_waitcnt lgkmcnt(0)
	v_mov_b32_dpp v103, v102 row_shr:1 row_mask:0xf bank_mask:0xf
	s_delay_alu instid0(VALU_DEP_1) | instskip(NEXT) | instid1(VALU_DEP_1)
	v_cndmask_b32_e64 v103, v103, 0, s7
	v_add_nc_u32_e32 v102, v103, v102
	s_delay_alu instid0(VALU_DEP_1) | instskip(NEXT) | instid1(VALU_DEP_1)
	v_mov_b32_dpp v103, v102 row_shr:2 row_mask:0xf bank_mask:0xf
	v_cndmask_b32_e64 v103, 0, v103, s8
	s_delay_alu instid0(VALU_DEP_1)
	v_add_nc_u32_e32 v102, v102, v103
	ds_store_b32 v0, v102
.LBB53_44:                              ;   in Loop: Header=BB53_2 Depth=1
	s_or_b32 exec_lo, exec_lo, s59
	v_mov_b32_e32 v102, 0
	s_waitcnt lgkmcnt(0)
	s_barrier
	buffer_gl0_inv
	s_and_saveexec_b32 s59, s6
	s_cbranch_execz .LBB53_1
; %bb.45:                               ;   in Loop: Header=BB53_2 Depth=1
	ds_load_b32 v102, v5
	s_branch .LBB53_1
.LBB53_46:
	ds_load_b32 v0, v37 offset:16
	ds_load_b32 v2, v39 offset:16
	;; [unrolled: 1-line block ×8, first 2 shown]
	s_lshl_b64 s[0:1], s[64:65], 2
	v_lshlrev_b32_e32 v9, 2, v1
	s_add_u32 s0, s62, s0
	s_addc_u32 s1, s63, s1
	s_waitcnt lgkmcnt(7)
	v_add_nc_u32_e32 v0, v0, v86
	s_waitcnt lgkmcnt(6)
	v_add3_u32 v1, v88, v87, v2
	s_waitcnt lgkmcnt(5)
	v_add3_u32 v2, v90, v89, v3
	;; [unrolled: 2-line block ×7, first 2 shown]
	s_clause 0x1
	global_store_b128 v9, v[0:3], s[0:1]
	global_store_b128 v9, v[4:7], s[0:1] offset:16
	s_nop 0
	s_sendmsg sendmsg(MSG_DEALLOC_VGPRS)
	s_endpgm
	.section	.rodata,"a",@progbits
	.p2align	6, 0x0
	.amdhsa_kernel _Z11rank_kernelIhLj4ELb0EL18RadixRankAlgorithm2ELj128ELj8ELj10EEvPKT_Pi
		.amdhsa_group_segment_fixed_size 528
		.amdhsa_private_segment_fixed_size 0
		.amdhsa_kernarg_size 272
		.amdhsa_user_sgpr_count 15
		.amdhsa_user_sgpr_dispatch_ptr 0
		.amdhsa_user_sgpr_queue_ptr 0
		.amdhsa_user_sgpr_kernarg_segment_ptr 1
		.amdhsa_user_sgpr_dispatch_id 0
		.amdhsa_user_sgpr_private_segment_size 0
		.amdhsa_wavefront_size32 1
		.amdhsa_uses_dynamic_stack 0
		.amdhsa_enable_private_segment 0
		.amdhsa_system_sgpr_workgroup_id_x 1
		.amdhsa_system_sgpr_workgroup_id_y 0
		.amdhsa_system_sgpr_workgroup_id_z 0
		.amdhsa_system_sgpr_workgroup_info 0
		.amdhsa_system_vgpr_workitem_id 2
		.amdhsa_next_free_vgpr 104
		.amdhsa_next_free_sgpr 82
		.amdhsa_reserve_vcc 1
		.amdhsa_float_round_mode_32 0
		.amdhsa_float_round_mode_16_64 0
		.amdhsa_float_denorm_mode_32 3
		.amdhsa_float_denorm_mode_16_64 3
		.amdhsa_dx10_clamp 1
		.amdhsa_ieee_mode 1
		.amdhsa_fp16_overflow 0
		.amdhsa_workgroup_processor_mode 1
		.amdhsa_memory_ordered 1
		.amdhsa_forward_progress 0
		.amdhsa_shared_vgpr_count 0
		.amdhsa_exception_fp_ieee_invalid_op 0
		.amdhsa_exception_fp_denorm_src 0
		.amdhsa_exception_fp_ieee_div_zero 0
		.amdhsa_exception_fp_ieee_overflow 0
		.amdhsa_exception_fp_ieee_underflow 0
		.amdhsa_exception_fp_ieee_inexact 0
		.amdhsa_exception_int_div_zero 0
	.end_amdhsa_kernel
	.section	.text._Z11rank_kernelIhLj4ELb0EL18RadixRankAlgorithm2ELj128ELj8ELj10EEvPKT_Pi,"axG",@progbits,_Z11rank_kernelIhLj4ELb0EL18RadixRankAlgorithm2ELj128ELj8ELj10EEvPKT_Pi,comdat
.Lfunc_end53:
	.size	_Z11rank_kernelIhLj4ELb0EL18RadixRankAlgorithm2ELj128ELj8ELj10EEvPKT_Pi, .Lfunc_end53-_Z11rank_kernelIhLj4ELb0EL18RadixRankAlgorithm2ELj128ELj8ELj10EEvPKT_Pi
                                        ; -- End function
	.section	.AMDGPU.csdata,"",@progbits
; Kernel info:
; codeLenInByte = 5904
; NumSgprs: 84
; NumVgprs: 104
; ScratchSize: 0
; MemoryBound: 0
; FloatMode: 240
; IeeeMode: 1
; LDSByteSize: 528 bytes/workgroup (compile time only)
; SGPRBlocks: 10
; VGPRBlocks: 12
; NumSGPRsForWavesPerEU: 84
; NumVGPRsForWavesPerEU: 104
; Occupancy: 12
; WaveLimiterHint : 0
; COMPUTE_PGM_RSRC2:SCRATCH_EN: 0
; COMPUTE_PGM_RSRC2:USER_SGPR: 15
; COMPUTE_PGM_RSRC2:TRAP_HANDLER: 0
; COMPUTE_PGM_RSRC2:TGID_X_EN: 1
; COMPUTE_PGM_RSRC2:TGID_Y_EN: 0
; COMPUTE_PGM_RSRC2:TGID_Z_EN: 0
; COMPUTE_PGM_RSRC2:TIDIG_COMP_CNT: 2
	.section	.text._Z11rank_kernelIhLj4ELb0EL18RadixRankAlgorithm0ELj128ELj16ELj10EEvPKT_Pi,"axG",@progbits,_Z11rank_kernelIhLj4ELb0EL18RadixRankAlgorithm0ELj128ELj16ELj10EEvPKT_Pi,comdat
	.protected	_Z11rank_kernelIhLj4ELb0EL18RadixRankAlgorithm0ELj128ELj16ELj10EEvPKT_Pi ; -- Begin function _Z11rank_kernelIhLj4ELb0EL18RadixRankAlgorithm0ELj128ELj16ELj10EEvPKT_Pi
	.globl	_Z11rank_kernelIhLj4ELb0EL18RadixRankAlgorithm0ELj128ELj16ELj10EEvPKT_Pi
	.p2align	8
	.type	_Z11rank_kernelIhLj4ELb0EL18RadixRankAlgorithm0ELj128ELj16ELj10EEvPKT_Pi,@function
_Z11rank_kernelIhLj4ELb0EL18RadixRankAlgorithm0ELj128ELj16ELj10EEvPKT_Pi: ; @_Z11rank_kernelIhLj4ELb0EL18RadixRankAlgorithm0ELj128ELj16ELj10EEvPKT_Pi
; %bb.0:
	s_load_b128 s[16:19], s[0:1], 0x0
	s_lshl_b32 s12, s15, 11
	v_dual_mov_b32 v2, 0 :: v_dual_lshlrev_b32 v1, 4, v0
	v_mbcnt_lo_u32_b32 v5, -1, 0
	v_or_b32_e32 v8, 31, v0
	v_lshrrev_b32_e32 v10, 3, v0
	v_lshlrev_b32_e32 v4, 2, v0
	v_or_b32_e32 v23, 0xffffff80, v0
	v_add_nc_u32_e32 v9, -1, v5
	v_and_b32_e32 v6, 15, v5
	v_and_b32_e32 v7, 16, v5
	;; [unrolled: 1-line block ×3, first 2 shown]
	v_cmp_eq_u32_e64 s2, 0, v5
	v_cmp_gt_i32_e32 vcc_lo, 0, v9
	v_lshlrev_b32_e32 v3, 5, v0
	v_cmp_eq_u32_e64 s3, 0, v6
	v_cmp_lt_u32_e64 s4, 1, v6
	v_cmp_lt_u32_e64 s5, 3, v6
	v_cmp_lt_u32_e64 s6, 7, v6
	v_cndmask_b32_e32 v6, v9, v5, vcc_lo
	s_waitcnt lgkmcnt(0)
	s_add_u32 s0, s16, s12
	s_addc_u32 s1, s17, 0
	v_cmp_eq_u32_e64 s7, 0, v7
	global_load_b128 v[19:22], v1, s[0:1]
	v_cmp_gt_u32_e64 s0, 4, v0
	v_cmp_lt_u32_e64 s1, 31, v0
	v_cmp_eq_u32_e64 s8, v8, v0
	v_and_b32_e32 v5, 12, v10
	v_cmp_eq_u32_e64 s9, 0, v11
	v_cmp_lt_u32_e64 s10, 1, v11
	v_lshlrev_b32_e32 v6, 2, v6
	s_mov_b32 s13, 0
	s_delay_alu instid0(SALU_CYCLE_1)
	s_mov_b32 s11, s13
	s_waitcnt vmcnt(0)
	v_lshrrev_b32_e32 v7, 24, v19
	v_lshrrev_b32_e32 v8, 24, v20
	;; [unrolled: 1-line block ×4, first 2 shown]
	v_and_b32_e32 v11, 0xff, v19
	v_bfe_u32 v12, v19, 8, 8
	v_bfe_u32 v13, v19, 16, 8
	v_and_b32_e32 v14, 0xff, v20
	v_bfe_u32 v15, v20, 8, 8
	v_bfe_u32 v16, v20, 16, 8
	;; [unrolled: 3-line block ×4, first 2 shown]
	s_branch .LBB54_2
.LBB54_1:                               ;   in Loop: Header=BB54_2 Depth=1
	s_add_i32 s11, s11, 1
	s_delay_alu instid0(SALU_CYCLE_1)
	s_cmp_eq_u32 s11, 10
	s_cbranch_scc1 .LBB54_12
.LBB54_2:                               ; =>This Loop Header: Depth=1
                                        ;     Child Loop BB54_4 Depth 2
                                        ;       Child Loop BB54_5 Depth 3
	s_mov_b32 s15, 28
	s_mov_b32 s16, -1
	s_branch .LBB54_4
.LBB54_3:                               ;   in Loop: Header=BB54_4 Depth=2
	s_or_b32 exec_lo, exec_lo, s15
	s_waitcnt lgkmcnt(0)
	v_add_nc_u32_e32 v56, v57, v56
	ds_load_b32 v60, v2 offset:4108
	ds_load_2addr_b32 v[58:59], v3 offset1:1
	s_mov_b32 s15, 24
	s_mov_b32 s16, 0
	s_and_not1_b32 vcc_lo, exec_lo, s14
	ds_bpermute_b32 v56, v6, v56
	s_waitcnt lgkmcnt(0)
	v_cndmask_b32_e64 v61, v56, v57, s2
	ds_load_2addr_b32 v[56:57], v3 offset0:2 offset1:3
	v_lshl_add_u32 v62, v60, 16, v61
	ds_load_2addr_b32 v[60:61], v3 offset0:4 offset1:5
	ds_load_b32 v63, v3 offset:24
	v_add_nc_u32_e32 v58, v62, v58
	s_delay_alu instid0(VALU_DEP_1) | instskip(SKIP_1) | instid1(VALU_DEP_1)
	v_add_nc_u32_e32 v59, v59, v58
	s_waitcnt lgkmcnt(2)
	v_add_nc_u32_e32 v56, v56, v59
	s_delay_alu instid0(VALU_DEP_1) | instskip(SKIP_1) | instid1(VALU_DEP_1)
	v_add_nc_u32_e32 v57, v57, v56
	s_waitcnt lgkmcnt(1)
	;; [unrolled: 4-line block ×3, first 2 shown]
	v_add_nc_u32_e32 v63, v63, v61
	ds_store_2addr_b32 v3, v62, v58 offset1:1
	ds_store_2addr_b32 v3, v59, v56 offset0:2 offset1:3
	ds_store_2addr_b32 v3, v57, v60 offset0:4 offset1:5
	;; [unrolled: 1-line block ×3, first 2 shown]
	s_waitcnt lgkmcnt(0)
	s_barrier
	buffer_gl0_inv
	s_cbranch_vccz .LBB54_1
.LBB54_4:                               ;   Parent Loop BB54_2 Depth=1
                                        ; =>  This Loop Header: Depth=2
                                        ;       Child Loop BB54_5 Depth 3
	v_dual_mov_b32 v24, v23 :: v_dual_mov_b32 v25, v4
	s_xor_b32 s14, s16, -1
	s_mov_b32 s16, 0
.LBB54_5:                               ;   Parent Loop BB54_2 Depth=1
                                        ;     Parent Loop BB54_4 Depth=2
                                        ; =>    This Inner Loop Header: Depth=3
	s_delay_alu instid0(VALU_DEP_1) | instskip(SKIP_4) | instid1(SALU_CYCLE_1)
	v_add_nc_u32_e32 v24, 0x80, v24
	ds_store_b32 v25, v2
	v_add_nc_u32_e32 v25, 0x200, v25
	v_cmp_lt_u32_e32 vcc_lo, 0x37f, v24
	s_or_b32 s16, vcc_lo, s16
	s_and_not1_b32 exec_lo, exec_lo, s16
	s_cbranch_execnz .LBB54_5
; %bb.6:                                ;   in Loop: Header=BB54_4 Depth=2
	s_or_b32 exec_lo, exec_lo, s16
	v_lshlrev_b32_e32 v24, s15, v11
	s_delay_alu instid0(VALU_DEP_1) | instskip(NEXT) | instid1(VALU_DEP_1)
	v_lshrrev_b32_e32 v25, 21, v24
	v_and_or_b32 v25, 0x380, v25, v0
	s_delay_alu instid0(VALU_DEP_1) | instskip(SKIP_1) | instid1(VALU_DEP_2)
	v_alignbit_b32 v24, v25, v24, 31
	v_lshlrev_b32_e32 v25, s15, v12
	v_lshlrev_b32_e32 v24, 1, v24
	s_delay_alu instid0(VALU_DEP_2) | instskip(SKIP_2) | instid1(VALU_DEP_1)
	v_lshrrev_b32_e32 v26, 21, v25
	ds_load_u16 v27, v24
	v_and_or_b32 v26, 0x380, v26, v0
	v_alignbit_b32 v25, v26, v25, 31
	s_delay_alu instid0(VALU_DEP_1)
	v_lshlrev_b32_e32 v25, 1, v25
	s_waitcnt lgkmcnt(0)
	v_add_nc_u16 v26, v27, 1
	ds_store_b16 v24, v26
	ds_load_u16 v29, v25
	v_lshlrev_b32_e32 v26, s15, v13
	s_delay_alu instid0(VALU_DEP_1) | instskip(NEXT) | instid1(VALU_DEP_1)
	v_lshrrev_b32_e32 v28, 21, v26
	v_and_or_b32 v28, 0x380, v28, v0
	s_delay_alu instid0(VALU_DEP_1) | instskip(SKIP_2) | instid1(VALU_DEP_2)
	v_alignbit_b32 v26, v28, v26, 31
	s_waitcnt lgkmcnt(0)
	v_add_nc_u16 v28, v29, 1
	v_lshlrev_b32_e32 v26, 1, v26
	ds_store_b16 v25, v28
	ds_load_u16 v31, v26
	v_lshlrev_b32_e32 v28, s15, v7
	s_delay_alu instid0(VALU_DEP_1) | instskip(NEXT) | instid1(VALU_DEP_1)
	v_lshrrev_b32_e32 v30, 21, v28
	v_and_or_b32 v30, 0x380, v30, v0
	s_delay_alu instid0(VALU_DEP_1) | instskip(SKIP_2) | instid1(VALU_DEP_2)
	v_alignbit_b32 v28, v30, v28, 31
	s_waitcnt lgkmcnt(0)
	v_add_nc_u16 v30, v31, 1
	v_lshlrev_b32_e32 v28, 1, v28
	;; [unrolled: 11-line block ×9, first 2 shown]
	v_lshlrev_b32_e32 v43, s15, v9
	ds_store_b16 v41, v46
	ds_load_u16 v48, v44
	v_lshrrev_b32_e32 v46, 21, v43
	s_delay_alu instid0(VALU_DEP_1) | instskip(NEXT) | instid1(VALU_DEP_1)
	v_and_or_b32 v46, 0x380, v46, v0
	v_alignbit_b32 v43, v46, v43, 31
	s_delay_alu instid0(VALU_DEP_1)
	v_lshlrev_b32_e32 v47, 1, v43
	s_waitcnt lgkmcnt(0)
	v_add_nc_u16 v46, v48, 1
	ds_store_b16 v44, v46
	ds_load_u16 v43, v47
	v_lshlrev_b32_e32 v46, s15, v20
	s_delay_alu instid0(VALU_DEP_1) | instskip(NEXT) | instid1(VALU_DEP_1)
	v_lshrrev_b32_e32 v49, 21, v46
	v_and_or_b32 v49, 0x380, v49, v0
	s_delay_alu instid0(VALU_DEP_1) | instskip(SKIP_2) | instid1(VALU_DEP_2)
	v_alignbit_b32 v46, v49, v46, 31
	s_waitcnt lgkmcnt(0)
	v_add_nc_u16 v49, v43, 1
	v_lshlrev_b32_e32 v50, 1, v46
	ds_store_b16 v47, v49
	ds_load_u16 v46, v50
	v_lshlrev_b32_e32 v49, s15, v21
	s_delay_alu instid0(VALU_DEP_1) | instskip(NEXT) | instid1(VALU_DEP_1)
	v_lshrrev_b32_e32 v51, 21, v49
	v_and_or_b32 v51, 0x380, v51, v0
	s_delay_alu instid0(VALU_DEP_1) | instskip(SKIP_2) | instid1(VALU_DEP_2)
	v_alignbit_b32 v49, v51, v49, 31
	s_waitcnt lgkmcnt(0)
	v_add_nc_u16 v51, v46, 1
	v_lshlrev_b32_e32 v52, 1, v49
	ds_store_b16 v50, v51
	ds_load_u16 v49, v52
	v_lshlrev_b32_e32 v51, s15, v22
	s_delay_alu instid0(VALU_DEP_1) | instskip(NEXT) | instid1(VALU_DEP_1)
	v_lshrrev_b32_e32 v53, 21, v51
	v_and_or_b32 v53, 0x380, v53, v0
	s_delay_alu instid0(VALU_DEP_1) | instskip(SKIP_2) | instid1(VALU_DEP_2)
	v_alignbit_b32 v51, v53, v51, 31
	s_waitcnt lgkmcnt(0)
	v_add_nc_u16 v53, v49, 1
	v_lshlrev_b32_e32 v54, 1, v51
	ds_store_b16 v52, v53
	ds_load_u16 v51, v54
	v_lshlrev_b32_e32 v53, s15, v10
	s_delay_alu instid0(VALU_DEP_1) | instskip(NEXT) | instid1(VALU_DEP_1)
	v_lshrrev_b32_e32 v55, 21, v53
	v_and_or_b32 v55, 0x380, v55, v0
	s_delay_alu instid0(VALU_DEP_1) | instskip(SKIP_2) | instid1(VALU_DEP_2)
	v_alignbit_b32 v53, v55, v53, 31
	s_waitcnt lgkmcnt(0)
	v_add_nc_u16 v56, v51, 1
	v_lshlrev_b32_e32 v55, 1, v53
	ds_store_b16 v54, v56
	ds_load_u16 v53, v55
	s_waitcnt lgkmcnt(0)
	v_add_nc_u16 v56, v53, 1
	ds_store_b16 v55, v56
	s_waitcnt lgkmcnt(0)
	s_barrier
	buffer_gl0_inv
	ds_load_2addr_b32 v[56:57], v3 offset1:1
	ds_load_2addr_b32 v[58:59], v3 offset0:2 offset1:3
	ds_load_2addr_b32 v[60:61], v3 offset0:4 offset1:5
	;; [unrolled: 1-line block ×3, first 2 shown]
	s_waitcnt lgkmcnt(3)
	v_add_nc_u32_e32 v56, v57, v56
	s_waitcnt lgkmcnt(2)
	s_delay_alu instid0(VALU_DEP_1) | instskip(SKIP_1) | instid1(VALU_DEP_1)
	v_add3_u32 v56, v56, v58, v59
	s_waitcnt lgkmcnt(1)
	v_add3_u32 v56, v56, v60, v61
	s_waitcnt lgkmcnt(0)
	s_delay_alu instid0(VALU_DEP_1) | instskip(NEXT) | instid1(VALU_DEP_1)
	v_add3_u32 v56, v56, v62, v63
	v_mov_b32_dpp v57, v56 row_shr:1 row_mask:0xf bank_mask:0xf
	s_delay_alu instid0(VALU_DEP_1) | instskip(NEXT) | instid1(VALU_DEP_1)
	v_cndmask_b32_e64 v57, v57, 0, s3
	v_add_nc_u32_e32 v56, v57, v56
	s_delay_alu instid0(VALU_DEP_1) | instskip(NEXT) | instid1(VALU_DEP_1)
	v_mov_b32_dpp v57, v56 row_shr:2 row_mask:0xf bank_mask:0xf
	v_cndmask_b32_e64 v57, 0, v57, s4
	s_delay_alu instid0(VALU_DEP_1) | instskip(NEXT) | instid1(VALU_DEP_1)
	v_add_nc_u32_e32 v56, v56, v57
	v_mov_b32_dpp v57, v56 row_shr:4 row_mask:0xf bank_mask:0xf
	s_delay_alu instid0(VALU_DEP_1) | instskip(NEXT) | instid1(VALU_DEP_1)
	v_cndmask_b32_e64 v57, 0, v57, s5
	v_add_nc_u32_e32 v56, v56, v57
	s_delay_alu instid0(VALU_DEP_1) | instskip(NEXT) | instid1(VALU_DEP_1)
	v_mov_b32_dpp v57, v56 row_shr:8 row_mask:0xf bank_mask:0xf
	v_cndmask_b32_e64 v57, 0, v57, s6
	s_delay_alu instid0(VALU_DEP_1) | instskip(SKIP_3) | instid1(VALU_DEP_1)
	v_add_nc_u32_e32 v56, v56, v57
	ds_swizzle_b32 v57, v56 offset:swizzle(BROADCAST,32,15)
	s_waitcnt lgkmcnt(0)
	v_cndmask_b32_e64 v57, v57, 0, s7
	v_add_nc_u32_e32 v56, v56, v57
	s_and_saveexec_b32 s15, s8
	s_cbranch_execz .LBB54_8
; %bb.7:                                ;   in Loop: Header=BB54_4 Depth=2
	ds_store_b32 v5, v56 offset:4096
.LBB54_8:                               ;   in Loop: Header=BB54_4 Depth=2
	s_or_b32 exec_lo, exec_lo, s15
	s_waitcnt lgkmcnt(0)
	s_barrier
	buffer_gl0_inv
	s_and_saveexec_b32 s15, s0
	s_cbranch_execz .LBB54_10
; %bb.9:                                ;   in Loop: Header=BB54_4 Depth=2
	ds_load_b32 v57, v4 offset:4096
	s_waitcnt lgkmcnt(0)
	v_mov_b32_dpp v58, v57 row_shr:1 row_mask:0xf bank_mask:0xf
	s_delay_alu instid0(VALU_DEP_1) | instskip(NEXT) | instid1(VALU_DEP_1)
	v_cndmask_b32_e64 v58, v58, 0, s9
	v_add_nc_u32_e32 v57, v58, v57
	s_delay_alu instid0(VALU_DEP_1) | instskip(NEXT) | instid1(VALU_DEP_1)
	v_mov_b32_dpp v58, v57 row_shr:2 row_mask:0xf bank_mask:0xf
	v_cndmask_b32_e64 v58, 0, v58, s10
	s_delay_alu instid0(VALU_DEP_1)
	v_add_nc_u32_e32 v57, v57, v58
	ds_store_b32 v4, v57 offset:4096
.LBB54_10:                              ;   in Loop: Header=BB54_4 Depth=2
	s_or_b32 exec_lo, exec_lo, s15
	v_mov_b32_e32 v57, 0
	s_waitcnt lgkmcnt(0)
	s_barrier
	buffer_gl0_inv
	s_and_saveexec_b32 s15, s1
	s_cbranch_execz .LBB54_3
; %bb.11:                               ;   in Loop: Header=BB54_4 Depth=2
	ds_load_b32 v57, v5 offset:4092
	s_branch .LBB54_3
.LBB54_12:
	v_and_b32_e32 v0, 0xffff, v27
	v_and_b32_e32 v10, 0xffff, v29
	ds_load_u16 v2, v55
	ds_load_u16 v3, v54
	;; [unrolled: 1-line block ×16, first 2 shown]
	v_and_b32_e32 v14, 0xffff, v31
	v_and_b32_e32 v15, 0xffff, v33
	;; [unrolled: 1-line block ×14, first 2 shown]
	s_waitcnt lgkmcnt(15)
	v_add_nc_u32_e32 v5, v2, v4
	s_waitcnt lgkmcnt(14)
	v_add_nc_u32_e32 v4, v3, v30
	;; [unrolled: 2-line block ×9, first 2 shown]
	s_lshl_b64 s[0:1], s[12:13], 2
	v_lshlrev_b32_e32 v0, 2, v1
	v_add_nc_u32_e32 v13, v22, v13
	v_add_nc_u32_e32 v12, v23, v12
	;; [unrolled: 1-line block ×7, first 2 shown]
	s_add_u32 s0, s18, s0
	s_addc_u32 s1, s19, s1
	s_clause 0x3
	global_store_b128 v0, v[14:17], s[0:1]
	global_store_b128 v0, v[10:13], s[0:1] offset:16
	global_store_b128 v0, v[6:9], s[0:1] offset:32
	;; [unrolled: 1-line block ×3, first 2 shown]
	s_nop 0
	s_sendmsg sendmsg(MSG_DEALLOC_VGPRS)
	s_endpgm
	.section	.rodata,"a",@progbits
	.p2align	6, 0x0
	.amdhsa_kernel _Z11rank_kernelIhLj4ELb0EL18RadixRankAlgorithm0ELj128ELj16ELj10EEvPKT_Pi
		.amdhsa_group_segment_fixed_size 4112
		.amdhsa_private_segment_fixed_size 0
		.amdhsa_kernarg_size 16
		.amdhsa_user_sgpr_count 15
		.amdhsa_user_sgpr_dispatch_ptr 0
		.amdhsa_user_sgpr_queue_ptr 0
		.amdhsa_user_sgpr_kernarg_segment_ptr 1
		.amdhsa_user_sgpr_dispatch_id 0
		.amdhsa_user_sgpr_private_segment_size 0
		.amdhsa_wavefront_size32 1
		.amdhsa_uses_dynamic_stack 0
		.amdhsa_enable_private_segment 0
		.amdhsa_system_sgpr_workgroup_id_x 1
		.amdhsa_system_sgpr_workgroup_id_y 0
		.amdhsa_system_sgpr_workgroup_id_z 0
		.amdhsa_system_sgpr_workgroup_info 0
		.amdhsa_system_vgpr_workitem_id 0
		.amdhsa_next_free_vgpr 64
		.amdhsa_next_free_sgpr 20
		.amdhsa_reserve_vcc 1
		.amdhsa_float_round_mode_32 0
		.amdhsa_float_round_mode_16_64 0
		.amdhsa_float_denorm_mode_32 3
		.amdhsa_float_denorm_mode_16_64 3
		.amdhsa_dx10_clamp 1
		.amdhsa_ieee_mode 1
		.amdhsa_fp16_overflow 0
		.amdhsa_workgroup_processor_mode 1
		.amdhsa_memory_ordered 1
		.amdhsa_forward_progress 0
		.amdhsa_shared_vgpr_count 0
		.amdhsa_exception_fp_ieee_invalid_op 0
		.amdhsa_exception_fp_denorm_src 0
		.amdhsa_exception_fp_ieee_div_zero 0
		.amdhsa_exception_fp_ieee_overflow 0
		.amdhsa_exception_fp_ieee_underflow 0
		.amdhsa_exception_fp_ieee_inexact 0
		.amdhsa_exception_int_div_zero 0
	.end_amdhsa_kernel
	.section	.text._Z11rank_kernelIhLj4ELb0EL18RadixRankAlgorithm0ELj128ELj16ELj10EEvPKT_Pi,"axG",@progbits,_Z11rank_kernelIhLj4ELb0EL18RadixRankAlgorithm0ELj128ELj16ELj10EEvPKT_Pi,comdat
.Lfunc_end54:
	.size	_Z11rank_kernelIhLj4ELb0EL18RadixRankAlgorithm0ELj128ELj16ELj10EEvPKT_Pi, .Lfunc_end54-_Z11rank_kernelIhLj4ELb0EL18RadixRankAlgorithm0ELj128ELj16ELj10EEvPKT_Pi
                                        ; -- End function
	.section	.AMDGPU.csdata,"",@progbits
; Kernel info:
; codeLenInByte = 2512
; NumSgprs: 22
; NumVgprs: 64
; ScratchSize: 0
; MemoryBound: 0
; FloatMode: 240
; IeeeMode: 1
; LDSByteSize: 4112 bytes/workgroup (compile time only)
; SGPRBlocks: 2
; VGPRBlocks: 7
; NumSGPRsForWavesPerEU: 22
; NumVGPRsForWavesPerEU: 64
; Occupancy: 16
; WaveLimiterHint : 0
; COMPUTE_PGM_RSRC2:SCRATCH_EN: 0
; COMPUTE_PGM_RSRC2:USER_SGPR: 15
; COMPUTE_PGM_RSRC2:TRAP_HANDLER: 0
; COMPUTE_PGM_RSRC2:TGID_X_EN: 1
; COMPUTE_PGM_RSRC2:TGID_Y_EN: 0
; COMPUTE_PGM_RSRC2:TGID_Z_EN: 0
; COMPUTE_PGM_RSRC2:TIDIG_COMP_CNT: 0
	.section	.text._Z11rank_kernelIhLj4ELb0EL18RadixRankAlgorithm1ELj128ELj16ELj10EEvPKT_Pi,"axG",@progbits,_Z11rank_kernelIhLj4ELb0EL18RadixRankAlgorithm1ELj128ELj16ELj10EEvPKT_Pi,comdat
	.protected	_Z11rank_kernelIhLj4ELb0EL18RadixRankAlgorithm1ELj128ELj16ELj10EEvPKT_Pi ; -- Begin function _Z11rank_kernelIhLj4ELb0EL18RadixRankAlgorithm1ELj128ELj16ELj10EEvPKT_Pi
	.globl	_Z11rank_kernelIhLj4ELb0EL18RadixRankAlgorithm1ELj128ELj16ELj10EEvPKT_Pi
	.p2align	8
	.type	_Z11rank_kernelIhLj4ELb0EL18RadixRankAlgorithm1ELj128ELj16ELj10EEvPKT_Pi,@function
_Z11rank_kernelIhLj4ELb0EL18RadixRankAlgorithm1ELj128ELj16ELj10EEvPKT_Pi: ; @_Z11rank_kernelIhLj4ELb0EL18RadixRankAlgorithm1ELj128ELj16ELj10EEvPKT_Pi
; %bb.0:
	s_load_b128 s[16:19], s[0:1], 0x0
	s_lshl_b32 s12, s15, 11
	v_dual_mov_b32 v10, 0 :: v_dual_lshlrev_b32 v9, 4, v0
	v_mbcnt_lo_u32_b32 v5, -1, 0
	v_or_b32_e32 v8, 31, v0
	v_lshrrev_b32_e32 v14, 3, v0
	v_lshlrev_b32_e32 v11, 5, v0
	v_or_b32_e32 v31, 0xffffff80, v0
	v_add_nc_u32_e32 v13, -1, v5
	v_and_b32_e32 v6, 15, v5
	v_and_b32_e32 v7, 16, v5
	v_cmp_eq_u32_e64 s2, 0, v5
	v_and_b32_e32 v15, 3, v5
	v_cmp_gt_i32_e32 vcc_lo, 0, v13
	v_lshlrev_b32_e32 v12, 2, v0
	v_cmp_eq_u32_e64 s3, 0, v6
	v_cmp_lt_u32_e64 s4, 1, v6
	v_cmp_lt_u32_e64 s5, 3, v6
	v_cndmask_b32_e32 v5, v13, v5, vcc_lo
	s_waitcnt lgkmcnt(0)
	s_add_u32 s0, s16, s12
	s_addc_u32 s1, s17, 0
	v_cmp_lt_u32_e64 s6, 7, v6
	global_load_b128 v[1:4], v9, s[0:1]
	v_cmp_gt_u32_e64 s0, 4, v0
	v_cmp_lt_u32_e64 s1, 31, v0
	v_cmp_eq_u32_e64 s7, 0, v7
	v_cmp_eq_u32_e64 s8, v8, v0
	v_and_b32_e32 v13, 12, v14
	v_cmp_eq_u32_e64 s9, 0, v15
	v_cmp_lt_u32_e64 s10, 1, v15
	v_lshlrev_b32_e32 v14, 2, v5
	s_mov_b32 s13, 0
	s_delay_alu instid0(SALU_CYCLE_1)
	s_mov_b32 s11, s13
	s_waitcnt vmcnt(0)
	v_lshrrev_b32_e32 v15, 24, v1
	v_lshrrev_b32_e32 v16, 24, v2
	;; [unrolled: 1-line block ×4, first 2 shown]
	v_and_b32_e32 v19, 0xff, v1
	v_bfe_u32 v20, v1, 8, 8
	v_bfe_u32 v21, v1, 16, 8
	v_and_b32_e32 v22, 0xff, v2
	v_bfe_u32 v23, v2, 8, 8
	v_bfe_u32 v24, v2, 16, 8
	;; [unrolled: 3-line block ×4, first 2 shown]
	s_branch .LBB55_2
.LBB55_1:                               ;   in Loop: Header=BB55_2 Depth=1
	s_add_i32 s11, s11, 1
	s_delay_alu instid0(SALU_CYCLE_1)
	s_cmp_eq_u32 s11, 10
	s_cbranch_scc1 .LBB55_12
.LBB55_2:                               ; =>This Loop Header: Depth=1
                                        ;     Child Loop BB55_4 Depth 2
                                        ;       Child Loop BB55_5 Depth 3
	s_mov_b32 s15, 28
	s_mov_b32 s16, -1
	s_branch .LBB55_4
.LBB55_3:                               ;   in Loop: Header=BB55_4 Depth=2
	s_or_b32 exec_lo, exec_lo, s15
	s_waitcnt lgkmcnt(0)
	v_add_nc_u32_e32 v2, v64, v2
	ds_load_b32 v65, v10 offset:4108
	s_mov_b32 s15, 24
	s_mov_b32 s16, 0
	s_and_not1_b32 vcc_lo, exec_lo, s14
	ds_bpermute_b32 v2, v14, v2
	s_waitcnt lgkmcnt(0)
	v_cndmask_b32_e64 v2, v2, v64, s2
	s_delay_alu instid0(VALU_DEP_1) | instskip(NEXT) | instid1(VALU_DEP_1)
	v_lshl_add_u32 v2, v65, 16, v2
	v_add_nc_u32_e32 v7, v2, v7
	s_delay_alu instid0(VALU_DEP_1) | instskip(NEXT) | instid1(VALU_DEP_1)
	v_add_nc_u32_e32 v8, v7, v8
	v_add_nc_u32_e32 v5, v8, v5
	s_delay_alu instid0(VALU_DEP_1) | instskip(NEXT) | instid1(VALU_DEP_1)
	v_add_nc_u32_e32 v6, v5, v6
	;; [unrolled: 3-line block ×3, first 2 shown]
	v_add_nc_u32_e32 v1, v4, v1
	ds_store_2addr_b32 v11, v2, v7 offset1:1
	ds_store_2addr_b32 v11, v8, v5 offset0:2 offset1:3
	ds_store_2addr_b32 v11, v6, v3 offset0:4 offset1:5
	;; [unrolled: 1-line block ×3, first 2 shown]
	s_waitcnt lgkmcnt(0)
	s_barrier
	buffer_gl0_inv
	s_cbranch_vccz .LBB55_1
.LBB55_4:                               ;   Parent Loop BB55_2 Depth=1
                                        ; =>  This Loop Header: Depth=2
                                        ;       Child Loop BB55_5 Depth 3
	v_dual_mov_b32 v1, v31 :: v_dual_mov_b32 v2, v12
	s_xor_b32 s14, s16, -1
	s_mov_b32 s16, 0
.LBB55_5:                               ;   Parent Loop BB55_2 Depth=1
                                        ;     Parent Loop BB55_4 Depth=2
                                        ; =>    This Inner Loop Header: Depth=3
	s_delay_alu instid0(VALU_DEP_1) | instskip(SKIP_4) | instid1(SALU_CYCLE_1)
	v_add_nc_u32_e32 v1, 0x80, v1
	ds_store_b32 v2, v10
	v_add_nc_u32_e32 v2, 0x200, v2
	v_cmp_lt_u32_e32 vcc_lo, 0x37f, v1
	s_or_b32 s16, vcc_lo, s16
	s_and_not1_b32 exec_lo, exec_lo, s16
	s_cbranch_execnz .LBB55_5
; %bb.6:                                ;   in Loop: Header=BB55_4 Depth=2
	s_or_b32 exec_lo, exec_lo, s16
	v_lshlrev_b32_e32 v1, s15, v19
	s_delay_alu instid0(VALU_DEP_1) | instskip(NEXT) | instid1(VALU_DEP_1)
	v_lshrrev_b32_e32 v2, 21, v1
	v_and_or_b32 v2, 0x380, v2, v0
	s_delay_alu instid0(VALU_DEP_1) | instskip(NEXT) | instid1(VALU_DEP_1)
	v_alignbit_b32 v1, v2, v1, 31
	v_lshlrev_b32_e32 v32, 1, v1
	v_lshlrev_b32_e32 v1, s15, v20
	ds_load_u16 v35, v32
	v_lshrrev_b32_e32 v2, 21, v1
	s_delay_alu instid0(VALU_DEP_1) | instskip(NEXT) | instid1(VALU_DEP_1)
	v_and_or_b32 v2, 0x380, v2, v0
	v_alignbit_b32 v1, v2, v1, 31
	s_delay_alu instid0(VALU_DEP_1)
	v_lshlrev_b32_e32 v33, 1, v1
	v_lshlrev_b32_e32 v1, s15, v21
	s_waitcnt lgkmcnt(0)
	v_add_nc_u16 v2, v35, 1
	ds_store_b16 v32, v2
	ds_load_u16 v37, v33
	v_lshrrev_b32_e32 v2, 21, v1
	s_delay_alu instid0(VALU_DEP_1) | instskip(NEXT) | instid1(VALU_DEP_1)
	v_and_or_b32 v2, 0x380, v2, v0
	v_alignbit_b32 v1, v2, v1, 31
	s_delay_alu instid0(VALU_DEP_1)
	v_lshlrev_b32_e32 v34, 1, v1
	v_lshlrev_b32_e32 v1, s15, v15
	s_waitcnt lgkmcnt(0)
	v_add_nc_u16 v2, v37, 1
	ds_store_b16 v33, v2
	;; [unrolled: 11-line block ×14, first 2 shown]
	ds_load_u16 v59, v62
	v_lshrrev_b32_e32 v2, 21, v1
	s_delay_alu instid0(VALU_DEP_1) | instskip(NEXT) | instid1(VALU_DEP_1)
	v_and_or_b32 v2, 0x380, v2, v0
	v_alignbit_b32 v1, v2, v1, 31
	s_delay_alu instid0(VALU_DEP_1)
	v_lshlrev_b32_e32 v63, 1, v1
	s_waitcnt lgkmcnt(0)
	v_add_nc_u16 v2, v59, 1
	ds_store_b16 v62, v2
	ds_load_u16 v61, v63
	s_waitcnt lgkmcnt(0)
	v_add_nc_u16 v1, v61, 1
	ds_store_b16 v63, v1
	s_waitcnt lgkmcnt(0)
	s_barrier
	buffer_gl0_inv
	ds_load_2addr_b32 v[7:8], v11 offset1:1
	ds_load_2addr_b32 v[5:6], v11 offset0:2 offset1:3
	ds_load_2addr_b32 v[3:4], v11 offset0:4 offset1:5
	;; [unrolled: 1-line block ×3, first 2 shown]
	s_waitcnt lgkmcnt(3)
	v_add_nc_u32_e32 v64, v8, v7
	s_waitcnt lgkmcnt(2)
	s_delay_alu instid0(VALU_DEP_1) | instskip(SKIP_1) | instid1(VALU_DEP_1)
	v_add3_u32 v64, v64, v5, v6
	s_waitcnt lgkmcnt(1)
	v_add3_u32 v64, v64, v3, v4
	s_waitcnt lgkmcnt(0)
	s_delay_alu instid0(VALU_DEP_1) | instskip(NEXT) | instid1(VALU_DEP_1)
	v_add3_u32 v2, v64, v1, v2
	v_mov_b32_dpp v64, v2 row_shr:1 row_mask:0xf bank_mask:0xf
	s_delay_alu instid0(VALU_DEP_1) | instskip(NEXT) | instid1(VALU_DEP_1)
	v_cndmask_b32_e64 v64, v64, 0, s3
	v_add_nc_u32_e32 v2, v64, v2
	s_delay_alu instid0(VALU_DEP_1) | instskip(NEXT) | instid1(VALU_DEP_1)
	v_mov_b32_dpp v64, v2 row_shr:2 row_mask:0xf bank_mask:0xf
	v_cndmask_b32_e64 v64, 0, v64, s4
	s_delay_alu instid0(VALU_DEP_1) | instskip(NEXT) | instid1(VALU_DEP_1)
	v_add_nc_u32_e32 v2, v2, v64
	v_mov_b32_dpp v64, v2 row_shr:4 row_mask:0xf bank_mask:0xf
	s_delay_alu instid0(VALU_DEP_1) | instskip(NEXT) | instid1(VALU_DEP_1)
	v_cndmask_b32_e64 v64, 0, v64, s5
	v_add_nc_u32_e32 v2, v2, v64
	s_delay_alu instid0(VALU_DEP_1) | instskip(NEXT) | instid1(VALU_DEP_1)
	v_mov_b32_dpp v64, v2 row_shr:8 row_mask:0xf bank_mask:0xf
	v_cndmask_b32_e64 v64, 0, v64, s6
	s_delay_alu instid0(VALU_DEP_1) | instskip(SKIP_3) | instid1(VALU_DEP_1)
	v_add_nc_u32_e32 v2, v2, v64
	ds_swizzle_b32 v64, v2 offset:swizzle(BROADCAST,32,15)
	s_waitcnt lgkmcnt(0)
	v_cndmask_b32_e64 v64, v64, 0, s7
	v_add_nc_u32_e32 v2, v2, v64
	s_and_saveexec_b32 s15, s8
	s_cbranch_execz .LBB55_8
; %bb.7:                                ;   in Loop: Header=BB55_4 Depth=2
	ds_store_b32 v13, v2 offset:4096
.LBB55_8:                               ;   in Loop: Header=BB55_4 Depth=2
	s_or_b32 exec_lo, exec_lo, s15
	s_waitcnt lgkmcnt(0)
	s_barrier
	buffer_gl0_inv
	s_and_saveexec_b32 s15, s0
	s_cbranch_execz .LBB55_10
; %bb.9:                                ;   in Loop: Header=BB55_4 Depth=2
	ds_load_b32 v64, v12 offset:4096
	s_waitcnt lgkmcnt(0)
	v_mov_b32_dpp v65, v64 row_shr:1 row_mask:0xf bank_mask:0xf
	s_delay_alu instid0(VALU_DEP_1) | instskip(NEXT) | instid1(VALU_DEP_1)
	v_cndmask_b32_e64 v65, v65, 0, s9
	v_add_nc_u32_e32 v64, v65, v64
	s_delay_alu instid0(VALU_DEP_1) | instskip(NEXT) | instid1(VALU_DEP_1)
	v_mov_b32_dpp v65, v64 row_shr:2 row_mask:0xf bank_mask:0xf
	v_cndmask_b32_e64 v65, 0, v65, s10
	s_delay_alu instid0(VALU_DEP_1)
	v_add_nc_u32_e32 v64, v64, v65
	ds_store_b32 v12, v64 offset:4096
.LBB55_10:                              ;   in Loop: Header=BB55_4 Depth=2
	s_or_b32 exec_lo, exec_lo, s15
	v_mov_b32_e32 v64, 0
	s_waitcnt lgkmcnt(0)
	s_barrier
	buffer_gl0_inv
	s_and_saveexec_b32 s15, s1
	s_cbranch_execz .LBB55_3
; %bb.11:                               ;   in Loop: Header=BB55_4 Depth=2
	ds_load_b32 v64, v13 offset:4092
	s_branch .LBB55_3
.LBB55_12:
	ds_load_u16 v0, v63
	ds_load_u16 v1, v62
	;; [unrolled: 1-line block ×16, first 2 shown]
	v_and_b32_e32 v8, 0xffff, v35
	v_and_b32_e32 v13, 0xffff, v37
	;; [unrolled: 1-line block ×16, first 2 shown]
	s_waitcnt lgkmcnt(15)
	v_add_nc_u32_e32 v3, v0, v2
	s_waitcnt lgkmcnt(12)
	v_add_nc_u32_e32 v0, v16, v32
	;; [unrolled: 2-line block ×6, first 2 shown]
	s_lshl_b64 s[0:1], s[12:13], 2
	v_lshlrev_b32_e32 v8, 2, v9
	v_add_nc_u32_e32 v12, v22, v12
	v_add_nc_u32_e32 v11, v23, v11
	v_add_nc_u32_e32 v10, v24, v10
	v_add_nc_u32_e32 v9, v25, v17
	v_add_nc_u32_e32 v2, v1, v30
	v_add_nc_u32_e32 v1, v7, v31
	v_add_nc_u32_e32 v7, v18, v33
	v_add_nc_u32_e32 v6, v19, v6
	v_add_nc_u32_e32 v5, v20, v5
	v_add_nc_u32_e32 v4, v21, v4
	s_add_u32 s0, s18, s0
	s_addc_u32 s1, s19, s1
	s_clause 0x3
	global_store_b128 v8, v[13:16], s[0:1]
	global_store_b128 v8, v[9:12], s[0:1] offset:16
	global_store_b128 v8, v[4:7], s[0:1] offset:32
	;; [unrolled: 1-line block ×3, first 2 shown]
	s_nop 0
	s_sendmsg sendmsg(MSG_DEALLOC_VGPRS)
	s_endpgm
	.section	.rodata,"a",@progbits
	.p2align	6, 0x0
	.amdhsa_kernel _Z11rank_kernelIhLj4ELb0EL18RadixRankAlgorithm1ELj128ELj16ELj10EEvPKT_Pi
		.amdhsa_group_segment_fixed_size 4112
		.amdhsa_private_segment_fixed_size 0
		.amdhsa_kernarg_size 16
		.amdhsa_user_sgpr_count 15
		.amdhsa_user_sgpr_dispatch_ptr 0
		.amdhsa_user_sgpr_queue_ptr 0
		.amdhsa_user_sgpr_kernarg_segment_ptr 1
		.amdhsa_user_sgpr_dispatch_id 0
		.amdhsa_user_sgpr_private_segment_size 0
		.amdhsa_wavefront_size32 1
		.amdhsa_uses_dynamic_stack 0
		.amdhsa_enable_private_segment 0
		.amdhsa_system_sgpr_workgroup_id_x 1
		.amdhsa_system_sgpr_workgroup_id_y 0
		.amdhsa_system_sgpr_workgroup_id_z 0
		.amdhsa_system_sgpr_workgroup_info 0
		.amdhsa_system_vgpr_workitem_id 0
		.amdhsa_next_free_vgpr 66
		.amdhsa_next_free_sgpr 20
		.amdhsa_reserve_vcc 1
		.amdhsa_float_round_mode_32 0
		.amdhsa_float_round_mode_16_64 0
		.amdhsa_float_denorm_mode_32 3
		.amdhsa_float_denorm_mode_16_64 3
		.amdhsa_dx10_clamp 1
		.amdhsa_ieee_mode 1
		.amdhsa_fp16_overflow 0
		.amdhsa_workgroup_processor_mode 1
		.amdhsa_memory_ordered 1
		.amdhsa_forward_progress 0
		.amdhsa_shared_vgpr_count 0
		.amdhsa_exception_fp_ieee_invalid_op 0
		.amdhsa_exception_fp_denorm_src 0
		.amdhsa_exception_fp_ieee_div_zero 0
		.amdhsa_exception_fp_ieee_overflow 0
		.amdhsa_exception_fp_ieee_underflow 0
		.amdhsa_exception_fp_ieee_inexact 0
		.amdhsa_exception_int_div_zero 0
	.end_amdhsa_kernel
	.section	.text._Z11rank_kernelIhLj4ELb0EL18RadixRankAlgorithm1ELj128ELj16ELj10EEvPKT_Pi,"axG",@progbits,_Z11rank_kernelIhLj4ELb0EL18RadixRankAlgorithm1ELj128ELj16ELj10EEvPKT_Pi,comdat
.Lfunc_end55:
	.size	_Z11rank_kernelIhLj4ELb0EL18RadixRankAlgorithm1ELj128ELj16ELj10EEvPKT_Pi, .Lfunc_end55-_Z11rank_kernelIhLj4ELb0EL18RadixRankAlgorithm1ELj128ELj16ELj10EEvPKT_Pi
                                        ; -- End function
	.section	.AMDGPU.csdata,"",@progbits
; Kernel info:
; codeLenInByte = 2460
; NumSgprs: 22
; NumVgprs: 66
; ScratchSize: 0
; MemoryBound: 0
; FloatMode: 240
; IeeeMode: 1
; LDSByteSize: 4112 bytes/workgroup (compile time only)
; SGPRBlocks: 2
; VGPRBlocks: 8
; NumSGPRsForWavesPerEU: 22
; NumVGPRsForWavesPerEU: 66
; Occupancy: 16
; WaveLimiterHint : 0
; COMPUTE_PGM_RSRC2:SCRATCH_EN: 0
; COMPUTE_PGM_RSRC2:USER_SGPR: 15
; COMPUTE_PGM_RSRC2:TRAP_HANDLER: 0
; COMPUTE_PGM_RSRC2:TGID_X_EN: 1
; COMPUTE_PGM_RSRC2:TGID_Y_EN: 0
; COMPUTE_PGM_RSRC2:TGID_Z_EN: 0
; COMPUTE_PGM_RSRC2:TIDIG_COMP_CNT: 0
	.section	.text._Z11rank_kernelIhLj4ELb0EL18RadixRankAlgorithm2ELj128ELj16ELj10EEvPKT_Pi,"axG",@progbits,_Z11rank_kernelIhLj4ELb0EL18RadixRankAlgorithm2ELj128ELj16ELj10EEvPKT_Pi,comdat
	.protected	_Z11rank_kernelIhLj4ELb0EL18RadixRankAlgorithm2ELj128ELj16ELj10EEvPKT_Pi ; -- Begin function _Z11rank_kernelIhLj4ELb0EL18RadixRankAlgorithm2ELj128ELj16ELj10EEvPKT_Pi
	.globl	_Z11rank_kernelIhLj4ELb0EL18RadixRankAlgorithm2ELj128ELj16ELj10EEvPKT_Pi
	.p2align	8
	.type	_Z11rank_kernelIhLj4ELb0EL18RadixRankAlgorithm2ELj128ELj16ELj10EEvPKT_Pi,@function
_Z11rank_kernelIhLj4ELb0EL18RadixRankAlgorithm2ELj128ELj16ELj10EEvPKT_Pi: ; @_Z11rank_kernelIhLj4ELb0EL18RadixRankAlgorithm2ELj128ELj16ELj10EEvPKT_Pi
; %bb.0:
	s_clause 0x1
	s_load_b128 s[8:11], s[0:1], 0x0
	s_load_b32 s4, s[0:1], 0x1c
	v_dual_mov_b32 v132, 0 :: v_dual_and_b32 v1, 0x3ff, v0
	s_lshl_b32 s12, s15, 11
                                        ; implicit-def: $vgpr201 : SGPR spill to VGPR lane
	s_mov_b32 s13, 0
                                        ; implicit-def: $vgpr200 : SGPR spill to VGPR lane
	s_mov_b32 s44, 10
	s_delay_alu instid0(VALU_DEP_1)
	v_lshlrev_b32_e32 v2, 4, v1
	v_lshrrev_b32_e32 v58, 3, v1
	s_waitcnt lgkmcnt(0)
	s_add_u32 s0, s8, s12
	v_writelane_b32 v201, s8, 0
	s_addc_u32 s1, s9, 0
	s_lshr_b32 s7, s4, 16
	global_load_b128 v[3:6], v2, s[0:1]
	s_and_b32 s4, s4, 0xffff
	v_writelane_b32 v201, s9, 1
	v_writelane_b32 v201, s10, 2
	;; [unrolled: 1-line block ×3, first 2 shown]
	v_cmp_lt_u32_e64 s8, 31, v1
	s_waitcnt vmcnt(0)
	v_lshrrev_b32_e32 v42, 8, v5
	v_lshrrev_b32_e32 v43, 16, v5
	;; [unrolled: 1-line block ×6, first 2 shown]
	v_and_b32_e32 v15, 15, v5
	v_and_b32_e32 v142, 1, v5
	v_lshlrev_b32_e32 v51, 30, v5
	v_lshlrev_b32_e32 v52, 29, v5
	;; [unrolled: 1-line block ×3, first 2 shown]
	v_bfe_u32 v16, v5, 8, 4
	v_bfe_u32 v143, v5, 8, 1
	;; [unrolled: 1-line block ×6, first 2 shown]
	v_and_b32_e32 v19, 15, v6
	v_and_b32_e32 v146, 1, v6
	v_lshlrev_b32_e32 v54, 30, v6
	v_lshlrev_b32_e32 v55, 29, v6
	v_lshlrev_b32_e32 v56, 28, v6
	v_bfe_u32 v20, v6, 8, 4
	v_bfe_u32 v147, v6, 8, 1
	;; [unrolled: 1-line block ×6, first 2 shown]
	v_lshrrev_b32_e32 v108, 4, v5
	v_bfe_u32 v31, v5, 4, 4
	v_bfe_u32 v158, v5, 4, 1
	v_lshrrev_b32_e32 v112, 12, v5
	v_bfe_u32 v32, v5, 12, 4
	v_bfe_u32 v159, v5, 12, 1
	;; [unrolled: 3-line block ×3, first 2 shown]
	v_lshrrev_b32_e32 v114, 28, v5
	v_bfe_u32 v161, v5, 28, 1
	v_and_b32_e32 v166, 0xf0000000, v5
	v_not_b32_e32 v119, v5
	v_lshrrev_b32_e32 v121, 4, v6
	v_bfe_u32 v5, v6, 4, 4
	v_bfe_u32 v162, v6, 4, 1
	v_lshrrev_b32_e32 v124, 12, v6
	v_bfe_u32 v34, v6, 12, 4
	v_bfe_u32 v163, v6, 12, 1
	v_lshrrev_b32_e32 v127, 20, v6
	v_bfe_u32 v35, v6, 20, 4
	v_bfe_u32 v164, v6, 20, 1
	v_lshrrev_b32_e32 v129, 28, v6
	v_bfe_u32 v165, v6, 28, 1
	v_and_b32_e32 v167, 0xf0000000, v6
	v_not_b32_e32 v131, v6
	v_mbcnt_lo_u32_b32 v6, -1, 0
	v_lshrrev_b32_e32 v36, 8, v3
	v_lshrrev_b32_e32 v37, 16, v3
	;; [unrolled: 1-line block ×3, first 2 shown]
	v_and_b32_e32 v7, 15, v3
	v_and_b32_e32 v134, 1, v3
	v_lshlrev_b32_e32 v45, 30, v3
	v_lshlrev_b32_e32 v46, 29, v3
	v_lshlrev_b32_e32 v47, 28, v3
	v_bfe_u32 v8, v3, 8, 4
	v_bfe_u32 v135, v3, 8, 1
	;; [unrolled: 1-line block ×6, first 2 shown]
	v_lshrrev_b32_e32 v83, 4, v3
	v_bfe_u32 v23, v3, 4, 4
	v_bfe_u32 v150, v3, 4, 1
	v_lshrrev_b32_e32 v85, 12, v3
	v_bfe_u32 v24, v3, 12, 4
	v_bfe_u32 v151, v3, 12, 1
	;; [unrolled: 3-line block ×3, first 2 shown]
	v_lshrrev_b32_e32 v91, 28, v3
	v_bfe_u32 v153, v3, 28, 1
	v_and_b32_e32 v26, 0xf0000000, v3
	v_not_b32_e32 v95, v3
	v_and_b32_e32 v3, 15, v6
	v_lshrrev_b32_e32 v39, 8, v4
	v_lshrrev_b32_e32 v40, 16, v4
	;; [unrolled: 1-line block ×3, first 2 shown]
	v_and_b32_e32 v11, 15, v4
	v_cmp_eq_u32_e64 s5, 0, v3
	v_cmp_lt_u32_e64 s0, 1, v3
	v_cmp_lt_u32_e64 s1, 3, v3
	;; [unrolled: 1-line block ×3, first 2 shown]
	v_and_b32_e32 v3, 16, v6
	v_and_b32_e32 v138, 1, v4
	v_lshlrev_b32_e32 v48, 30, v4
	v_lshlrev_b32_e32 v49, 29, v4
	;; [unrolled: 1-line block ×3, first 2 shown]
	v_cmp_eq_u32_e64 s3, 0, v3
	v_and_b32_e32 v3, 3, v6
	v_bfe_u32 v12, v4, 8, 4
	v_bfe_u32 v139, v4, 8, 1
	;; [unrolled: 1-line block ×4, first 2 shown]
	v_cmp_eq_u32_e64 s6, 0, v3
	v_bfe_u32 v14, v4, 24, 4
	v_bfe_u32 v141, v4, 24, 1
	v_lshrrev_b32_e32 v96, 4, v4
	v_bfe_u32 v27, v4, 4, 4
	v_writelane_b32 v201, s6, 4
	v_cmp_lt_u32_e64 s6, 1, v3
	v_or_b32_e32 v3, 31, v1
	v_bfe_u32 v154, v4, 4, 1
	v_lshrrev_b32_e32 v97, 12, v4
	v_bfe_u32 v28, v4, 12, 4
	v_writelane_b32 v201, s6, 5
	v_cmp_eq_u32_e64 s6, v3, v1
	v_bfe_u32 v3, v0, 10, 10
	v_bfe_u32 v0, v0, 20, 10
	;; [unrolled: 1-line block ×3, first 2 shown]
	v_lshrrev_b32_e32 v102, 20, v4
	v_bfe_u32 v29, v4, 20, 4
	v_bfe_u32 v156, v4, 20, 1
	v_mad_u32_u24 v57, v0, s7, v3
	v_lshrrev_b32_e32 v103, 28, v4
	v_bfe_u32 v157, v4, 28, 1
	v_and_b32_e32 v30, 0xf0000000, v4
	v_not_b32_e32 v107, v4
	v_cmp_gt_u32_e64 s7, 4, v1
	v_lshlrev_b32_e32 v0, 2, v1
	v_mad_u64_u32 v[3:4], null, v57, s4, v[1:2]
	v_add_nc_u32_e32 v1, -1, v6
	v_mul_u32_u24_e32 v25, 5, v25
	v_mul_u32_u24_e32 v32, 5, v32
	;; [unrolled: 1-line block ×4, first 2 shown]
	v_cmp_gt_i32_e64 s4, 0, v1
	v_lshrrev_b32_e32 v59, 5, v3
	v_mul_u32_u24_e32 v3, 5, v8
	v_mul_u32_u24_e32 v8, 5, v11
	;; [unrolled: 1-line block ×3, first 2 shown]
	v_cndmask_b32_e64 v57, v1, v6, s4
	v_cmp_gt_i32_e64 s4, 0, v26
	v_mul_u32_u24_e32 v26, 5, v13
	v_mul_u32_u24_e32 v17, 5, v17
	;; [unrolled: 1-line block ×4, first 2 shown]
	v_writelane_b32 v201, s4, 6
	v_cmp_gt_i32_e64 s4, 0, v30
	v_mul_u32_u24_e32 v29, 5, v29
	v_mul_u32_u24_e32 v31, 5, v31
	;; [unrolled: 1-line block ×4, first 2 shown]
	v_writelane_b32 v201, s4, 7
	v_cmp_gt_i32_e64 s4, 0, v45
	v_mul_u32_u24_e32 v34, 5, v34
	v_add_lshl_u32 v5, v59, v25, 2
	v_add_lshl_u32 v25, v59, v32, 2
	v_writelane_b32 v201, s12, 8
	v_add_lshl_u32 v32, v59, v35, 2
	v_lshlrev_b32_e32 v35, 2, v57
	v_lshlrev_b32_e32 v57, 30, v36
	v_cmp_eq_u32_e64 s9, 0, v6
	v_writelane_b32 v201, s13, 9
	v_mul_u32_u24_e32 v1, 5, v7
	v_mul_u32_u24_e32 v6, 5, v10
	v_mul_u32_u24_e32 v30, 5, v14
	v_mul_u32_u24_e32 v60, 5, v15
	v_writelane_b32 v201, s4, 10
	v_cmp_gt_i32_e64 s4, 0, v46
	v_mul_u32_u24_e32 v61, 5, v16
	v_mul_u32_u24_e32 v62, 5, v18
	v_mul_u32_u24_e32 v63, 5, v19
	v_mul_u32_u24_e32 v64, 5, v20
	v_writelane_b32 v201, s4, 11
	v_cmp_gt_i32_e64 s4, 0, v47
	;; [unrolled: 6-line block ×3, first 2 shown]
	v_add_lshl_u32 v10, v59, v4, 2
	v_add_lshl_u32 v13, v59, v8, 2
	;; [unrolled: 1-line block ×4, first 2 shown]
	v_writelane_b32 v201, s4, 13
	v_cmp_gt_i32_e64 s4, 0, v49
	v_add_lshl_u32 v20, v59, v17, 2
	v_add_lshl_u32 v26, v59, v21, 2
	v_mul_u32_u24_e32 v4, 5, v91
	v_add_lshl_u32 v8, v59, v28, 2
	v_writelane_b32 v201, s4, 14
	v_cmp_gt_i32_e64 s4, 0, v50
	v_add_lshl_u32 v12, v59, v29, 2
	v_mul_u32_u24_e32 v17, 5, v103
	v_add_lshl_u32 v21, v59, v31, 2
	v_add_lshl_u32 v28, v59, v33, 2
	v_writelane_b32 v201, s4, 15
	v_cmp_gt_i32_e64 s4, 0, v51
	v_mul_u32_u24_e32 v29, 5, v114
	v_add_lshl_u32 v31, v59, v34, 2
	v_mul_u32_u24_e32 v33, 5, v129
	v_and_b32_e32 v34, 12, v58
	v_writelane_b32 v201, s4, 16
	v_cmp_gt_i32_e64 s4, 0, v52
	v_lshlrev_b32_e32 v58, 29, v36
	v_add_lshl_u32 v7, v59, v1, 2
	v_add_lshl_u32 v9, v59, v3, 2
	v_add_lshl_u32 v11, v59, v6, 2
	v_writelane_b32 v201, s4, 17
	v_cmp_gt_i32_e64 s4, 0, v53
	v_add_lshl_u32 v16, v59, v30, 2
	v_add_lshl_u32 v18, v59, v60, 2
	v_add_lshl_u32 v19, v59, v61, 2
	v_add_lshl_u32 v22, v59, v62, 2
	v_writelane_b32 v201, s4, 18
	v_cmp_gt_i32_e64 s4, 0, v54
	v_add_lshl_u32 v23, v59, v63, 2
	;; [unrolled: 6-line block ×4, first 2 shown]
	v_add_lshl_u32 v30, v59, v69, 2
	v_add_lshl_u32 v33, v59, v33, 2
	v_lshlrev_b32_e32 v59, 28, v36
	v_writelane_b32 v201, s4, 21
	v_cmp_gt_i32_e64 s4, 0, v57
	v_lshlrev_b32_e32 v60, 30, v37
	v_lshlrev_b32_e32 v61, 29, v37
	v_lshlrev_b32_e32 v62, 28, v37
	v_lshlrev_b32_e32 v63, 30, v38
	v_writelane_b32 v201, s4, 22
	v_cmp_gt_i32_e64 s4, 0, v58
	v_lshlrev_b32_e32 v64, 29, v38
	v_lshlrev_b32_e32 v65, 28, v38
	v_lshlrev_b32_e32 v66, 30, v39
	;; [unrolled: 6-line block ×4, first 2 shown]
	v_lshlrev_b32_e32 v76, 30, v42
	v_writelane_b32 v201, s4, 25
	v_cmp_gt_i32_e64 s4, 0, v61
	v_not_b32_e32 v46, v46
	v_not_b32_e32 v47, v47
	v_lshlrev_b32_e32 v78, 29, v42
	v_lshlrev_b32_e32 v80, 28, v42
	v_writelane_b32 v201, s4, 26
	v_cmp_gt_i32_e64 s4, 0, v62
	v_lshlrev_b32_e32 v84, 28, v43
	v_lshlrev_b32_e32 v86, 30, v44
	v_not_b32_e32 v48, v48
	v_not_b32_e32 v49, v49
	v_writelane_b32 v201, s4, 27
	v_cmp_gt_i32_e64 s4, 0, v63
	v_lshlrev_b32_e32 v81, 30, v43
	v_lshlrev_b32_e32 v82, 29, v43
	;; [unrolled: 1-line block ×4, first 2 shown]
	v_writelane_b32 v201, s4, 28
	v_cmp_gt_i32_e64 s4, 0, v64
	v_not_b32_e32 v89, v55
	v_not_b32_e32 v92, v56
	v_ashrrev_i32_e32 v37, 31, v46
	v_ashrrev_i32_e32 v38, 31, v47
	v_writelane_b32 v201, s4, 29
	v_cmp_gt_i32_e64 s4, 0, v65
	v_not_b32_e32 v46, v57
	v_not_b32_e32 v47, v58
	v_not_b32_e32 v55, v59
	v_not_b32_e32 v56, v60
	v_writelane_b32 v201, s4, 30
	v_cmp_gt_i32_e64 s4, 0, v66
	v_not_b32_e32 v57, v61
	v_not_b32_e32 v58, v62
	v_not_b32_e32 v59, v63
	v_not_b32_e32 v60, v64
	;; [unrolled: 6-line block ×3, first 2 shown]
	v_writelane_b32 v200, s4, 0
	v_cmp_gt_i32_e64 s4, 0, v68
	v_not_b32_e32 v65, v69
	v_not_b32_e32 v66, v70
	;; [unrolled: 1-line block ×3, first 2 shown]
	v_cmp_gt_i32_e64 s45, 0, v80
	v_writelane_b32 v200, s4, 1
	v_cmp_gt_i32_e64 s4, 0, v69
	v_not_b32_e32 v69, v74
	v_not_b32_e32 v50, v50
	;; [unrolled: 1-line block ×3, first 2 shown]
	v_ashrrev_i32_e32 v39, 31, v48
	v_writelane_b32 v200, s4, 2
	v_cmp_gt_i32_e64 s4, 0, v70
	v_not_b32_e32 v70, v75
	v_ashrrev_i32_e32 v40, 31, v49
	v_not_b32_e32 v67, v71
	v_cmp_gt_i32_e64 s46, 0, v81
	v_writelane_b32 v200, s4, 3
	v_cmp_gt_i32_e64 s4, 0, v71
	v_not_b32_e32 v71, v76
	v_cmp_gt_i32_e64 s47, 0, v82
	v_ashrrev_i32_e32 v48, 31, v55
	v_ashrrev_i32_e32 v49, 31, v56
	v_writelane_b32 v200, s4, 4
	v_cmp_gt_i32_e64 s4, 0, v72
	v_not_b32_e32 v72, v78
	v_ashrrev_i32_e32 v55, 31, v62
	v_ashrrev_i32_e32 v56, 31, v63
	v_ashrrev_i32_e32 v62, 31, v69
	v_writelane_b32 v200, s4, 5
	v_cmp_gt_i32_e64 s4, 0, v74
	v_not_b32_e32 v74, v80
	v_not_b32_e32 v80, v86
	v_ashrrev_i32_e32 v63, 31, v70
	v_not_b32_e32 v53, v53
	v_writelane_b32 v200, s4, 6
	v_cmp_gt_i32_e64 s4, 0, v75
	v_not_b32_e32 v75, v81
	v_not_b32_e32 v81, v87
	v_ashrrev_i32_e32 v70, 31, v80
	v_lshlrev_b32_e32 v80, 30, v77
	v_writelane_b32 v200, s4, 7
	v_cmp_gt_i32_e64 s4, 0, v76
	v_not_b32_e32 v76, v82
	v_not_b32_e32 v82, v88
	v_ashrrev_i32_e32 v41, 31, v50
	v_ashrrev_i32_e32 v42, 31, v51
	v_writelane_b32 v200, s4, 8
	v_cmp_gt_i32_e64 s4, 0, v78
	v_not_b32_e32 v78, v84
	v_cmp_gt_i32_e64 s48, 0, v84
	v_lshlrev_b32_e32 v84, 30, v73
	v_ashrrev_i32_e32 v50, 31, v57
	v_ashrrev_i32_e32 v51, 31, v58
	;; [unrolled: 1-line block ×3, first 2 shown]
	v_lshlrev_b32_e32 v78, 28, v73
	v_ashrrev_i32_e32 v57, 31, v64
	v_ashrrev_i32_e32 v58, 31, v65
	;; [unrolled: 1-line block ×6, first 2 shown]
	v_cmp_gt_i32_e64 s54, 0, v78
	v_not_b32_e32 v78, v78
	v_cmp_gt_i32_e64 s55, 0, v80
	v_not_b32_e32 v80, v80
	v_lshlrev_b32_e32 v81, 29, v77
	v_lshlrev_b32_e32 v82, 28, v77
	v_ashrrev_i32_e32 v44, 31, v53
	v_cmp_gt_i32_e64 s52, 0, v84
	v_ashrrev_i32_e32 v53, 31, v60
	v_ashrrev_i32_e32 v60, 31, v67
	;; [unrolled: 1-line block ×3, first 2 shown]
	v_not_b32_e32 v75, v84
	v_ashrrev_i32_e32 v77, 31, v78
	v_ashrrev_i32_e32 v78, 31, v80
	v_cmp_gt_i32_e64 s56, 0, v81
	v_not_b32_e32 v80, v81
	v_cmp_gt_i32_e64 s57, 0, v82
	v_not_b32_e32 v81, v82
	v_lshlrev_b32_e32 v82, 30, v79
	v_lshlrev_b32_e32 v84, 29, v79
	v_cmp_gt_i32_e64 s49, 0, v86
	v_lshlrev_b32_e32 v86, 28, v79
	v_ashrrev_i32_e32 v79, 31, v80
	v_cmp_gt_i32_e64 s58, 0, v82
	v_not_b32_e32 v82, v82
	v_cmp_gt_i32_e64 s59, 0, v84
	v_not_b32_e32 v84, v84
	v_ashrrev_i32_e32 v80, 31, v81
	v_cmp_gt_i32_e64 s60, 0, v86
	v_ashrrev_i32_e32 v81, 31, v82
	v_not_b32_e32 v52, v52
	v_ashrrev_i32_e32 v82, 31, v84
	v_not_b32_e32 v84, v86
	v_lshlrev_b32_e32 v86, 30, v83
	v_cmp_gt_i32_e64 s50, 0, v87
	v_cmp_gt_i32_e64 s51, 0, v88
	v_lshlrev_b32_e32 v87, 29, v83
	v_lshlrev_b32_e32 v88, 28, v83
	v_cmp_gt_i32_e64 s61, 0, v86
	v_not_b32_e32 v86, v86
	v_not_b32_e32 v45, v45
	;; [unrolled: 1-line block ×3, first 2 shown]
	v_ashrrev_i32_e32 v43, 31, v52
	v_ashrrev_i32_e32 v52, 31, v59
	;; [unrolled: 1-line block ×4, first 2 shown]
	v_lshlrev_b32_e32 v74, 29, v73
	v_ashrrev_i32_e32 v73, 31, v89
	v_ashrrev_i32_e32 v83, 31, v84
	;; [unrolled: 1-line block ×3, first 2 shown]
	v_cmp_gt_i32_e64 s62, 0, v87
	v_not_b32_e32 v86, v87
	v_cmp_gt_i32_e64 s63, 0, v88
	v_not_b32_e32 v87, v88
	v_lshlrev_b32_e32 v88, 30, v85
	v_lshlrev_b32_e32 v89, 29, v85
	v_lshlrev_b32_e32 v85, 28, v85
	v_ashrrev_i32_e32 v36, 31, v45
	v_ashrrev_i32_e32 v45, 31, v54
	;; [unrolled: 1-line block ×5, first 2 shown]
	v_cmp_gt_i32_e64 s53, 0, v74
	v_not_b32_e32 v76, v74
	v_ashrrev_i32_e32 v74, 31, v92
	v_cmp_gt_i32_e64 s64, 0, v88
	v_not_b32_e32 v88, v88
	v_cmp_gt_i32_e64 s65, 0, v89
	v_not_b32_e32 v89, v89
	v_not_b32_e32 v92, v85
	v_cmp_gt_i32_e64 s66, 0, v85
	v_ashrrev_i32_e32 v85, 31, v86
	v_ashrrev_i32_e32 v86, 31, v87
	;; [unrolled: 1-line block ×5, first 2 shown]
	v_lshlrev_b32_e32 v92, 30, v90
	v_lshlrev_b32_e32 v93, 29, v90
	;; [unrolled: 1-line block ×5, first 2 shown]
	v_cmp_gt_i32_e64 s67, 0, v92
	v_not_b32_e32 v92, v92
	v_not_b32_e32 v98, v90
	v_cmp_gt_i32_e64 s68, 0, v93
	v_not_b32_e32 v93, v93
	v_cmp_gt_i32_e64 s69, 0, v90
	v_cmp_gt_i32_e64 s70, 0, v94
	v_not_b32_e32 v94, v94
	v_not_b32_e32 v99, v91
	v_ashrrev_i32_e32 v90, 31, v92
	v_ashrrev_i32_e32 v92, 31, v98
	v_lshlrev_b32_e32 v98, 30, v96
	v_cmp_gt_i32_e64 s71, 0, v91
	v_ashrrev_i32_e32 v91, 31, v93
	v_ashrrev_i32_e32 v93, 31, v94
	;; [unrolled: 1-line block ×3, first 2 shown]
	v_cmp_gt_i32_e64 s72, 0, v98
	v_not_b32_e32 v98, v98
	v_lshlrev_b32_e32 v99, 29, v96
	v_lshlrev_b32_e32 v100, 28, v96
	v_lshlrev_b32_e32 v101, 29, v97
	v_lshlrev_b32_e32 v105, 29, v102
	v_ashrrev_i32_e32 v96, 31, v98
	v_cmp_gt_i32_e64 s73, 0, v99
	v_not_b32_e32 v98, v99
	v_cmp_gt_i32_e64 s74, 0, v100
	v_not_b32_e32 v99, v100
	v_lshlrev_b32_e32 v100, 30, v97
	v_lshlrev_b32_e32 v97, 28, v97
	v_cmp_gt_i32_e64 s76, 0, v101
	v_not_b32_e32 v101, v101
	v_lshlrev_b32_e32 v106, 30, v103
	v_cmp_gt_i32_e64 s75, 0, v100
	v_not_b32_e32 v100, v100
	v_not_b32_e32 v104, v97
	v_cmp_gt_i32_e64 s77, 0, v97
	v_ashrrev_i32_e32 v97, 31, v98
	v_ashrrev_i32_e32 v98, 31, v99
	;; [unrolled: 1-line block ×5, first 2 shown]
	v_lshlrev_b32_e32 v104, 30, v102
	v_lshlrev_b32_e32 v102, 28, v102
	;; [unrolled: 1-line block ×3, first 2 shown]
	v_cmp_gt_i32_e64 s79, 0, v105
	v_not_b32_e32 v105, v105
	v_cmp_gt_i32_e64 s78, 0, v104
	v_not_b32_e32 v104, v104
	v_not_b32_e32 v109, v102
	v_cmp_gt_i32_e64 s81, 0, v106
	v_not_b32_e32 v106, v106
	v_not_b32_e32 v110, v103
	v_cmp_gt_i32_e64 s80, 0, v102
	v_cmp_gt_i32_e64 s82, 0, v103
	v_ashrrev_i32_e32 v102, 31, v104
	v_ashrrev_i32_e32 v103, 31, v105
	v_ashrrev_i32_e32 v104, 31, v109
	v_ashrrev_i32_e32 v105, 31, v106
	v_ashrrev_i32_e32 v106, 31, v110
	v_lshlrev_b32_e32 v109, 30, v108
	v_lshlrev_b32_e32 v110, 29, v108
	;; [unrolled: 1-line block ×5, first 2 shown]
	v_cmp_gt_i32_e64 s83, 0, v109
	v_not_b32_e32 v113, v109
	v_cmp_gt_i32_e64 s84, 0, v110
	v_not_b32_e32 v109, v110
	;; [unrolled: 2-line block ×3, first 2 shown]
	v_lshlrev_b32_e32 v108, 30, v112
	v_lshlrev_b32_e32 v112, 28, v112
	v_cmp_gt_i32_e64 s87, 0, v116
	v_lshlrev_b32_e32 v118, 30, v114
	v_lshlrev_b32_e32 v114, 29, v114
	v_cmp_gt_i32_e64 s86, 0, v108
	v_not_b32_e32 v111, v108
	v_ashrrev_i32_e32 v108, 31, v113
	v_not_b32_e32 v113, v116
	v_not_b32_e32 v116, v112
	v_cmp_gt_i32_e64 s88, 0, v112
	v_cmp_gt_i32_e64 s90, 0, v117
	v_not_b32_e32 v117, v117
	v_ashrrev_i32_e32 v112, 31, v113
	v_ashrrev_i32_e32 v113, 31, v116
	v_lshlrev_b32_e32 v116, 30, v115
	v_lshlrev_b32_e32 v115, 28, v115
	v_cmp_gt_i32_e64 s92, 0, v118
	v_not_b32_e32 v118, v118
	v_not_b32_e32 v122, v114
	v_cmp_gt_i32_e64 s89, 0, v116
	v_not_b32_e32 v116, v116
	v_not_b32_e32 v120, v115
	v_lshlrev_b32_e32 v168, 30, v121
	v_lshlrev_b32_e32 v169, 29, v121
	;; [unrolled: 1-line block ×11, first 2 shown]
	v_cmp_gt_i32_e64 s91, 0, v115
	v_cmp_gt_i32_e64 s93, 0, v114
	v_ashrrev_i32_e32 v114, 31, v116
	v_ashrrev_i32_e32 v115, 31, v117
	;; [unrolled: 1-line block ×5, first 2 shown]
	v_not_b32_e32 v120, v168
	v_not_b32_e32 v121, v169
	;; [unrolled: 1-line block ×11, first 2 shown]
	v_writelane_b32 v200, s4, 9
	v_ashrrev_i32_e32 v46, 31, v46
	v_ashrrev_i32_e32 v47, 31, v47
	;; [unrolled: 1-line block ×22, first 2 shown]
	v_add_nc_u32_e32 v133, -4, v34
	v_cmp_gt_i32_e64 s94, 0, v166
	v_cmp_gt_i32_e64 s95, 0, v168
	;; [unrolled: 1-line block ×11, first 2 shown]
	v_cmp_gt_i32_e64 vcc_hi, 0, v178
	v_cmp_gt_i32_e64 s4, 0, v167
	v_add_co_u32 v134, s11, v134, -1
	v_add_co_u32 v135, s12, v135, -1
	;; [unrolled: 1-line block ×32, first 2 shown]
	s_branch .LBB56_2
.LBB56_1:                               ;   in Loop: Header=BB56_2 Depth=1
	s_or_b32 exec_lo, exec_lo, s10
	s_waitcnt lgkmcnt(0)
	v_add_nc_u32_e32 v197, v198, v197
	s_add_i32 s44, s44, -1
	s_delay_alu instid0(SALU_CYCLE_1)
	s_cmp_eq_u32 s44, 0
	ds_bpermute_b32 v197, v35, v197
	s_waitcnt lgkmcnt(0)
	v_cndmask_b32_e64 v197, v197, v198, s9
	ds_store_b32 v0, v197 offset:16
	s_waitcnt lgkmcnt(0)
	s_barrier
	buffer_gl0_inv
	s_cbranch_scc1 .LBB56_78
.LBB56_2:                               ; =>This Inner Loop Header: Depth=1
	v_cndmask_b32_e64 v166, 0, 1, s11
	v_readlane_b32 s10, v201, 10
	ds_store_b32 v0, v132 offset:16
	s_waitcnt lgkmcnt(0)
	s_barrier
	v_cmp_ne_u32_e32 vcc_lo, 0, v166
	v_cndmask_b32_e64 v167, 0, 1, s10
	v_readlane_b32 s10, v201, 11
	buffer_gl0_inv
	; wave barrier
	v_cndmask_b32_e64 v166, 0, 1, s10
	v_cmp_ne_u32_e64 s10, 0, v167
	v_xor_b32_e32 v167, vcc_lo, v134
	v_readlane_b32 vcc_lo, v201, 12
	s_delay_alu instid0(VALU_DEP_2) | instskip(NEXT) | instid1(VALU_DEP_2)
	v_and_b32_e32 v167, exec_lo, v167
	v_cndmask_b32_e64 v168, 0, 1, vcc_lo
	v_cmp_ne_u32_e32 vcc_lo, 0, v166
	v_xor_b32_e32 v166, s10, v36
	s_delay_alu instid0(VALU_DEP_3) | instskip(SKIP_1) | instid1(VALU_DEP_3)
	v_cmp_ne_u32_e64 s10, 0, v168
	v_xor_b32_e32 v168, vcc_lo, v37
	v_and_b32_e32 v166, v167, v166
	s_delay_alu instid0(VALU_DEP_3) | instskip(NEXT) | instid1(VALU_DEP_2)
	v_xor_b32_e32 v167, s10, v38
	v_and_b32_e32 v166, v166, v168
	s_delay_alu instid0(VALU_DEP_1) | instskip(NEXT) | instid1(VALU_DEP_1)
	v_and_b32_e32 v166, v166, v167
	v_mbcnt_lo_u32_b32 v167, v166, 0
	v_cmp_ne_u32_e64 s10, 0, v166
	s_delay_alu instid0(VALU_DEP_2) | instskip(NEXT) | instid1(VALU_DEP_2)
	v_cmp_eq_u32_e32 vcc_lo, 0, v167
	s_and_b32 vcc_lo, s10, vcc_lo
	s_delay_alu instid0(SALU_CYCLE_1)
	s_and_saveexec_b32 s10, vcc_lo
	s_cbranch_execz .LBB56_4
; %bb.3:                                ;   in Loop: Header=BB56_2 Depth=1
	v_bcnt_u32_b32 v166, v166, 0
	ds_store_b32 v7, v166 offset:16
.LBB56_4:                               ;   in Loop: Header=BB56_2 Depth=1
	s_or_b32 exec_lo, exec_lo, s10
	v_cndmask_b32_e64 v166, 0, 1, s12
	v_readlane_b32 s10, v201, 22
	; wave barrier
	s_delay_alu instid0(VALU_DEP_2) | instskip(NEXT) | instid1(VALU_DEP_2)
	v_cmp_ne_u32_e32 vcc_lo, 0, v166
	v_cndmask_b32_e64 v167, 0, 1, s10
	v_readlane_b32 s10, v201, 23
	s_delay_alu instid0(VALU_DEP_1) | instskip(NEXT) | instid1(VALU_DEP_3)
	v_cndmask_b32_e64 v166, 0, 1, s10
	v_cmp_ne_u32_e64 s10, 0, v167
	v_xor_b32_e32 v167, vcc_lo, v135
	v_readlane_b32 vcc_lo, v201, 24
	s_delay_alu instid0(VALU_DEP_2) | instskip(NEXT) | instid1(VALU_DEP_2)
	v_and_b32_e32 v167, exec_lo, v167
	v_cndmask_b32_e64 v168, 0, 1, vcc_lo
	v_cmp_ne_u32_e32 vcc_lo, 0, v166
	v_xor_b32_e32 v166, s10, v46
	s_delay_alu instid0(VALU_DEP_3) | instskip(SKIP_1) | instid1(VALU_DEP_3)
	v_cmp_ne_u32_e64 s10, 0, v168
	v_xor_b32_e32 v168, vcc_lo, v47
	v_and_b32_e32 v166, v167, v166
	s_delay_alu instid0(VALU_DEP_3) | instskip(NEXT) | instid1(VALU_DEP_2)
	v_xor_b32_e32 v167, s10, v48
	v_and_b32_e32 v168, v166, v168
	ds_load_b32 v166, v9 offset:16
	; wave barrier
	v_and_b32_e32 v167, v168, v167
	s_delay_alu instid0(VALU_DEP_1) | instskip(SKIP_1) | instid1(VALU_DEP_2)
	v_mbcnt_lo_u32_b32 v168, v167, 0
	v_cmp_ne_u32_e64 s10, 0, v167
	v_cmp_eq_u32_e32 vcc_lo, 0, v168
	s_delay_alu instid0(VALU_DEP_2) | instskip(NEXT) | instid1(SALU_CYCLE_1)
	s_and_b32 vcc_lo, s10, vcc_lo
	s_and_saveexec_b32 s10, vcc_lo
	s_cbranch_execz .LBB56_6
; %bb.5:                                ;   in Loop: Header=BB56_2 Depth=1
	s_waitcnt lgkmcnt(0)
	v_bcnt_u32_b32 v166, v167, v166
	ds_store_b32 v9, v166 offset:16
.LBB56_6:                               ;   in Loop: Header=BB56_2 Depth=1
	s_or_b32 exec_lo, exec_lo, s10
	s_waitcnt lgkmcnt(0)
	v_cndmask_b32_e64 v166, 0, 1, s13
	v_readlane_b32 s10, v201, 25
	; wave barrier
	s_delay_alu instid0(VALU_DEP_2) | instskip(NEXT) | instid1(VALU_DEP_2)
	v_cmp_ne_u32_e32 vcc_lo, 0, v166
	v_cndmask_b32_e64 v167, 0, 1, s10
	v_readlane_b32 s10, v201, 26
	s_delay_alu instid0(VALU_DEP_1) | instskip(NEXT) | instid1(VALU_DEP_3)
	v_cndmask_b32_e64 v166, 0, 1, s10
	v_cmp_ne_u32_e64 s10, 0, v167
	v_xor_b32_e32 v167, vcc_lo, v136
	v_readlane_b32 vcc_lo, v201, 27
	s_delay_alu instid0(VALU_DEP_2) | instskip(NEXT) | instid1(VALU_DEP_2)
	v_and_b32_e32 v167, exec_lo, v167
	v_cndmask_b32_e64 v168, 0, 1, vcc_lo
	v_cmp_ne_u32_e32 vcc_lo, 0, v166
	v_xor_b32_e32 v166, s10, v49
	s_delay_alu instid0(VALU_DEP_3) | instskip(SKIP_1) | instid1(VALU_DEP_3)
	v_cmp_ne_u32_e64 s10, 0, v168
	v_xor_b32_e32 v168, vcc_lo, v50
	v_and_b32_e32 v166, v167, v166
	s_delay_alu instid0(VALU_DEP_3) | instskip(NEXT) | instid1(VALU_DEP_2)
	v_xor_b32_e32 v167, s10, v51
	v_and_b32_e32 v168, v166, v168
	ds_load_b32 v166, v10 offset:16
	; wave barrier
	v_and_b32_e32 v167, v168, v167
	s_delay_alu instid0(VALU_DEP_1) | instskip(SKIP_1) | instid1(VALU_DEP_2)
	v_mbcnt_lo_u32_b32 v168, v167, 0
	v_cmp_ne_u32_e64 s10, 0, v167
	v_cmp_eq_u32_e32 vcc_lo, 0, v168
	s_delay_alu instid0(VALU_DEP_2) | instskip(NEXT) | instid1(SALU_CYCLE_1)
	s_and_b32 vcc_lo, s10, vcc_lo
	s_and_saveexec_b32 s10, vcc_lo
	s_cbranch_execz .LBB56_8
; %bb.7:                                ;   in Loop: Header=BB56_2 Depth=1
	s_waitcnt lgkmcnt(0)
	v_bcnt_u32_b32 v166, v167, v166
	ds_store_b32 v10, v166 offset:16
.LBB56_8:                               ;   in Loop: Header=BB56_2 Depth=1
	s_or_b32 exec_lo, exec_lo, s10
	s_waitcnt lgkmcnt(0)
	v_cndmask_b32_e64 v166, 0, 1, s14
	v_readlane_b32 s10, v201, 28
	; wave barrier
	s_delay_alu instid0(VALU_DEP_2) | instskip(NEXT) | instid1(VALU_DEP_2)
	v_cmp_ne_u32_e32 vcc_lo, 0, v166
	v_cndmask_b32_e64 v167, 0, 1, s10
	v_readlane_b32 s10, v201, 29
	s_delay_alu instid0(VALU_DEP_1) | instskip(NEXT) | instid1(VALU_DEP_3)
	v_cndmask_b32_e64 v166, 0, 1, s10
	v_cmp_ne_u32_e64 s10, 0, v167
	v_xor_b32_e32 v167, vcc_lo, v137
	v_readlane_b32 vcc_lo, v201, 30
	s_delay_alu instid0(VALU_DEP_2) | instskip(NEXT) | instid1(VALU_DEP_2)
	v_and_b32_e32 v167, exec_lo, v167
	v_cndmask_b32_e64 v168, 0, 1, vcc_lo
	v_cmp_ne_u32_e32 vcc_lo, 0, v166
	v_xor_b32_e32 v166, s10, v52
	s_delay_alu instid0(VALU_DEP_3) | instskip(SKIP_1) | instid1(VALU_DEP_3)
	v_cmp_ne_u32_e64 s10, 0, v168
	v_xor_b32_e32 v168, vcc_lo, v53
	v_and_b32_e32 v166, v167, v166
	s_delay_alu instid0(VALU_DEP_3) | instskip(NEXT) | instid1(VALU_DEP_2)
	v_xor_b32_e32 v167, s10, v54
	v_and_b32_e32 v168, v166, v168
	ds_load_b32 v166, v11 offset:16
	; wave barrier
	v_and_b32_e32 v167, v168, v167
	s_delay_alu instid0(VALU_DEP_1) | instskip(SKIP_1) | instid1(VALU_DEP_2)
	v_mbcnt_lo_u32_b32 v168, v167, 0
	v_cmp_ne_u32_e64 s10, 0, v167
	v_cmp_eq_u32_e32 vcc_lo, 0, v168
	s_delay_alu instid0(VALU_DEP_2) | instskip(NEXT) | instid1(SALU_CYCLE_1)
	s_and_b32 vcc_lo, s10, vcc_lo
	s_and_saveexec_b32 s10, vcc_lo
	s_cbranch_execz .LBB56_10
; %bb.9:                                ;   in Loop: Header=BB56_2 Depth=1
	s_waitcnt lgkmcnt(0)
	v_bcnt_u32_b32 v166, v167, v166
	ds_store_b32 v11, v166 offset:16
.LBB56_10:                              ;   in Loop: Header=BB56_2 Depth=1
	s_or_b32 exec_lo, exec_lo, s10
	s_waitcnt lgkmcnt(0)
	v_cndmask_b32_e64 v166, 0, 1, s15
	v_readlane_b32 s10, v201, 13
	; wave barrier
	s_delay_alu instid0(VALU_DEP_2) | instskip(NEXT) | instid1(VALU_DEP_2)
	v_cmp_ne_u32_e32 vcc_lo, 0, v166
	v_cndmask_b32_e64 v167, 0, 1, s10
	v_readlane_b32 s10, v201, 14
	s_delay_alu instid0(VALU_DEP_1) | instskip(NEXT) | instid1(VALU_DEP_3)
	v_cndmask_b32_e64 v166, 0, 1, s10
	v_cmp_ne_u32_e64 s10, 0, v167
	v_xor_b32_e32 v167, vcc_lo, v138
	v_readlane_b32 vcc_lo, v201, 15
	s_delay_alu instid0(VALU_DEP_2) | instskip(NEXT) | instid1(VALU_DEP_2)
	v_and_b32_e32 v167, exec_lo, v167
	v_cndmask_b32_e64 v168, 0, 1, vcc_lo
	v_cmp_ne_u32_e32 vcc_lo, 0, v166
	v_xor_b32_e32 v166, s10, v39
	s_delay_alu instid0(VALU_DEP_3) | instskip(SKIP_1) | instid1(VALU_DEP_3)
	v_cmp_ne_u32_e64 s10, 0, v168
	v_xor_b32_e32 v168, vcc_lo, v40
	v_and_b32_e32 v166, v167, v166
	s_delay_alu instid0(VALU_DEP_3) | instskip(NEXT) | instid1(VALU_DEP_2)
	v_xor_b32_e32 v167, s10, v41
	v_and_b32_e32 v168, v166, v168
	ds_load_b32 v166, v13 offset:16
	; wave barrier
	v_and_b32_e32 v167, v168, v167
	s_delay_alu instid0(VALU_DEP_1) | instskip(SKIP_1) | instid1(VALU_DEP_2)
	v_mbcnt_lo_u32_b32 v168, v167, 0
	v_cmp_ne_u32_e64 s10, 0, v167
	v_cmp_eq_u32_e32 vcc_lo, 0, v168
	s_delay_alu instid0(VALU_DEP_2) | instskip(NEXT) | instid1(SALU_CYCLE_1)
	s_and_b32 vcc_lo, s10, vcc_lo
	s_and_saveexec_b32 s10, vcc_lo
	s_cbranch_execz .LBB56_12
; %bb.11:                               ;   in Loop: Header=BB56_2 Depth=1
	s_waitcnt lgkmcnt(0)
	v_bcnt_u32_b32 v166, v167, v166
	ds_store_b32 v13, v166 offset:16
.LBB56_12:                              ;   in Loop: Header=BB56_2 Depth=1
	s_or_b32 exec_lo, exec_lo, s10
	s_waitcnt lgkmcnt(0)
	v_cndmask_b32_e64 v166, 0, 1, s16
	v_readlane_b32 s10, v201, 31
	; wave barrier
	s_delay_alu instid0(VALU_DEP_2) | instskip(NEXT) | instid1(VALU_DEP_2)
	v_cmp_ne_u32_e32 vcc_lo, 0, v166
	v_cndmask_b32_e64 v167, 0, 1, s10
	v_readlane_b32 s10, v200, 0
	s_delay_alu instid0(VALU_DEP_1) | instskip(NEXT) | instid1(VALU_DEP_3)
	v_cndmask_b32_e64 v166, 0, 1, s10
	v_cmp_ne_u32_e64 s10, 0, v167
	v_xor_b32_e32 v167, vcc_lo, v139
	v_readlane_b32 vcc_lo, v200, 1
	s_delay_alu instid0(VALU_DEP_2) | instskip(NEXT) | instid1(VALU_DEP_2)
	v_and_b32_e32 v167, exec_lo, v167
	v_cndmask_b32_e64 v168, 0, 1, vcc_lo
	v_cmp_ne_u32_e32 vcc_lo, 0, v166
	v_xor_b32_e32 v166, s10, v55
	s_delay_alu instid0(VALU_DEP_3) | instskip(SKIP_1) | instid1(VALU_DEP_3)
	v_cmp_ne_u32_e64 s10, 0, v168
	v_xor_b32_e32 v168, vcc_lo, v56
	v_and_b32_e32 v166, v167, v166
	s_delay_alu instid0(VALU_DEP_3) | instskip(NEXT) | instid1(VALU_DEP_2)
	v_xor_b32_e32 v167, s10, v57
	v_and_b32_e32 v168, v166, v168
	ds_load_b32 v166, v14 offset:16
	; wave barrier
	v_and_b32_e32 v167, v168, v167
	s_delay_alu instid0(VALU_DEP_1) | instskip(SKIP_1) | instid1(VALU_DEP_2)
	v_mbcnt_lo_u32_b32 v168, v167, 0
	v_cmp_ne_u32_e64 s10, 0, v167
	v_cmp_eq_u32_e32 vcc_lo, 0, v168
	s_delay_alu instid0(VALU_DEP_2) | instskip(NEXT) | instid1(SALU_CYCLE_1)
	s_and_b32 vcc_lo, s10, vcc_lo
	s_and_saveexec_b32 s10, vcc_lo
	s_cbranch_execz .LBB56_14
; %bb.13:                               ;   in Loop: Header=BB56_2 Depth=1
	s_waitcnt lgkmcnt(0)
	v_bcnt_u32_b32 v166, v167, v166
	ds_store_b32 v14, v166 offset:16
.LBB56_14:                              ;   in Loop: Header=BB56_2 Depth=1
	;; [unrolled: 42-line block ×5, first 2 shown]
	s_or_b32 exec_lo, exec_lo, s10
	s_waitcnt lgkmcnt(0)
	v_cndmask_b32_e64 v166, 0, 1, s20
	v_readlane_b32 s10, v200, 8
	v_cndmask_b32_e64 v168, 0, 1, s45
	; wave barrier
	s_delay_alu instid0(VALU_DEP_3) | instskip(NEXT) | instid1(VALU_DEP_3)
	v_cmp_ne_u32_e32 vcc_lo, 0, v166
	v_cndmask_b32_e64 v167, 0, 1, s10
	v_readlane_b32 s10, v200, 9
	s_delay_alu instid0(VALU_DEP_1) | instskip(NEXT) | instid1(VALU_DEP_3)
	v_cndmask_b32_e64 v166, 0, 1, s10
	v_cmp_ne_u32_e64 s10, 0, v167
	v_xor_b32_e32 v167, vcc_lo, v143
	s_delay_alu instid0(VALU_DEP_3) | instskip(NEXT) | instid1(VALU_DEP_3)
	v_cmp_ne_u32_e32 vcc_lo, 0, v166
	v_xor_b32_e32 v166, s10, v64
	s_delay_alu instid0(VALU_DEP_3) | instskip(SKIP_2) | instid1(VALU_DEP_3)
	v_and_b32_e32 v167, exec_lo, v167
	v_cmp_ne_u32_e64 s10, 0, v168
	v_xor_b32_e32 v168, vcc_lo, v65
	v_and_b32_e32 v166, v167, v166
	s_delay_alu instid0(VALU_DEP_3) | instskip(NEXT) | instid1(VALU_DEP_2)
	v_xor_b32_e32 v167, s10, v66
	v_and_b32_e32 v168, v166, v168
	ds_load_b32 v166, v19 offset:16
	; wave barrier
	v_and_b32_e32 v167, v168, v167
	s_delay_alu instid0(VALU_DEP_1) | instskip(SKIP_1) | instid1(VALU_DEP_2)
	v_mbcnt_lo_u32_b32 v168, v167, 0
	v_cmp_ne_u32_e64 s10, 0, v167
	v_cmp_eq_u32_e32 vcc_lo, 0, v168
	s_delay_alu instid0(VALU_DEP_2) | instskip(NEXT) | instid1(SALU_CYCLE_1)
	s_and_b32 vcc_lo, s10, vcc_lo
	s_and_saveexec_b32 s10, vcc_lo
	s_cbranch_execz .LBB56_22
; %bb.21:                               ;   in Loop: Header=BB56_2 Depth=1
	s_waitcnt lgkmcnt(0)
	v_bcnt_u32_b32 v166, v167, v166
	ds_store_b32 v19, v166 offset:16
.LBB56_22:                              ;   in Loop: Header=BB56_2 Depth=1
	s_or_b32 exec_lo, exec_lo, s10
	s_waitcnt lgkmcnt(0)
	v_cndmask_b32_e64 v166, 0, 1, s21
	v_cndmask_b32_e64 v167, 0, 1, s46
	;; [unrolled: 1-line block ×3, first 2 shown]
	; wave barrier
	s_delay_alu instid0(VALU_DEP_3) | instskip(SKIP_1) | instid1(VALU_DEP_4)
	v_cmp_ne_u32_e32 vcc_lo, 0, v166
	v_cndmask_b32_e64 v166, 0, 1, s47
	v_cmp_ne_u32_e64 s10, 0, v167
	v_xor_b32_e32 v167, vcc_lo, v144
	s_delay_alu instid0(VALU_DEP_3) | instskip(NEXT) | instid1(VALU_DEP_3)
	v_cmp_ne_u32_e32 vcc_lo, 0, v166
	v_xor_b32_e32 v166, s10, v67
	v_cmp_ne_u32_e64 s10, 0, v168
	s_delay_alu instid0(VALU_DEP_4) | instskip(SKIP_1) | instid1(VALU_DEP_2)
	v_and_b32_e32 v167, exec_lo, v167
	v_xor_b32_e32 v168, vcc_lo, v68
	v_and_b32_e32 v166, v167, v166
	s_delay_alu instid0(VALU_DEP_4) | instskip(NEXT) | instid1(VALU_DEP_2)
	v_xor_b32_e32 v167, s10, v69
	v_and_b32_e32 v168, v166, v168
	ds_load_b32 v166, v20 offset:16
	; wave barrier
	v_and_b32_e32 v167, v168, v167
	s_delay_alu instid0(VALU_DEP_1) | instskip(SKIP_1) | instid1(VALU_DEP_2)
	v_mbcnt_lo_u32_b32 v168, v167, 0
	v_cmp_ne_u32_e64 s10, 0, v167
	v_cmp_eq_u32_e32 vcc_lo, 0, v168
	s_delay_alu instid0(VALU_DEP_2) | instskip(NEXT) | instid1(SALU_CYCLE_1)
	s_and_b32 vcc_lo, s10, vcc_lo
	s_and_saveexec_b32 s10, vcc_lo
	s_cbranch_execz .LBB56_24
; %bb.23:                               ;   in Loop: Header=BB56_2 Depth=1
	s_waitcnt lgkmcnt(0)
	v_bcnt_u32_b32 v166, v167, v166
	ds_store_b32 v20, v166 offset:16
.LBB56_24:                              ;   in Loop: Header=BB56_2 Depth=1
	s_or_b32 exec_lo, exec_lo, s10
	s_waitcnt lgkmcnt(0)
	v_cndmask_b32_e64 v166, 0, 1, s22
	v_cndmask_b32_e64 v167, 0, 1, s49
	;; [unrolled: 1-line block ×3, first 2 shown]
	; wave barrier
	s_delay_alu instid0(VALU_DEP_3) | instskip(SKIP_1) | instid1(VALU_DEP_4)
	v_cmp_ne_u32_e32 vcc_lo, 0, v166
	v_cndmask_b32_e64 v166, 0, 1, s50
	v_cmp_ne_u32_e64 s10, 0, v167
	v_xor_b32_e32 v167, vcc_lo, v145
	s_delay_alu instid0(VALU_DEP_3) | instskip(NEXT) | instid1(VALU_DEP_3)
	v_cmp_ne_u32_e32 vcc_lo, 0, v166
	v_xor_b32_e32 v166, s10, v70
	v_cmp_ne_u32_e64 s10, 0, v168
	s_delay_alu instid0(VALU_DEP_4) | instskip(SKIP_1) | instid1(VALU_DEP_2)
	v_and_b32_e32 v167, exec_lo, v167
	v_xor_b32_e32 v168, vcc_lo, v71
	v_and_b32_e32 v166, v167, v166
	s_delay_alu instid0(VALU_DEP_4) | instskip(NEXT) | instid1(VALU_DEP_2)
	v_xor_b32_e32 v167, s10, v72
	v_and_b32_e32 v168, v166, v168
	ds_load_b32 v166, v22 offset:16
	; wave barrier
	v_and_b32_e32 v167, v168, v167
	s_delay_alu instid0(VALU_DEP_1) | instskip(SKIP_1) | instid1(VALU_DEP_2)
	v_mbcnt_lo_u32_b32 v168, v167, 0
	v_cmp_ne_u32_e64 s10, 0, v167
	v_cmp_eq_u32_e32 vcc_lo, 0, v168
	s_delay_alu instid0(VALU_DEP_2) | instskip(NEXT) | instid1(SALU_CYCLE_1)
	s_and_b32 vcc_lo, s10, vcc_lo
	s_and_saveexec_b32 s10, vcc_lo
	s_cbranch_execz .LBB56_26
; %bb.25:                               ;   in Loop: Header=BB56_2 Depth=1
	s_waitcnt lgkmcnt(0)
	v_bcnt_u32_b32 v166, v167, v166
	ds_store_b32 v22, v166 offset:16
.LBB56_26:                              ;   in Loop: Header=BB56_2 Depth=1
	s_or_b32 exec_lo, exec_lo, s10
	s_waitcnt lgkmcnt(0)
	v_cndmask_b32_e64 v166, 0, 1, s23
	v_readlane_b32 s10, v201, 19
	; wave barrier
	s_delay_alu instid0(VALU_DEP_2) | instskip(NEXT) | instid1(VALU_DEP_2)
	v_cmp_ne_u32_e32 vcc_lo, 0, v166
	v_cndmask_b32_e64 v167, 0, 1, s10
	v_readlane_b32 s10, v201, 20
	s_delay_alu instid0(VALU_DEP_1) | instskip(NEXT) | instid1(VALU_DEP_3)
	v_cndmask_b32_e64 v166, 0, 1, s10
	v_cmp_ne_u32_e64 s10, 0, v167
	v_xor_b32_e32 v167, vcc_lo, v146
	v_readlane_b32 vcc_lo, v201, 21
	s_delay_alu instid0(VALU_DEP_2) | instskip(NEXT) | instid1(VALU_DEP_2)
	v_and_b32_e32 v167, exec_lo, v167
	v_cndmask_b32_e64 v168, 0, 1, vcc_lo
	v_cmp_ne_u32_e32 vcc_lo, 0, v166
	v_xor_b32_e32 v166, s10, v45
	s_delay_alu instid0(VALU_DEP_3) | instskip(SKIP_1) | instid1(VALU_DEP_3)
	v_cmp_ne_u32_e64 s10, 0, v168
	v_xor_b32_e32 v168, vcc_lo, v73
	v_and_b32_e32 v166, v167, v166
	s_delay_alu instid0(VALU_DEP_3) | instskip(NEXT) | instid1(VALU_DEP_2)
	v_xor_b32_e32 v167, s10, v74
	v_and_b32_e32 v168, v166, v168
	ds_load_b32 v166, v23 offset:16
	; wave barrier
	v_and_b32_e32 v167, v168, v167
	s_delay_alu instid0(VALU_DEP_1) | instskip(SKIP_1) | instid1(VALU_DEP_2)
	v_mbcnt_lo_u32_b32 v168, v167, 0
	v_cmp_ne_u32_e64 s10, 0, v167
	v_cmp_eq_u32_e32 vcc_lo, 0, v168
	s_delay_alu instid0(VALU_DEP_2) | instskip(NEXT) | instid1(SALU_CYCLE_1)
	s_and_b32 vcc_lo, s10, vcc_lo
	s_and_saveexec_b32 s10, vcc_lo
	s_cbranch_execz .LBB56_28
; %bb.27:                               ;   in Loop: Header=BB56_2 Depth=1
	s_waitcnt lgkmcnt(0)
	v_bcnt_u32_b32 v166, v167, v166
	ds_store_b32 v23, v166 offset:16
.LBB56_28:                              ;   in Loop: Header=BB56_2 Depth=1
	s_or_b32 exec_lo, exec_lo, s10
	s_waitcnt lgkmcnt(0)
	v_cndmask_b32_e64 v166, 0, 1, s24
	v_cndmask_b32_e64 v167, 0, 1, s52
	v_cndmask_b32_e64 v168, 0, 1, s54
	; wave barrier
	s_delay_alu instid0(VALU_DEP_3) | instskip(SKIP_1) | instid1(VALU_DEP_4)
	v_cmp_ne_u32_e32 vcc_lo, 0, v166
	v_cndmask_b32_e64 v166, 0, 1, s53
	v_cmp_ne_u32_e64 s10, 0, v167
	v_xor_b32_e32 v167, vcc_lo, v147
	s_delay_alu instid0(VALU_DEP_3) | instskip(NEXT) | instid1(VALU_DEP_3)
	v_cmp_ne_u32_e32 vcc_lo, 0, v166
	v_xor_b32_e32 v166, s10, v75
	v_cmp_ne_u32_e64 s10, 0, v168
	s_delay_alu instid0(VALU_DEP_4) | instskip(SKIP_1) | instid1(VALU_DEP_2)
	v_and_b32_e32 v167, exec_lo, v167
	v_xor_b32_e32 v168, vcc_lo, v76
	v_and_b32_e32 v166, v167, v166
	s_delay_alu instid0(VALU_DEP_4) | instskip(NEXT) | instid1(VALU_DEP_2)
	v_xor_b32_e32 v167, s10, v77
	v_and_b32_e32 v168, v166, v168
	ds_load_b32 v166, v24 offset:16
	; wave barrier
	v_and_b32_e32 v167, v168, v167
	s_delay_alu instid0(VALU_DEP_1) | instskip(SKIP_1) | instid1(VALU_DEP_2)
	v_mbcnt_lo_u32_b32 v168, v167, 0
	v_cmp_ne_u32_e64 s10, 0, v167
	v_cmp_eq_u32_e32 vcc_lo, 0, v168
	s_delay_alu instid0(VALU_DEP_2) | instskip(NEXT) | instid1(SALU_CYCLE_1)
	s_and_b32 vcc_lo, s10, vcc_lo
	s_and_saveexec_b32 s10, vcc_lo
	s_cbranch_execz .LBB56_30
; %bb.29:                               ;   in Loop: Header=BB56_2 Depth=1
	s_waitcnt lgkmcnt(0)
	v_bcnt_u32_b32 v166, v167, v166
	ds_store_b32 v24, v166 offset:16
.LBB56_30:                              ;   in Loop: Header=BB56_2 Depth=1
	s_or_b32 exec_lo, exec_lo, s10
	s_waitcnt lgkmcnt(0)
	v_cndmask_b32_e64 v166, 0, 1, s25
	v_cndmask_b32_e64 v167, 0, 1, s55
	v_cndmask_b32_e64 v168, 0, 1, s57
	; wave barrier
	s_delay_alu instid0(VALU_DEP_3) | instskip(SKIP_1) | instid1(VALU_DEP_4)
	v_cmp_ne_u32_e32 vcc_lo, 0, v166
	v_cndmask_b32_e64 v166, 0, 1, s56
	v_cmp_ne_u32_e64 s10, 0, v167
	v_xor_b32_e32 v167, vcc_lo, v148
	s_delay_alu instid0(VALU_DEP_3) | instskip(NEXT) | instid1(VALU_DEP_3)
	v_cmp_ne_u32_e32 vcc_lo, 0, v166
	v_xor_b32_e32 v166, s10, v78
	v_cmp_ne_u32_e64 s10, 0, v168
	s_delay_alu instid0(VALU_DEP_4) | instskip(SKIP_1) | instid1(VALU_DEP_2)
	v_and_b32_e32 v167, exec_lo, v167
	v_xor_b32_e32 v168, vcc_lo, v79
	v_and_b32_e32 v166, v167, v166
	s_delay_alu instid0(VALU_DEP_4) | instskip(NEXT) | instid1(VALU_DEP_2)
	;; [unrolled: 38-line block ×3, first 2 shown]
	v_xor_b32_e32 v167, s10, v83
	v_and_b32_e32 v168, v166, v168
	ds_load_b32 v166, v27 offset:16
	; wave barrier
	v_and_b32_e32 v167, v168, v167
	s_delay_alu instid0(VALU_DEP_1) | instskip(SKIP_1) | instid1(VALU_DEP_2)
	v_mbcnt_lo_u32_b32 v168, v167, 0
	v_cmp_ne_u32_e64 s10, 0, v167
	v_cmp_eq_u32_e32 vcc_lo, 0, v168
	s_delay_alu instid0(VALU_DEP_2) | instskip(NEXT) | instid1(SALU_CYCLE_1)
	s_and_b32 vcc_lo, s10, vcc_lo
	s_and_saveexec_b32 s10, vcc_lo
	s_cbranch_execz .LBB56_34
; %bb.33:                               ;   in Loop: Header=BB56_2 Depth=1
	s_waitcnt lgkmcnt(0)
	v_bcnt_u32_b32 v166, v167, v166
	ds_store_b32 v27, v166 offset:16
.LBB56_34:                              ;   in Loop: Header=BB56_2 Depth=1
	s_or_b32 exec_lo, exec_lo, s10
	; wave barrier
	s_waitcnt lgkmcnt(0)
	s_barrier
	buffer_gl0_inv
	ds_load_b32 v166, v0 offset:16
	s_waitcnt lgkmcnt(0)
	v_mov_b32_dpp v167, v166 row_shr:1 row_mask:0xf bank_mask:0xf
	s_delay_alu instid0(VALU_DEP_1) | instskip(NEXT) | instid1(VALU_DEP_1)
	v_cndmask_b32_e64 v167, v167, 0, s5
	v_add_nc_u32_e32 v166, v167, v166
	s_delay_alu instid0(VALU_DEP_1) | instskip(NEXT) | instid1(VALU_DEP_1)
	v_mov_b32_dpp v167, v166 row_shr:2 row_mask:0xf bank_mask:0xf
	v_cndmask_b32_e64 v167, 0, v167, s0
	s_delay_alu instid0(VALU_DEP_1) | instskip(NEXT) | instid1(VALU_DEP_1)
	v_add_nc_u32_e32 v166, v166, v167
	v_mov_b32_dpp v167, v166 row_shr:4 row_mask:0xf bank_mask:0xf
	s_delay_alu instid0(VALU_DEP_1) | instskip(NEXT) | instid1(VALU_DEP_1)
	v_cndmask_b32_e64 v167, 0, v167, s1
	v_add_nc_u32_e32 v166, v166, v167
	s_delay_alu instid0(VALU_DEP_1) | instskip(NEXT) | instid1(VALU_DEP_1)
	v_mov_b32_dpp v167, v166 row_shr:8 row_mask:0xf bank_mask:0xf
	v_cndmask_b32_e64 v167, 0, v167, s2
	s_delay_alu instid0(VALU_DEP_1) | instskip(SKIP_3) | instid1(VALU_DEP_1)
	v_add_nc_u32_e32 v166, v166, v167
	ds_swizzle_b32 v167, v166 offset:swizzle(BROADCAST,32,15)
	s_waitcnt lgkmcnt(0)
	v_cndmask_b32_e64 v167, v167, 0, s3
	v_add_nc_u32_e32 v166, v166, v167
	s_and_saveexec_b32 s10, s6
	s_delay_alu instid0(SALU_CYCLE_1)
	s_xor_b32 s10, exec_lo, s10
	s_cbranch_execz .LBB56_36
; %bb.35:                               ;   in Loop: Header=BB56_2 Depth=1
	ds_store_b32 v34, v166
.LBB56_36:                              ;   in Loop: Header=BB56_2 Depth=1
	s_or_b32 exec_lo, exec_lo, s10
	s_waitcnt lgkmcnt(0)
	s_barrier
	buffer_gl0_inv
	s_and_saveexec_b32 s10, s7
	s_cbranch_execz .LBB56_38
; %bb.37:                               ;   in Loop: Header=BB56_2 Depth=1
	ds_load_b32 v167, v0
	v_readlane_b32 vcc_lo, v201, 4
	s_waitcnt lgkmcnt(0)
	v_mov_b32_dpp v168, v167 row_shr:1 row_mask:0xf bank_mask:0xf
	s_delay_alu instid0(VALU_DEP_1) | instskip(SKIP_1) | instid1(VALU_DEP_2)
	v_cndmask_b32_e64 v168, v168, 0, vcc_lo
	v_readlane_b32 vcc_lo, v201, 5
	v_add_nc_u32_e32 v167, v168, v167
	s_delay_alu instid0(VALU_DEP_1) | instskip(NEXT) | instid1(VALU_DEP_1)
	v_mov_b32_dpp v168, v167 row_shr:2 row_mask:0xf bank_mask:0xf
	v_cndmask_b32_e32 v168, 0, v168, vcc_lo
	s_delay_alu instid0(VALU_DEP_1)
	v_add_nc_u32_e32 v167, v167, v168
	ds_store_b32 v0, v167
.LBB56_38:                              ;   in Loop: Header=BB56_2 Depth=1
	s_or_b32 exec_lo, exec_lo, s10
	v_mov_b32_e32 v167, 0
	s_waitcnt lgkmcnt(0)
	s_barrier
	buffer_gl0_inv
	s_and_saveexec_b32 s10, s8
	s_cbranch_execz .LBB56_40
; %bb.39:                               ;   in Loop: Header=BB56_2 Depth=1
	ds_load_b32 v167, v133
.LBB56_40:                              ;   in Loop: Header=BB56_2 Depth=1
	s_or_b32 exec_lo, exec_lo, s10
	v_cndmask_b32_e64 v168, 0, 1, s27
	s_waitcnt lgkmcnt(0)
	v_add_nc_u32_e32 v166, v167, v166
	v_cndmask_b32_e64 v169, 0, 1, s61
	v_cndmask_b32_e64 v170, 0, 1, s63
	v_cmp_ne_u32_e32 vcc_lo, 0, v168
	v_cndmask_b32_e64 v168, 0, 1, s62
	ds_bpermute_b32 v166, v35, v166
	v_cmp_ne_u32_e64 s10, 0, v169
	v_xor_b32_e32 v169, vcc_lo, v150
	v_cmp_ne_u32_e32 vcc_lo, 0, v168
	s_delay_alu instid0(VALU_DEP_3) | instskip(SKIP_1) | instid1(VALU_DEP_4)
	v_xor_b32_e32 v168, s10, v84
	v_cmp_ne_u32_e64 s10, 0, v170
	v_and_b32_e32 v169, exec_lo, v169
	v_xor_b32_e32 v170, vcc_lo, v85
	s_delay_alu instid0(VALU_DEP_2) | instskip(NEXT) | instid1(VALU_DEP_4)
	v_and_b32_e32 v168, v169, v168
	v_xor_b32_e32 v169, s10, v86
	s_delay_alu instid0(VALU_DEP_2) | instskip(SKIP_2) | instid1(VALU_DEP_2)
	v_and_b32_e32 v168, v168, v170
	s_waitcnt lgkmcnt(0)
	v_cndmask_b32_e64 v166, v166, v167, s9
	v_and_b32_e32 v167, v168, v169
	ds_store_b32 v0, v166 offset:16
	s_waitcnt lgkmcnt(0)
	s_barrier
	v_mbcnt_lo_u32_b32 v166, v167, 0
	v_cmp_ne_u32_e64 s10, 0, v167
	buffer_gl0_inv
	ds_store_b32 v0, v132 offset:16
	s_waitcnt lgkmcnt(0)
	v_cmp_eq_u32_e32 vcc_lo, 0, v166
	s_barrier
	buffer_gl0_inv
	; wave barrier
	s_and_b32 vcc_lo, s10, vcc_lo
	s_delay_alu instid0(SALU_CYCLE_1)
	s_and_saveexec_b32 s10, vcc_lo
	s_cbranch_execz .LBB56_42
; %bb.41:                               ;   in Loop: Header=BB56_2 Depth=1
	v_bcnt_u32_b32 v167, v167, 0
	ds_store_b32 v1, v167 offset:16
.LBB56_42:                              ;   in Loop: Header=BB56_2 Depth=1
	s_or_b32 exec_lo, exec_lo, s10
	v_cndmask_b32_e64 v167, 0, 1, s28
	v_cndmask_b32_e64 v168, 0, 1, s64
	v_cndmask_b32_e64 v169, 0, 1, s66
	; wave barrier
	s_delay_alu instid0(VALU_DEP_3) | instskip(SKIP_1) | instid1(VALU_DEP_4)
	v_cmp_ne_u32_e32 vcc_lo, 0, v167
	v_cndmask_b32_e64 v167, 0, 1, s65
	v_cmp_ne_u32_e64 s10, 0, v168
	v_xor_b32_e32 v168, vcc_lo, v151
	s_delay_alu instid0(VALU_DEP_3) | instskip(NEXT) | instid1(VALU_DEP_3)
	v_cmp_ne_u32_e32 vcc_lo, 0, v167
	v_xor_b32_e32 v167, s10, v87
	v_cmp_ne_u32_e64 s10, 0, v169
	s_delay_alu instid0(VALU_DEP_4) | instskip(SKIP_1) | instid1(VALU_DEP_2)
	v_and_b32_e32 v168, exec_lo, v168
	v_xor_b32_e32 v169, vcc_lo, v88
	v_and_b32_e32 v167, v168, v167
	s_delay_alu instid0(VALU_DEP_4) | instskip(NEXT) | instid1(VALU_DEP_2)
	v_xor_b32_e32 v168, s10, v89
	v_and_b32_e32 v169, v167, v169
	ds_load_b32 v167, v3 offset:16
	; wave barrier
	v_and_b32_e32 v169, v169, v168
	s_delay_alu instid0(VALU_DEP_1) | instskip(SKIP_1) | instid1(VALU_DEP_2)
	v_mbcnt_lo_u32_b32 v168, v169, 0
	v_cmp_ne_u32_e64 s10, 0, v169
	v_cmp_eq_u32_e32 vcc_lo, 0, v168
	s_delay_alu instid0(VALU_DEP_2) | instskip(NEXT) | instid1(SALU_CYCLE_1)
	s_and_b32 vcc_lo, s10, vcc_lo
	s_and_saveexec_b32 s10, vcc_lo
	s_cbranch_execz .LBB56_44
; %bb.43:                               ;   in Loop: Header=BB56_2 Depth=1
	s_waitcnt lgkmcnt(0)
	v_bcnt_u32_b32 v169, v169, v167
	ds_store_b32 v3, v169 offset:16
.LBB56_44:                              ;   in Loop: Header=BB56_2 Depth=1
	s_or_b32 exec_lo, exec_lo, s10
	v_cndmask_b32_e64 v169, 0, 1, s29
	v_cndmask_b32_e64 v170, 0, 1, s67
	v_cndmask_b32_e64 v171, 0, 1, s69
	; wave barrier
	s_delay_alu instid0(VALU_DEP_3) | instskip(SKIP_1) | instid1(VALU_DEP_4)
	v_cmp_ne_u32_e32 vcc_lo, 0, v169
	v_cndmask_b32_e64 v169, 0, 1, s68
	v_cmp_ne_u32_e64 s10, 0, v170
	v_xor_b32_e32 v170, vcc_lo, v152
	s_delay_alu instid0(VALU_DEP_3) | instskip(NEXT) | instid1(VALU_DEP_3)
	v_cmp_ne_u32_e32 vcc_lo, 0, v169
	v_xor_b32_e32 v169, s10, v90
	v_cmp_ne_u32_e64 s10, 0, v171
	s_delay_alu instid0(VALU_DEP_4) | instskip(SKIP_1) | instid1(VALU_DEP_2)
	v_and_b32_e32 v170, exec_lo, v170
	v_xor_b32_e32 v171, vcc_lo, v91
	v_and_b32_e32 v169, v170, v169
	s_delay_alu instid0(VALU_DEP_4) | instskip(NEXT) | instid1(VALU_DEP_2)
	v_xor_b32_e32 v170, s10, v92
	v_and_b32_e32 v171, v169, v171
	ds_load_b32 v169, v5 offset:16
	; wave barrier
	v_and_b32_e32 v171, v171, v170
	s_delay_alu instid0(VALU_DEP_1) | instskip(SKIP_1) | instid1(VALU_DEP_2)
	v_mbcnt_lo_u32_b32 v170, v171, 0
	v_cmp_ne_u32_e64 s10, 0, v171
	v_cmp_eq_u32_e32 vcc_lo, 0, v170
	s_delay_alu instid0(VALU_DEP_2) | instskip(NEXT) | instid1(SALU_CYCLE_1)
	s_and_b32 vcc_lo, s10, vcc_lo
	s_and_saveexec_b32 s10, vcc_lo
	s_cbranch_execz .LBB56_46
; %bb.45:                               ;   in Loop: Header=BB56_2 Depth=1
	s_waitcnt lgkmcnt(0)
	v_bcnt_u32_b32 v171, v171, v169
	ds_store_b32 v5, v171 offset:16
.LBB56_46:                              ;   in Loop: Header=BB56_2 Depth=1
	s_or_b32 exec_lo, exec_lo, s10
	v_cndmask_b32_e64 v171, 0, 1, s30
	v_cndmask_b32_e64 v172, 0, 1, s70
	; wave barrier
	s_delay_alu instid0(VALU_DEP_2) | instskip(SKIP_1) | instid1(VALU_DEP_3)
	v_cmp_ne_u32_e32 vcc_lo, 0, v171
	v_cndmask_b32_e64 v171, 0, 1, s71
	v_cmp_ne_u32_e64 s10, 0, v172
	v_xor_b32_e32 v172, vcc_lo, v153
	v_readlane_b32 vcc_lo, v201, 6
	s_delay_alu instid0(VALU_DEP_2) | instskip(NEXT) | instid1(VALU_DEP_2)
	v_and_b32_e32 v172, exec_lo, v172
	v_cndmask_b32_e64 v173, 0, 1, vcc_lo
	v_cmp_ne_u32_e32 vcc_lo, 0, v171
	v_xor_b32_e32 v171, s10, v93
	s_delay_alu instid0(VALU_DEP_3) | instskip(SKIP_1) | instid1(VALU_DEP_3)
	v_cmp_ne_u32_e64 s10, 0, v173
	v_xor_b32_e32 v173, vcc_lo, v94
	v_and_b32_e32 v171, v172, v171
	s_delay_alu instid0(VALU_DEP_3) | instskip(NEXT) | instid1(VALU_DEP_2)
	v_xor_b32_e32 v172, s10, v95
	v_and_b32_e32 v173, v171, v173
	ds_load_b32 v171, v6 offset:16
	; wave barrier
	v_and_b32_e32 v173, v173, v172
	s_delay_alu instid0(VALU_DEP_1) | instskip(SKIP_1) | instid1(VALU_DEP_2)
	v_mbcnt_lo_u32_b32 v172, v173, 0
	v_cmp_ne_u32_e64 s10, 0, v173
	v_cmp_eq_u32_e32 vcc_lo, 0, v172
	s_delay_alu instid0(VALU_DEP_2) | instskip(NEXT) | instid1(SALU_CYCLE_1)
	s_and_b32 vcc_lo, s10, vcc_lo
	s_and_saveexec_b32 s10, vcc_lo
	s_cbranch_execz .LBB56_48
; %bb.47:                               ;   in Loop: Header=BB56_2 Depth=1
	s_waitcnt lgkmcnt(0)
	v_bcnt_u32_b32 v173, v173, v171
	ds_store_b32 v6, v173 offset:16
.LBB56_48:                              ;   in Loop: Header=BB56_2 Depth=1
	s_or_b32 exec_lo, exec_lo, s10
	v_cndmask_b32_e64 v173, 0, 1, s31
	v_cndmask_b32_e64 v174, 0, 1, s72
	v_cndmask_b32_e64 v175, 0, 1, s74
	; wave barrier
	s_delay_alu instid0(VALU_DEP_3) | instskip(SKIP_1) | instid1(VALU_DEP_4)
	v_cmp_ne_u32_e32 vcc_lo, 0, v173
	v_cndmask_b32_e64 v173, 0, 1, s73
	v_cmp_ne_u32_e64 s10, 0, v174
	v_xor_b32_e32 v174, vcc_lo, v154
	s_delay_alu instid0(VALU_DEP_3) | instskip(NEXT) | instid1(VALU_DEP_3)
	v_cmp_ne_u32_e32 vcc_lo, 0, v173
	v_xor_b32_e32 v173, s10, v96
	v_cmp_ne_u32_e64 s10, 0, v175
	s_delay_alu instid0(VALU_DEP_4) | instskip(SKIP_1) | instid1(VALU_DEP_2)
	v_and_b32_e32 v174, exec_lo, v174
	v_xor_b32_e32 v175, vcc_lo, v97
	v_and_b32_e32 v173, v174, v173
	s_delay_alu instid0(VALU_DEP_4) | instskip(NEXT) | instid1(VALU_DEP_2)
	v_xor_b32_e32 v174, s10, v98
	v_and_b32_e32 v175, v173, v175
	ds_load_b32 v173, v4 offset:16
	; wave barrier
	v_and_b32_e32 v175, v175, v174
	s_delay_alu instid0(VALU_DEP_1) | instskip(SKIP_1) | instid1(VALU_DEP_2)
	v_mbcnt_lo_u32_b32 v174, v175, 0
	v_cmp_ne_u32_e64 s10, 0, v175
	v_cmp_eq_u32_e32 vcc_lo, 0, v174
	s_delay_alu instid0(VALU_DEP_2) | instskip(NEXT) | instid1(SALU_CYCLE_1)
	s_and_b32 vcc_lo, s10, vcc_lo
	s_and_saveexec_b32 s10, vcc_lo
	s_cbranch_execz .LBB56_50
; %bb.49:                               ;   in Loop: Header=BB56_2 Depth=1
	s_waitcnt lgkmcnt(0)
	v_bcnt_u32_b32 v175, v175, v173
	ds_store_b32 v4, v175 offset:16
.LBB56_50:                              ;   in Loop: Header=BB56_2 Depth=1
	s_or_b32 exec_lo, exec_lo, s10
	v_cndmask_b32_e64 v175, 0, 1, s33
	v_cndmask_b32_e64 v176, 0, 1, s75
	v_cndmask_b32_e64 v177, 0, 1, s77
	; wave barrier
	s_delay_alu instid0(VALU_DEP_3) | instskip(SKIP_1) | instid1(VALU_DEP_4)
	v_cmp_ne_u32_e32 vcc_lo, 0, v175
	v_cndmask_b32_e64 v175, 0, 1, s76
	v_cmp_ne_u32_e64 s10, 0, v176
	v_xor_b32_e32 v176, vcc_lo, v155
	s_delay_alu instid0(VALU_DEP_3) | instskip(NEXT) | instid1(VALU_DEP_3)
	v_cmp_ne_u32_e32 vcc_lo, 0, v175
	v_xor_b32_e32 v175, s10, v99
	v_cmp_ne_u32_e64 s10, 0, v177
	s_delay_alu instid0(VALU_DEP_4) | instskip(SKIP_1) | instid1(VALU_DEP_2)
	v_and_b32_e32 v176, exec_lo, v176
	v_xor_b32_e32 v177, vcc_lo, v100
	v_and_b32_e32 v175, v176, v175
	s_delay_alu instid0(VALU_DEP_4) | instskip(NEXT) | instid1(VALU_DEP_2)
	;; [unrolled: 37-line block ×3, first 2 shown]
	v_xor_b32_e32 v178, s10, v104
	v_and_b32_e32 v179, v177, v179
	ds_load_b32 v177, v12 offset:16
	; wave barrier
	v_and_b32_e32 v179, v179, v178
	s_delay_alu instid0(VALU_DEP_1) | instskip(SKIP_1) | instid1(VALU_DEP_2)
	v_mbcnt_lo_u32_b32 v178, v179, 0
	v_cmp_ne_u32_e64 s10, 0, v179
	v_cmp_eq_u32_e32 vcc_lo, 0, v178
	s_delay_alu instid0(VALU_DEP_2) | instskip(NEXT) | instid1(SALU_CYCLE_1)
	s_and_b32 vcc_lo, s10, vcc_lo
	s_and_saveexec_b32 s10, vcc_lo
	s_cbranch_execz .LBB56_54
; %bb.53:                               ;   in Loop: Header=BB56_2 Depth=1
	s_waitcnt lgkmcnt(0)
	v_bcnt_u32_b32 v179, v179, v177
	ds_store_b32 v12, v179 offset:16
.LBB56_54:                              ;   in Loop: Header=BB56_2 Depth=1
	s_or_b32 exec_lo, exec_lo, s10
	v_cndmask_b32_e64 v179, 0, 1, s35
	v_cndmask_b32_e64 v180, 0, 1, s81
	; wave barrier
	s_delay_alu instid0(VALU_DEP_2) | instskip(SKIP_1) | instid1(VALU_DEP_3)
	v_cmp_ne_u32_e32 vcc_lo, 0, v179
	v_cndmask_b32_e64 v179, 0, 1, s82
	v_cmp_ne_u32_e64 s10, 0, v180
	v_xor_b32_e32 v180, vcc_lo, v157
	v_readlane_b32 vcc_lo, v201, 7
	s_delay_alu instid0(VALU_DEP_2) | instskip(NEXT) | instid1(VALU_DEP_2)
	v_and_b32_e32 v180, exec_lo, v180
	v_cndmask_b32_e64 v181, 0, 1, vcc_lo
	v_cmp_ne_u32_e32 vcc_lo, 0, v179
	v_xor_b32_e32 v179, s10, v105
	s_delay_alu instid0(VALU_DEP_3) | instskip(SKIP_1) | instid1(VALU_DEP_3)
	v_cmp_ne_u32_e64 s10, 0, v181
	v_xor_b32_e32 v181, vcc_lo, v106
	v_and_b32_e32 v179, v180, v179
	s_delay_alu instid0(VALU_DEP_3) | instskip(NEXT) | instid1(VALU_DEP_2)
	v_xor_b32_e32 v180, s10, v107
	v_and_b32_e32 v181, v179, v181
	ds_load_b32 v179, v17 offset:16
	; wave barrier
	v_and_b32_e32 v181, v181, v180
	s_delay_alu instid0(VALU_DEP_1) | instskip(SKIP_1) | instid1(VALU_DEP_2)
	v_mbcnt_lo_u32_b32 v180, v181, 0
	v_cmp_ne_u32_e64 s10, 0, v181
	v_cmp_eq_u32_e32 vcc_lo, 0, v180
	s_delay_alu instid0(VALU_DEP_2) | instskip(NEXT) | instid1(SALU_CYCLE_1)
	s_and_b32 vcc_lo, s10, vcc_lo
	s_and_saveexec_b32 s10, vcc_lo
	s_cbranch_execz .LBB56_56
; %bb.55:                               ;   in Loop: Header=BB56_2 Depth=1
	s_waitcnt lgkmcnt(0)
	v_bcnt_u32_b32 v181, v181, v179
	ds_store_b32 v17, v181 offset:16
.LBB56_56:                              ;   in Loop: Header=BB56_2 Depth=1
	s_or_b32 exec_lo, exec_lo, s10
	v_cndmask_b32_e64 v181, 0, 1, s36
	v_cndmask_b32_e64 v182, 0, 1, s83
	v_cndmask_b32_e64 v183, 0, 1, s85
	; wave barrier
	s_delay_alu instid0(VALU_DEP_3) | instskip(SKIP_1) | instid1(VALU_DEP_4)
	v_cmp_ne_u32_e32 vcc_lo, 0, v181
	v_cndmask_b32_e64 v181, 0, 1, s84
	v_cmp_ne_u32_e64 s10, 0, v182
	v_xor_b32_e32 v182, vcc_lo, v158
	s_delay_alu instid0(VALU_DEP_3) | instskip(NEXT) | instid1(VALU_DEP_3)
	v_cmp_ne_u32_e32 vcc_lo, 0, v181
	v_xor_b32_e32 v181, s10, v108
	v_cmp_ne_u32_e64 s10, 0, v183
	s_delay_alu instid0(VALU_DEP_4) | instskip(SKIP_1) | instid1(VALU_DEP_2)
	v_and_b32_e32 v182, exec_lo, v182
	v_xor_b32_e32 v183, vcc_lo, v109
	v_and_b32_e32 v181, v182, v181
	s_delay_alu instid0(VALU_DEP_4) | instskip(NEXT) | instid1(VALU_DEP_2)
	v_xor_b32_e32 v182, s10, v110
	v_and_b32_e32 v183, v181, v183
	ds_load_b32 v181, v21 offset:16
	; wave barrier
	v_and_b32_e32 v183, v183, v182
	s_delay_alu instid0(VALU_DEP_1) | instskip(SKIP_1) | instid1(VALU_DEP_2)
	v_mbcnt_lo_u32_b32 v182, v183, 0
	v_cmp_ne_u32_e64 s10, 0, v183
	v_cmp_eq_u32_e32 vcc_lo, 0, v182
	s_delay_alu instid0(VALU_DEP_2) | instskip(NEXT) | instid1(SALU_CYCLE_1)
	s_and_b32 vcc_lo, s10, vcc_lo
	s_and_saveexec_b32 s10, vcc_lo
	s_cbranch_execz .LBB56_58
; %bb.57:                               ;   in Loop: Header=BB56_2 Depth=1
	s_waitcnt lgkmcnt(0)
	v_bcnt_u32_b32 v183, v183, v181
	ds_store_b32 v21, v183 offset:16
.LBB56_58:                              ;   in Loop: Header=BB56_2 Depth=1
	s_or_b32 exec_lo, exec_lo, s10
	v_cndmask_b32_e64 v183, 0, 1, s37
	v_cndmask_b32_e64 v184, 0, 1, s86
	v_cndmask_b32_e64 v185, 0, 1, s88
	; wave barrier
	s_delay_alu instid0(VALU_DEP_3) | instskip(SKIP_1) | instid1(VALU_DEP_4)
	v_cmp_ne_u32_e32 vcc_lo, 0, v183
	v_cndmask_b32_e64 v183, 0, 1, s87
	v_cmp_ne_u32_e64 s10, 0, v184
	v_xor_b32_e32 v184, vcc_lo, v159
	s_delay_alu instid0(VALU_DEP_3) | instskip(NEXT) | instid1(VALU_DEP_3)
	v_cmp_ne_u32_e32 vcc_lo, 0, v183
	v_xor_b32_e32 v183, s10, v111
	v_cmp_ne_u32_e64 s10, 0, v185
	s_delay_alu instid0(VALU_DEP_4) | instskip(SKIP_1) | instid1(VALU_DEP_2)
	v_and_b32_e32 v184, exec_lo, v184
	v_xor_b32_e32 v185, vcc_lo, v112
	v_and_b32_e32 v183, v184, v183
	s_delay_alu instid0(VALU_DEP_4) | instskip(NEXT) | instid1(VALU_DEP_2)
	;; [unrolled: 37-line block ×7, first 2 shown]
	v_xor_b32_e32 v194, s10, v128
	v_and_b32_e32 v195, v193, v195
	ds_load_b32 v193, v32 offset:16
	; wave barrier
	v_and_b32_e32 v195, v195, v194
	s_delay_alu instid0(VALU_DEP_1) | instskip(SKIP_1) | instid1(VALU_DEP_2)
	v_mbcnt_lo_u32_b32 v194, v195, 0
	v_cmp_ne_u32_e64 s10, 0, v195
	v_cmp_eq_u32_e32 vcc_lo, 0, v194
	s_delay_alu instid0(VALU_DEP_2) | instskip(NEXT) | instid1(SALU_CYCLE_1)
	s_and_b32 vcc_lo, s10, vcc_lo
	s_and_saveexec_b32 s10, vcc_lo
	s_cbranch_execz .LBB56_70
; %bb.69:                               ;   in Loop: Header=BB56_2 Depth=1
	s_waitcnt lgkmcnt(0)
	v_bcnt_u32_b32 v195, v195, v193
	ds_store_b32 v32, v195 offset:16
.LBB56_70:                              ;   in Loop: Header=BB56_2 Depth=1
	s_or_b32 exec_lo, exec_lo, s10
	v_cndmask_b32_e64 v195, 0, 1, s43
	v_cndmask_b32_e64 v196, 0, 1, s104
	;; [unrolled: 1-line block ×3, first 2 shown]
	; wave barrier
	s_delay_alu instid0(VALU_DEP_3) | instskip(NEXT) | instid1(VALU_DEP_3)
	v_cmp_ne_u32_e32 vcc_lo, 0, v195
	v_cmp_ne_u32_e64 s10, 0, v196
	v_cndmask_b32_e64 v195, 0, 1, vcc_hi
	v_xor_b32_e32 v196, vcc_lo, v165
	s_delay_alu instid0(VALU_DEP_2) | instskip(NEXT) | instid1(VALU_DEP_4)
	v_cmp_ne_u32_e32 vcc_lo, 0, v195
	v_xor_b32_e32 v195, s10, v129
	s_delay_alu instid0(VALU_DEP_3) | instskip(SKIP_2) | instid1(VALU_DEP_3)
	v_and_b32_e32 v196, exec_lo, v196
	v_cmp_ne_u32_e64 s10, 0, v197
	v_xor_b32_e32 v197, vcc_lo, v130
	v_and_b32_e32 v195, v196, v195
	s_delay_alu instid0(VALU_DEP_3) | instskip(NEXT) | instid1(VALU_DEP_2)
	v_xor_b32_e32 v196, s10, v131
	v_and_b32_e32 v197, v195, v197
	ds_load_b32 v195, v33 offset:16
	; wave barrier
	v_and_b32_e32 v197, v197, v196
	s_delay_alu instid0(VALU_DEP_1) | instskip(SKIP_1) | instid1(VALU_DEP_2)
	v_mbcnt_lo_u32_b32 v196, v197, 0
	v_cmp_ne_u32_e64 s10, 0, v197
	v_cmp_eq_u32_e32 vcc_lo, 0, v196
	s_delay_alu instid0(VALU_DEP_2) | instskip(NEXT) | instid1(SALU_CYCLE_1)
	s_and_b32 vcc_lo, s10, vcc_lo
	s_and_saveexec_b32 s10, vcc_lo
	s_cbranch_execz .LBB56_72
; %bb.71:                               ;   in Loop: Header=BB56_2 Depth=1
	s_waitcnt lgkmcnt(0)
	v_bcnt_u32_b32 v197, v197, v195
	ds_store_b32 v33, v197 offset:16
.LBB56_72:                              ;   in Loop: Header=BB56_2 Depth=1
	s_or_b32 exec_lo, exec_lo, s10
	; wave barrier
	s_waitcnt lgkmcnt(0)
	s_barrier
	buffer_gl0_inv
	ds_load_b32 v197, v0 offset:16
	s_waitcnt lgkmcnt(0)
	v_mov_b32_dpp v198, v197 row_shr:1 row_mask:0xf bank_mask:0xf
	s_delay_alu instid0(VALU_DEP_1) | instskip(NEXT) | instid1(VALU_DEP_1)
	v_cndmask_b32_e64 v198, v198, 0, s5
	v_add_nc_u32_e32 v197, v198, v197
	s_delay_alu instid0(VALU_DEP_1) | instskip(NEXT) | instid1(VALU_DEP_1)
	v_mov_b32_dpp v198, v197 row_shr:2 row_mask:0xf bank_mask:0xf
	v_cndmask_b32_e64 v198, 0, v198, s0
	s_delay_alu instid0(VALU_DEP_1) | instskip(NEXT) | instid1(VALU_DEP_1)
	v_add_nc_u32_e32 v197, v197, v198
	v_mov_b32_dpp v198, v197 row_shr:4 row_mask:0xf bank_mask:0xf
	s_delay_alu instid0(VALU_DEP_1) | instskip(NEXT) | instid1(VALU_DEP_1)
	v_cndmask_b32_e64 v198, 0, v198, s1
	v_add_nc_u32_e32 v197, v197, v198
	s_delay_alu instid0(VALU_DEP_1) | instskip(NEXT) | instid1(VALU_DEP_1)
	v_mov_b32_dpp v198, v197 row_shr:8 row_mask:0xf bank_mask:0xf
	v_cndmask_b32_e64 v198, 0, v198, s2
	s_delay_alu instid0(VALU_DEP_1) | instskip(SKIP_3) | instid1(VALU_DEP_1)
	v_add_nc_u32_e32 v197, v197, v198
	ds_swizzle_b32 v198, v197 offset:swizzle(BROADCAST,32,15)
	s_waitcnt lgkmcnt(0)
	v_cndmask_b32_e64 v198, v198, 0, s3
	v_add_nc_u32_e32 v197, v197, v198
	s_and_saveexec_b32 s10, s6
	s_cbranch_execz .LBB56_74
; %bb.73:                               ;   in Loop: Header=BB56_2 Depth=1
	ds_store_b32 v34, v197
.LBB56_74:                              ;   in Loop: Header=BB56_2 Depth=1
	s_or_b32 exec_lo, exec_lo, s10
	s_waitcnt lgkmcnt(0)
	s_barrier
	buffer_gl0_inv
	s_and_saveexec_b32 s10, s7
	s_cbranch_execz .LBB56_76
; %bb.75:                               ;   in Loop: Header=BB56_2 Depth=1
	ds_load_b32 v198, v0
	v_readlane_b32 vcc_lo, v201, 4
	s_waitcnt lgkmcnt(0)
	v_mov_b32_dpp v199, v198 row_shr:1 row_mask:0xf bank_mask:0xf
	s_delay_alu instid0(VALU_DEP_1) | instskip(SKIP_1) | instid1(VALU_DEP_2)
	v_cndmask_b32_e64 v199, v199, 0, vcc_lo
	v_readlane_b32 vcc_lo, v201, 5
	v_add_nc_u32_e32 v198, v199, v198
	s_delay_alu instid0(VALU_DEP_1) | instskip(NEXT) | instid1(VALU_DEP_1)
	v_mov_b32_dpp v199, v198 row_shr:2 row_mask:0xf bank_mask:0xf
	v_cndmask_b32_e32 v199, 0, v199, vcc_lo
	s_delay_alu instid0(VALU_DEP_1)
	v_add_nc_u32_e32 v198, v198, v199
	ds_store_b32 v0, v198
.LBB56_76:                              ;   in Loop: Header=BB56_2 Depth=1
	s_or_b32 exec_lo, exec_lo, s10
	v_mov_b32_e32 v198, 0
	s_waitcnt lgkmcnt(0)
	s_barrier
	buffer_gl0_inv
	s_and_saveexec_b32 s10, s8
	s_cbranch_execz .LBB56_1
; %bb.77:                               ;   in Loop: Header=BB56_2 Depth=1
	ds_load_b32 v198, v133
	s_branch .LBB56_1
.LBB56_78:
	ds_load_b32 v0, v33 offset:16
	ds_load_b32 v7, v32 offset:16
	;; [unrolled: 1-line block ×16, first 2 shown]
	v_readlane_b32 s0, v201, 8
	v_readlane_b32 s4, v201, 0
	;; [unrolled: 1-line block ×5, first 2 shown]
	s_waitcnt lgkmcnt(15)
	v_add3_u32 v6, v196, v195, v0
	s_waitcnt lgkmcnt(14)
	v_add3_u32 v5, v194, v193, v7
	;; [unrolled: 2-line block ×3, first 2 shown]
	s_lshl_b64 s[0:1], s[0:1], 2
	s_waitcnt lgkmcnt(10)
	v_add3_u32 v9, v186, v185, v13
	s_waitcnt lgkmcnt(9)
	v_add3_u32 v8, v184, v183, v14
	;; [unrolled: 2-line block ×9, first 2 shown]
	s_waitcnt lgkmcnt(1)
	v_add_nc_u32_e32 v15, v1, v166
	v_lshlrev_b32_e32 v0, 2, v2
	s_mov_b64 s[2:3], s[6:7]
	v_add3_u32 v3, v190, v189, v10
	v_add3_u32 v10, v188, v187, v11
	s_waitcnt lgkmcnt(0)
	v_add3_u32 v11, v174, v173, v21
	s_add_u32 s0, s2, s0
	s_addc_u32 s1, s3, s1
	v_readlane_b32 s5, v201, 1
	s_clause 0x3
	global_store_b128 v0, v[15:18], s[0:1]
	global_store_b128 v0, v[11:14], s[0:1] offset:16
	global_store_b128 v0, v[7:10], s[0:1] offset:32
	global_store_b128 v0, v[3:6], s[0:1] offset:48
	s_nop 0
	s_sendmsg sendmsg(MSG_DEALLOC_VGPRS)
	s_endpgm
	.section	.rodata,"a",@progbits
	.p2align	6, 0x0
	.amdhsa_kernel _Z11rank_kernelIhLj4ELb0EL18RadixRankAlgorithm2ELj128ELj16ELj10EEvPKT_Pi
		.amdhsa_group_segment_fixed_size 528
		.amdhsa_private_segment_fixed_size 0
		.amdhsa_kernarg_size 272
		.amdhsa_user_sgpr_count 15
		.amdhsa_user_sgpr_dispatch_ptr 0
		.amdhsa_user_sgpr_queue_ptr 0
		.amdhsa_user_sgpr_kernarg_segment_ptr 1
		.amdhsa_user_sgpr_dispatch_id 0
		.amdhsa_user_sgpr_private_segment_size 0
		.amdhsa_wavefront_size32 1
		.amdhsa_uses_dynamic_stack 0
		.amdhsa_enable_private_segment 0
		.amdhsa_system_sgpr_workgroup_id_x 1
		.amdhsa_system_sgpr_workgroup_id_y 0
		.amdhsa_system_sgpr_workgroup_id_z 0
		.amdhsa_system_sgpr_workgroup_info 0
		.amdhsa_system_vgpr_workitem_id 2
		.amdhsa_next_free_vgpr 202
		.amdhsa_next_free_sgpr 105
		.amdhsa_reserve_vcc 1
		.amdhsa_float_round_mode_32 0
		.amdhsa_float_round_mode_16_64 0
		.amdhsa_float_denorm_mode_32 3
		.amdhsa_float_denorm_mode_16_64 3
		.amdhsa_dx10_clamp 1
		.amdhsa_ieee_mode 1
		.amdhsa_fp16_overflow 0
		.amdhsa_workgroup_processor_mode 1
		.amdhsa_memory_ordered 1
		.amdhsa_forward_progress 0
		.amdhsa_shared_vgpr_count 0
		.amdhsa_exception_fp_ieee_invalid_op 0
		.amdhsa_exception_fp_denorm_src 0
		.amdhsa_exception_fp_ieee_div_zero 0
		.amdhsa_exception_fp_ieee_overflow 0
		.amdhsa_exception_fp_ieee_underflow 0
		.amdhsa_exception_fp_ieee_inexact 0
		.amdhsa_exception_int_div_zero 0
	.end_amdhsa_kernel
	.section	.text._Z11rank_kernelIhLj4ELb0EL18RadixRankAlgorithm2ELj128ELj16ELj10EEvPKT_Pi,"axG",@progbits,_Z11rank_kernelIhLj4ELb0EL18RadixRankAlgorithm2ELj128ELj16ELj10EEvPKT_Pi,comdat
.Lfunc_end56:
	.size	_Z11rank_kernelIhLj4ELb0EL18RadixRankAlgorithm2ELj128ELj16ELj10EEvPKT_Pi, .Lfunc_end56-_Z11rank_kernelIhLj4ELb0EL18RadixRankAlgorithm2ELj128ELj16ELj10EEvPKT_Pi
                                        ; -- End function
	.section	.AMDGPU.csdata,"",@progbits
; Kernel info:
; codeLenInByte = 10980
; NumSgprs: 107
; NumVgprs: 202
; ScratchSize: 0
; MemoryBound: 0
; FloatMode: 240
; IeeeMode: 1
; LDSByteSize: 528 bytes/workgroup (compile time only)
; SGPRBlocks: 13
; VGPRBlocks: 25
; NumSGPRsForWavesPerEU: 107
; NumVGPRsForWavesPerEU: 202
; Occupancy: 7
; WaveLimiterHint : 0
; COMPUTE_PGM_RSRC2:SCRATCH_EN: 0
; COMPUTE_PGM_RSRC2:USER_SGPR: 15
; COMPUTE_PGM_RSRC2:TRAP_HANDLER: 0
; COMPUTE_PGM_RSRC2:TGID_X_EN: 1
; COMPUTE_PGM_RSRC2:TGID_Y_EN: 0
; COMPUTE_PGM_RSRC2:TGID_Z_EN: 0
; COMPUTE_PGM_RSRC2:TIDIG_COMP_CNT: 2
	.section	.text._Z11rank_kernelIhLj4ELb0EL18RadixRankAlgorithm0ELj128ELj32ELj10EEvPKT_Pi,"axG",@progbits,_Z11rank_kernelIhLj4ELb0EL18RadixRankAlgorithm0ELj128ELj32ELj10EEvPKT_Pi,comdat
	.protected	_Z11rank_kernelIhLj4ELb0EL18RadixRankAlgorithm0ELj128ELj32ELj10EEvPKT_Pi ; -- Begin function _Z11rank_kernelIhLj4ELb0EL18RadixRankAlgorithm0ELj128ELj32ELj10EEvPKT_Pi
	.globl	_Z11rank_kernelIhLj4ELb0EL18RadixRankAlgorithm0ELj128ELj32ELj10EEvPKT_Pi
	.p2align	8
	.type	_Z11rank_kernelIhLj4ELb0EL18RadixRankAlgorithm0ELj128ELj32ELj10EEvPKT_Pi,@function
_Z11rank_kernelIhLj4ELb0EL18RadixRankAlgorithm0ELj128ELj32ELj10EEvPKT_Pi: ; @_Z11rank_kernelIhLj4ELb0EL18RadixRankAlgorithm0ELj128ELj32ELj10EEvPKT_Pi
; %bb.0:
	s_load_b128 s[16:19], s[0:1], 0x0
	s_lshl_b32 s12, s15, 12
	v_dual_mov_b32 v2, 0 :: v_dual_lshlrev_b32 v1, 5, v0
	v_mbcnt_lo_u32_b32 v4, -1, 0
	v_or_b32_e32 v7, 31, v0
	v_lshrrev_b32_e32 v9, 3, v0
	v_lshlrev_b32_e32 v3, 2, v0
	v_or_b32_e32 v41, 0xffffff80, v0
	v_add_nc_u32_e32 v8, -1, v4
	v_and_b32_e32 v5, 15, v4
	v_and_b32_e32 v6, 16, v4
	;; [unrolled: 1-line block ×3, first 2 shown]
	v_cmp_eq_u32_e64 s2, 0, v4
	v_cmp_gt_i32_e32 vcc_lo, 0, v8
	v_cmp_eq_u32_e64 s3, 0, v5
	v_cmp_lt_u32_e64 s4, 1, v5
	v_cmp_lt_u32_e64 s5, 3, v5
	;; [unrolled: 1-line block ×3, first 2 shown]
	v_dual_cndmask_b32 v5, v8, v4 :: v_dual_and_b32 v4, 12, v9
	s_waitcnt lgkmcnt(0)
	s_add_u32 s0, s16, s12
	s_addc_u32 s1, s17, 0
	s_clause 0x1
	global_load_b128 v[23:26], v1, s[0:1]
	global_load_b128 v[36:39], v1, s[0:1] offset:16
	v_cmp_gt_u32_e64 s0, 4, v0
	v_cmp_lt_u32_e64 s1, 31, v0
	v_cmp_eq_u32_e64 s7, 0, v6
	v_cmp_eq_u32_e64 s8, v7, v0
	;; [unrolled: 1-line block ×3, first 2 shown]
	v_cmp_lt_u32_e64 s10, 1, v10
	v_lshlrev_b32_e32 v5, 2, v5
	s_mov_b32 s13, 0
	s_delay_alu instid0(SALU_CYCLE_1)
	s_mov_b32 s11, s13
	s_waitcnt vmcnt(1)
	v_lshrrev_b32_e32 v6, 24, v23
	v_lshrrev_b32_e32 v7, 24, v24
	;; [unrolled: 1-line block ×4, first 2 shown]
	s_waitcnt vmcnt(0)
	v_lshrrev_b32_e32 v10, 24, v36
	v_lshrrev_b32_e32 v11, 24, v37
	;; [unrolled: 1-line block ×4, first 2 shown]
	v_and_b32_e32 v14, 0xff, v23
	v_bfe_u32 v15, v23, 8, 8
	v_bfe_u32 v16, v23, 16, 8
	v_and_b32_e32 v18, 0xff, v24
	v_bfe_u32 v19, v24, 8, 8
	v_bfe_u32 v20, v24, 16, 8
	;; [unrolled: 3-line block ×8, first 2 shown]
	s_branch .LBB57_2
.LBB57_1:                               ;   in Loop: Header=BB57_2 Depth=1
	s_add_i32 s11, s11, 1
	s_delay_alu instid0(SALU_CYCLE_1)
	s_cmp_eq_u32 s11, 10
	s_cbranch_scc1 .LBB57_12
.LBB57_2:                               ; =>This Loop Header: Depth=1
                                        ;     Child Loop BB57_4 Depth 2
                                        ;       Child Loop BB57_5 Depth 3
	s_mov_b32 s15, 28
	s_mov_b32 s16, -1
	s_branch .LBB57_4
.LBB57_3:                               ;   in Loop: Header=BB57_4 Depth=2
	s_or_b32 exec_lo, exec_lo, s15
	s_waitcnt lgkmcnt(0)
	v_add_nc_u32_e32 v103, v104, v103
	ds_load_b32 v109, v2 offset:4108
	ds_load_2addr_b32 v[105:106], v1 offset1:1
	s_mov_b32 s15, 24
	s_mov_b32 s16, 0
	s_and_not1_b32 vcc_lo, exec_lo, s14
	ds_bpermute_b32 v103, v5, v103
	s_waitcnt lgkmcnt(0)
	v_cndmask_b32_e64 v110, v103, v104, s2
	ds_load_2addr_b32 v[103:104], v1 offset0:2 offset1:3
	ds_load_2addr_b32 v[107:108], v1 offset0:4 offset1:5
	v_lshl_add_u32 v109, v109, 16, v110
	ds_load_b32 v110, v1 offset:24
	v_add_nc_u32_e32 v105, v109, v105
	s_delay_alu instid0(VALU_DEP_1) | instskip(SKIP_1) | instid1(VALU_DEP_1)
	v_add_nc_u32_e32 v106, v106, v105
	s_waitcnt lgkmcnt(2)
	v_add_nc_u32_e32 v103, v103, v106
	s_delay_alu instid0(VALU_DEP_1) | instskip(SKIP_1) | instid1(VALU_DEP_1)
	v_add_nc_u32_e32 v104, v104, v103
	s_waitcnt lgkmcnt(1)
	;; [unrolled: 4-line block ×3, first 2 shown]
	v_add_nc_u32_e32 v110, v110, v108
	ds_store_2addr_b32 v1, v109, v105 offset1:1
	ds_store_2addr_b32 v1, v106, v103 offset0:2 offset1:3
	ds_store_2addr_b32 v1, v104, v107 offset0:4 offset1:5
	;; [unrolled: 1-line block ×3, first 2 shown]
	s_waitcnt lgkmcnt(0)
	s_barrier
	buffer_gl0_inv
	s_cbranch_vccz .LBB57_1
.LBB57_4:                               ;   Parent Loop BB57_2 Depth=1
                                        ; =>  This Loop Header: Depth=2
                                        ;       Child Loop BB57_5 Depth 3
	v_dual_mov_b32 v17, v41 :: v_dual_mov_b32 v28, v3
	s_xor_b32 s14, s16, -1
	s_mov_b32 s16, 0
.LBB57_5:                               ;   Parent Loop BB57_2 Depth=1
                                        ;     Parent Loop BB57_4 Depth=2
                                        ; =>    This Inner Loop Header: Depth=3
	s_delay_alu instid0(VALU_DEP_1) | instskip(SKIP_4) | instid1(SALU_CYCLE_1)
	v_add_nc_u32_e32 v17, 0x80, v17
	ds_store_b32 v28, v2
	v_add_nc_u32_e32 v28, 0x200, v28
	v_cmp_lt_u32_e32 vcc_lo, 0x37f, v17
	s_or_b32 s16, vcc_lo, s16
	s_and_not1_b32 exec_lo, exec_lo, s16
	s_cbranch_execnz .LBB57_5
; %bb.6:                                ;   in Loop: Header=BB57_4 Depth=2
	s_or_b32 exec_lo, exec_lo, s16
	v_lshlrev_b32_e32 v17, s15, v14
	v_lshlrev_b32_e32 v69, s15, v9
	s_delay_alu instid0(VALU_DEP_2) | instskip(NEXT) | instid1(VALU_DEP_2)
	v_lshrrev_b32_e32 v28, 21, v17
	v_lshrrev_b32_e32 v70, 21, v69
	s_delay_alu instid0(VALU_DEP_2) | instskip(NEXT) | instid1(VALU_DEP_2)
	v_and_or_b32 v28, 0x380, v28, v0
	v_and_or_b32 v70, 0x380, v70, v0
	s_delay_alu instid0(VALU_DEP_2) | instskip(SKIP_1) | instid1(VALU_DEP_3)
	v_alignbit_b32 v17, v28, v17, 31
	v_lshlrev_b32_e32 v28, s15, v15
	v_alignbit_b32 v69, v70, v69, 31
	s_delay_alu instid0(VALU_DEP_3) | instskip(NEXT) | instid1(VALU_DEP_3)
	v_lshlrev_b32_e32 v17, 1, v17
	v_lshrrev_b32_e32 v40, 21, v28
	s_delay_alu instid0(VALU_DEP_3) | instskip(SKIP_2) | instid1(VALU_DEP_1)
	v_lshlrev_b32_e32 v69, 1, v69
	ds_load_u16 v45, v17
	v_and_or_b32 v40, 0x380, v40, v0
	v_alignbit_b32 v28, v40, v28, 31
	s_delay_alu instid0(VALU_DEP_1)
	v_lshlrev_b32_e32 v28, 1, v28
	s_waitcnt lgkmcnt(0)
	v_add_nc_u16 v40, v45, 1
	ds_store_b16 v17, v40
	ds_load_u16 v48, v28
	v_lshlrev_b32_e32 v40, s15, v16
	s_delay_alu instid0(VALU_DEP_1) | instskip(NEXT) | instid1(VALU_DEP_1)
	v_lshrrev_b32_e32 v42, 21, v40
	v_and_or_b32 v42, 0x380, v42, v0
	s_delay_alu instid0(VALU_DEP_1) | instskip(SKIP_2) | instid1(VALU_DEP_2)
	v_alignbit_b32 v40, v42, v40, 31
	s_waitcnt lgkmcnt(0)
	v_add_nc_u16 v42, v48, 1
	v_lshlrev_b32_e32 v40, 1, v40
	ds_store_b16 v28, v42
	ds_load_u16 v50, v40
	v_lshlrev_b32_e32 v42, s15, v6
	s_delay_alu instid0(VALU_DEP_1) | instskip(NEXT) | instid1(VALU_DEP_1)
	v_lshrrev_b32_e32 v43, 21, v42
	v_and_or_b32 v43, 0x380, v43, v0
	s_delay_alu instid0(VALU_DEP_1) | instskip(SKIP_2) | instid1(VALU_DEP_2)
	v_alignbit_b32 v42, v43, v42, 31
	s_waitcnt lgkmcnt(0)
	v_add_nc_u16 v43, v50, 1
	v_lshlrev_b32_e32 v42, 1, v42
	;; [unrolled: 11-line block ×6, first 2 shown]
	v_lshlrev_b32_e32 v47, s15, v21
	ds_store_b16 v46, v51
	ds_load_u16 v60, v49
	v_lshrrev_b32_e32 v51, 21, v47
	s_delay_alu instid0(VALU_DEP_1) | instskip(NEXT) | instid1(VALU_DEP_1)
	v_and_or_b32 v51, 0x380, v51, v0
	v_alignbit_b32 v47, v51, v47, 31
	s_delay_alu instid0(VALU_DEP_1)
	v_lshlrev_b32_e32 v47, 1, v47
	s_waitcnt lgkmcnt(0)
	v_add_nc_u16 v51, v60, 1
	ds_store_b16 v49, v51
	ds_load_u16 v61, v47
	v_lshlrev_b32_e32 v51, s15, v22
	s_delay_alu instid0(VALU_DEP_1) | instskip(NEXT) | instid1(VALU_DEP_1)
	v_lshrrev_b32_e32 v53, 21, v51
	v_and_or_b32 v53, 0x380, v53, v0
	s_delay_alu instid0(VALU_DEP_1) | instskip(SKIP_2) | instid1(VALU_DEP_2)
	v_alignbit_b32 v51, v53, v51, 31
	s_waitcnt lgkmcnt(0)
	v_add_nc_u16 v53, v61, 1
	v_lshlrev_b32_e32 v51, 1, v51
	ds_store_b16 v47, v53
	ds_load_u16 v63, v51
	v_lshlrev_b32_e32 v53, s15, v23
	s_delay_alu instid0(VALU_DEP_1) | instskip(NEXT) | instid1(VALU_DEP_1)
	v_lshrrev_b32_e32 v55, 21, v53
	v_and_or_b32 v55, 0x380, v55, v0
	s_delay_alu instid0(VALU_DEP_1) | instskip(SKIP_2) | instid1(VALU_DEP_2)
	v_alignbit_b32 v53, v55, v53, 31
	s_waitcnt lgkmcnt(0)
	v_add_nc_u16 v55, v63, 1
	v_lshlrev_b32_e32 v53, 1, v53
	;; [unrolled: 11-line block ×6, first 2 shown]
	ds_store_b16 v59, v68
	ds_load_u16 v68, v62
	s_waitcnt lgkmcnt(0)
	v_add_nc_u16 v70, v68, 1
	ds_store_b16 v62, v70
	ds_load_u16 v71, v69
	v_lshlrev_b32_e32 v70, s15, v27
	s_delay_alu instid0(VALU_DEP_1) | instskip(NEXT) | instid1(VALU_DEP_1)
	v_lshrrev_b32_e32 v72, 21, v70
	v_and_or_b32 v72, 0x380, v72, v0
	s_delay_alu instid0(VALU_DEP_1) | instskip(SKIP_2) | instid1(VALU_DEP_2)
	v_alignbit_b32 v70, v72, v70, 31
	s_waitcnt lgkmcnt(0)
	v_add_nc_u16 v72, v71, 1
	v_lshlrev_b32_e32 v70, 1, v70
	ds_store_b16 v69, v72
	ds_load_u16 v74, v70
	v_lshlrev_b32_e32 v72, s15, v29
	s_delay_alu instid0(VALU_DEP_1) | instskip(NEXT) | instid1(VALU_DEP_1)
	v_lshrrev_b32_e32 v73, 21, v72
	v_and_or_b32 v73, 0x380, v73, v0
	s_delay_alu instid0(VALU_DEP_1) | instskip(SKIP_2) | instid1(VALU_DEP_2)
	v_alignbit_b32 v72, v73, v72, 31
	s_waitcnt lgkmcnt(0)
	v_add_nc_u16 v73, v74, 1
	v_lshlrev_b32_e32 v72, 1, v72
	;; [unrolled: 11-line block ×8, first 2 shown]
	v_lshlrev_b32_e32 v80, s15, v34
	ds_store_b16 v79, v82
	ds_load_u16 v92, v81
	v_lshrrev_b32_e32 v82, 21, v80
	s_delay_alu instid0(VALU_DEP_1) | instskip(NEXT) | instid1(VALU_DEP_1)
	v_and_or_b32 v82, 0x380, v82, v0
	v_alignbit_b32 v80, v82, v80, 31
	s_delay_alu instid0(VALU_DEP_1)
	v_lshlrev_b32_e32 v80, 1, v80
	s_waitcnt lgkmcnt(0)
	v_add_nc_u16 v82, v92, 1
	ds_store_b16 v81, v82
	ds_load_u16 v94, v80
	v_lshlrev_b32_e32 v82, s15, v35
	s_delay_alu instid0(VALU_DEP_1) | instskip(NEXT) | instid1(VALU_DEP_1)
	v_lshrrev_b32_e32 v84, 21, v82
	v_and_or_b32 v84, 0x380, v84, v0
	s_delay_alu instid0(VALU_DEP_1) | instskip(SKIP_2) | instid1(VALU_DEP_2)
	v_alignbit_b32 v82, v84, v82, 31
	s_waitcnt lgkmcnt(0)
	v_add_nc_u16 v84, v94, 1
	v_lshlrev_b32_e32 v82, 1, v82
	ds_store_b16 v80, v84
	ds_load_u16 v96, v82
	v_lshlrev_b32_e32 v84, s15, v36
	s_delay_alu instid0(VALU_DEP_1) | instskip(NEXT) | instid1(VALU_DEP_1)
	v_lshrrev_b32_e32 v86, 21, v84
	v_and_or_b32 v86, 0x380, v86, v0
	s_delay_alu instid0(VALU_DEP_1) | instskip(SKIP_2) | instid1(VALU_DEP_2)
	v_alignbit_b32 v84, v86, v84, 31
	s_waitcnt lgkmcnt(0)
	v_add_nc_u16 v86, v96, 1
	v_lshlrev_b32_e32 v84, 1, v84
	;; [unrolled: 11-line block ×7, first 2 shown]
	ds_store_b16 v93, v102
	ds_load_u16 v102, v95
	s_waitcnt lgkmcnt(0)
	v_add_nc_u16 v103, v102, 1
	ds_store_b16 v95, v103
	s_waitcnt lgkmcnt(0)
	s_barrier
	buffer_gl0_inv
	ds_load_2addr_b32 v[103:104], v1 offset1:1
	ds_load_2addr_b32 v[105:106], v1 offset0:2 offset1:3
	ds_load_2addr_b32 v[107:108], v1 offset0:4 offset1:5
	;; [unrolled: 1-line block ×3, first 2 shown]
	s_waitcnt lgkmcnt(3)
	v_add_nc_u32_e32 v103, v104, v103
	s_waitcnt lgkmcnt(2)
	s_delay_alu instid0(VALU_DEP_1) | instskip(SKIP_1) | instid1(VALU_DEP_1)
	v_add3_u32 v103, v103, v105, v106
	s_waitcnt lgkmcnt(1)
	v_add3_u32 v103, v103, v107, v108
	s_waitcnt lgkmcnt(0)
	s_delay_alu instid0(VALU_DEP_1) | instskip(NEXT) | instid1(VALU_DEP_1)
	v_add3_u32 v103, v103, v109, v110
	v_mov_b32_dpp v104, v103 row_shr:1 row_mask:0xf bank_mask:0xf
	s_delay_alu instid0(VALU_DEP_1) | instskip(NEXT) | instid1(VALU_DEP_1)
	v_cndmask_b32_e64 v104, v104, 0, s3
	v_add_nc_u32_e32 v103, v104, v103
	s_delay_alu instid0(VALU_DEP_1) | instskip(NEXT) | instid1(VALU_DEP_1)
	v_mov_b32_dpp v104, v103 row_shr:2 row_mask:0xf bank_mask:0xf
	v_cndmask_b32_e64 v104, 0, v104, s4
	s_delay_alu instid0(VALU_DEP_1) | instskip(NEXT) | instid1(VALU_DEP_1)
	v_add_nc_u32_e32 v103, v103, v104
	v_mov_b32_dpp v104, v103 row_shr:4 row_mask:0xf bank_mask:0xf
	s_delay_alu instid0(VALU_DEP_1) | instskip(NEXT) | instid1(VALU_DEP_1)
	v_cndmask_b32_e64 v104, 0, v104, s5
	v_add_nc_u32_e32 v103, v103, v104
	s_delay_alu instid0(VALU_DEP_1) | instskip(NEXT) | instid1(VALU_DEP_1)
	v_mov_b32_dpp v104, v103 row_shr:8 row_mask:0xf bank_mask:0xf
	v_cndmask_b32_e64 v104, 0, v104, s6
	s_delay_alu instid0(VALU_DEP_1) | instskip(SKIP_3) | instid1(VALU_DEP_1)
	v_add_nc_u32_e32 v103, v103, v104
	ds_swizzle_b32 v104, v103 offset:swizzle(BROADCAST,32,15)
	s_waitcnt lgkmcnt(0)
	v_cndmask_b32_e64 v104, v104, 0, s7
	v_add_nc_u32_e32 v103, v103, v104
	s_and_saveexec_b32 s15, s8
	s_cbranch_execz .LBB57_8
; %bb.7:                                ;   in Loop: Header=BB57_4 Depth=2
	ds_store_b32 v4, v103 offset:4096
.LBB57_8:                               ;   in Loop: Header=BB57_4 Depth=2
	s_or_b32 exec_lo, exec_lo, s15
	s_waitcnt lgkmcnt(0)
	s_barrier
	buffer_gl0_inv
	s_and_saveexec_b32 s15, s0
	s_cbranch_execz .LBB57_10
; %bb.9:                                ;   in Loop: Header=BB57_4 Depth=2
	ds_load_b32 v104, v3 offset:4096
	s_waitcnt lgkmcnt(0)
	v_mov_b32_dpp v105, v104 row_shr:1 row_mask:0xf bank_mask:0xf
	s_delay_alu instid0(VALU_DEP_1) | instskip(NEXT) | instid1(VALU_DEP_1)
	v_cndmask_b32_e64 v105, v105, 0, s9
	v_add_nc_u32_e32 v104, v105, v104
	s_delay_alu instid0(VALU_DEP_1) | instskip(NEXT) | instid1(VALU_DEP_1)
	v_mov_b32_dpp v105, v104 row_shr:2 row_mask:0xf bank_mask:0xf
	v_cndmask_b32_e64 v105, 0, v105, s10
	s_delay_alu instid0(VALU_DEP_1)
	v_add_nc_u32_e32 v104, v104, v105
	ds_store_b32 v3, v104 offset:4096
.LBB57_10:                              ;   in Loop: Header=BB57_4 Depth=2
	s_or_b32 exec_lo, exec_lo, s15
	v_mov_b32_e32 v104, 0
	s_waitcnt lgkmcnt(0)
	s_barrier
	buffer_gl0_inv
	s_and_saveexec_b32 s15, s1
	s_cbranch_execz .LBB57_3
; %bb.11:                               ;   in Loop: Header=BB57_4 Depth=2
	ds_load_b32 v104, v4 offset:4092
	s_branch .LBB57_3
.LBB57_12:
	v_and_b32_e32 v0, 0xffff, v45
	v_and_b32_e32 v3, 0xffff, v48
	;; [unrolled: 1-line block ×11, first 2 shown]
	ds_load_u16 v36, v49
	ds_load_u16 v37, v46
	;; [unrolled: 1-line block ×32, first 2 shown]
	v_and_b32_e32 v13, 0xffff, v65
	v_and_b32_e32 v14, 0xffff, v66
	;; [unrolled: 1-line block ×21, first 2 shown]
	s_waitcnt lgkmcnt(24)
	v_add_nc_u32_e32 v2, v2, v0
	v_add_nc_u32_e32 v3, v28, v3
	v_add_nc_u32_e32 v4, v40, v4
	v_add_nc_u32_e32 v5, v41, v5
	s_lshl_b64 s[0:1], s[12:13], 2
	v_lshlrev_b32_e32 v0, 2, v1
	v_add_nc_u32_e32 v6, v39, v6
	v_add_nc_u32_e32 v7, v38, v7
	;; [unrolled: 1-line block ×4, first 2 shown]
	s_waitcnt lgkmcnt(16)
	v_add_nc_u32_e32 v10, v47, v10
	v_add_nc_u32_e32 v11, v48, v11
	;; [unrolled: 1-line block ×4, first 2 shown]
	s_add_u32 s0, s18, s0
	v_add_nc_u32_e32 v14, v44, v14
	v_add_nc_u32_e32 v15, v43, v15
	;; [unrolled: 1-line block ×4, first 2 shown]
	s_addc_u32 s1, s19, s1
	s_waitcnt lgkmcnt(8)
	v_add_nc_u32_e32 v18, v56, v19
	v_add_nc_u32_e32 v19, v55, v20
	;; [unrolled: 1-line block ×8, first 2 shown]
	s_waitcnt lgkmcnt(0)
	v_add_nc_u32_e32 v26, v64, v27
	v_add_nc_u32_e32 v27, v63, v29
	;; [unrolled: 1-line block ×8, first 2 shown]
	s_clause 0x7
	global_store_b128 v0, v[2:5], s[0:1]
	global_store_b128 v0, v[6:9], s[0:1] offset:16
	global_store_b128 v0, v[10:13], s[0:1] offset:32
	;; [unrolled: 1-line block ×7, first 2 shown]
	s_nop 0
	s_sendmsg sendmsg(MSG_DEALLOC_VGPRS)
	s_endpgm
	.section	.rodata,"a",@progbits
	.p2align	6, 0x0
	.amdhsa_kernel _Z11rank_kernelIhLj4ELb0EL18RadixRankAlgorithm0ELj128ELj32ELj10EEvPKT_Pi
		.amdhsa_group_segment_fixed_size 4112
		.amdhsa_private_segment_fixed_size 0
		.amdhsa_kernarg_size 16
		.amdhsa_user_sgpr_count 15
		.amdhsa_user_sgpr_dispatch_ptr 0
		.amdhsa_user_sgpr_queue_ptr 0
		.amdhsa_user_sgpr_kernarg_segment_ptr 1
		.amdhsa_user_sgpr_dispatch_id 0
		.amdhsa_user_sgpr_private_segment_size 0
		.amdhsa_wavefront_size32 1
		.amdhsa_uses_dynamic_stack 0
		.amdhsa_enable_private_segment 0
		.amdhsa_system_sgpr_workgroup_id_x 1
		.amdhsa_system_sgpr_workgroup_id_y 0
		.amdhsa_system_sgpr_workgroup_id_z 0
		.amdhsa_system_sgpr_workgroup_info 0
		.amdhsa_system_vgpr_workitem_id 0
		.amdhsa_next_free_vgpr 111
		.amdhsa_next_free_sgpr 20
		.amdhsa_reserve_vcc 1
		.amdhsa_float_round_mode_32 0
		.amdhsa_float_round_mode_16_64 0
		.amdhsa_float_denorm_mode_32 3
		.amdhsa_float_denorm_mode_16_64 3
		.amdhsa_dx10_clamp 1
		.amdhsa_ieee_mode 1
		.amdhsa_fp16_overflow 0
		.amdhsa_workgroup_processor_mode 1
		.amdhsa_memory_ordered 1
		.amdhsa_forward_progress 0
		.amdhsa_shared_vgpr_count 0
		.amdhsa_exception_fp_ieee_invalid_op 0
		.amdhsa_exception_fp_denorm_src 0
		.amdhsa_exception_fp_ieee_div_zero 0
		.amdhsa_exception_fp_ieee_overflow 0
		.amdhsa_exception_fp_ieee_underflow 0
		.amdhsa_exception_fp_ieee_inexact 0
		.amdhsa_exception_int_div_zero 0
	.end_amdhsa_kernel
	.section	.text._Z11rank_kernelIhLj4ELb0EL18RadixRankAlgorithm0ELj128ELj32ELj10EEvPKT_Pi,"axG",@progbits,_Z11rank_kernelIhLj4ELb0EL18RadixRankAlgorithm0ELj128ELj32ELj10EEvPKT_Pi,comdat
.Lfunc_end57:
	.size	_Z11rank_kernelIhLj4ELb0EL18RadixRankAlgorithm0ELj128ELj32ELj10EEvPKT_Pi, .Lfunc_end57-_Z11rank_kernelIhLj4ELb0EL18RadixRankAlgorithm0ELj128ELj32ELj10EEvPKT_Pi
                                        ; -- End function
	.section	.AMDGPU.csdata,"",@progbits
; Kernel info:
; codeLenInByte = 4056
; NumSgprs: 22
; NumVgprs: 111
; ScratchSize: 0
; MemoryBound: 0
; FloatMode: 240
; IeeeMode: 1
; LDSByteSize: 4112 bytes/workgroup (compile time only)
; SGPRBlocks: 2
; VGPRBlocks: 13
; NumSGPRsForWavesPerEU: 22
; NumVGPRsForWavesPerEU: 111
; Occupancy: 12
; WaveLimiterHint : 0
; COMPUTE_PGM_RSRC2:SCRATCH_EN: 0
; COMPUTE_PGM_RSRC2:USER_SGPR: 15
; COMPUTE_PGM_RSRC2:TRAP_HANDLER: 0
; COMPUTE_PGM_RSRC2:TGID_X_EN: 1
; COMPUTE_PGM_RSRC2:TGID_Y_EN: 0
; COMPUTE_PGM_RSRC2:TGID_Z_EN: 0
; COMPUTE_PGM_RSRC2:TIDIG_COMP_CNT: 0
	.section	.text._Z11rank_kernelIhLj4ELb0EL18RadixRankAlgorithm1ELj128ELj32ELj10EEvPKT_Pi,"axG",@progbits,_Z11rank_kernelIhLj4ELb0EL18RadixRankAlgorithm1ELj128ELj32ELj10EEvPKT_Pi,comdat
	.protected	_Z11rank_kernelIhLj4ELb0EL18RadixRankAlgorithm1ELj128ELj32ELj10EEvPKT_Pi ; -- Begin function _Z11rank_kernelIhLj4ELb0EL18RadixRankAlgorithm1ELj128ELj32ELj10EEvPKT_Pi
	.globl	_Z11rank_kernelIhLj4ELb0EL18RadixRankAlgorithm1ELj128ELj32ELj10EEvPKT_Pi
	.p2align	8
	.type	_Z11rank_kernelIhLj4ELb0EL18RadixRankAlgorithm1ELj128ELj32ELj10EEvPKT_Pi,@function
_Z11rank_kernelIhLj4ELb0EL18RadixRankAlgorithm1ELj128ELj32ELj10EEvPKT_Pi: ; @_Z11rank_kernelIhLj4ELb0EL18RadixRankAlgorithm1ELj128ELj32ELj10EEvPKT_Pi
; %bb.0:
	s_load_b128 s[16:19], s[0:1], 0x0
	s_lshl_b32 s12, s15, 12
	v_dual_mov_b32 v10, 0 :: v_dual_lshlrev_b32 v9, 5, v0
	v_mbcnt_lo_u32_b32 v12, -1, 0
	v_or_b32_e32 v15, 31, v0
	v_lshrrev_b32_e32 v17, 3, v0
	v_lshlrev_b32_e32 v11, 2, v0
	v_or_b32_e32 v49, 0xffffff80, v0
	v_add_nc_u32_e32 v16, -1, v12
	v_and_b32_e32 v13, 15, v12
	v_and_b32_e32 v14, 16, v12
	;; [unrolled: 1-line block ×3, first 2 shown]
	v_cmp_eq_u32_e64 s2, 0, v12
	v_cmp_gt_i32_e32 vcc_lo, 0, v16
	v_cmp_eq_u32_e64 s3, 0, v13
	v_cmp_lt_u32_e64 s4, 1, v13
	v_cmp_lt_u32_e64 s5, 3, v13
	;; [unrolled: 1-line block ×3, first 2 shown]
	v_dual_cndmask_b32 v13, v16, v12 :: v_dual_and_b32 v12, 12, v17
	s_waitcnt lgkmcnt(0)
	s_add_u32 s0, s16, s12
	s_addc_u32 s1, s17, 0
	s_clause 0x1
	global_load_b128 v[1:4], v9, s[0:1]
	global_load_b128 v[5:8], v9, s[0:1] offset:16
	v_cmp_gt_u32_e64 s0, 4, v0
	v_cmp_lt_u32_e64 s1, 31, v0
	v_cmp_eq_u32_e64 s7, 0, v14
	v_cmp_eq_u32_e64 s8, v15, v0
	;; [unrolled: 1-line block ×3, first 2 shown]
	v_cmp_lt_u32_e64 s10, 1, v18
	v_lshlrev_b32_e32 v13, 2, v13
	s_mov_b32 s13, 0
	s_delay_alu instid0(SALU_CYCLE_1)
	s_mov_b32 s11, s13
	s_waitcnt vmcnt(1)
	v_lshrrev_b32_e32 v14, 24, v1
	v_lshrrev_b32_e32 v15, 24, v2
	;; [unrolled: 1-line block ×4, first 2 shown]
	s_waitcnt vmcnt(0)
	v_lshrrev_b32_e32 v18, 24, v5
	v_lshrrev_b32_e32 v19, 24, v6
	;; [unrolled: 1-line block ×4, first 2 shown]
	v_and_b32_e32 v22, 0xff, v1
	v_bfe_u32 v23, v1, 8, 8
	v_bfe_u32 v24, v1, 16, 8
	v_and_b32_e32 v26, 0xff, v2
	v_bfe_u32 v27, v2, 8, 8
	v_bfe_u32 v28, v2, 16, 8
	;; [unrolled: 3-line block ×8, first 2 shown]
	s_branch .LBB58_2
.LBB58_1:                               ;   in Loop: Header=BB58_2 Depth=1
	s_add_i32 s11, s11, 1
	s_delay_alu instid0(SALU_CYCLE_1)
	s_cmp_eq_u32 s11, 10
	s_cbranch_scc1 .LBB58_12
.LBB58_2:                               ; =>This Loop Header: Depth=1
                                        ;     Child Loop BB58_4 Depth 2
                                        ;       Child Loop BB58_5 Depth 3
	s_mov_b32 s15, 28
	s_mov_b32 s16, -1
	s_branch .LBB58_4
.LBB58_3:                               ;   in Loop: Header=BB58_4 Depth=2
	s_or_b32 exec_lo, exec_lo, s15
	s_waitcnt lgkmcnt(0)
	v_add_nc_u32_e32 v2, v111, v2
	ds_load_b32 v112, v10 offset:4108
	s_mov_b32 s15, 24
	s_mov_b32 s16, 0
	s_and_not1_b32 vcc_lo, exec_lo, s14
	ds_bpermute_b32 v2, v13, v2
	s_waitcnt lgkmcnt(0)
	v_cndmask_b32_e64 v2, v2, v111, s2
	s_delay_alu instid0(VALU_DEP_1) | instskip(NEXT) | instid1(VALU_DEP_1)
	v_lshl_add_u32 v2, v112, 16, v2
	v_add_nc_u32_e32 v5, v2, v5
	s_delay_alu instid0(VALU_DEP_1) | instskip(NEXT) | instid1(VALU_DEP_1)
	v_add_nc_u32_e32 v6, v5, v6
	v_add_nc_u32_e32 v7, v6, v7
	s_delay_alu instid0(VALU_DEP_1) | instskip(NEXT) | instid1(VALU_DEP_1)
	v_add_nc_u32_e32 v8, v7, v8
	;; [unrolled: 3-line block ×3, first 2 shown]
	v_add_nc_u32_e32 v1, v4, v1
	ds_store_2addr_b32 v9, v2, v5 offset1:1
	ds_store_2addr_b32 v9, v6, v7 offset0:2 offset1:3
	ds_store_2addr_b32 v9, v8, v3 offset0:4 offset1:5
	;; [unrolled: 1-line block ×3, first 2 shown]
	s_waitcnt lgkmcnt(0)
	s_barrier
	buffer_gl0_inv
	s_cbranch_vccz .LBB58_1
.LBB58_4:                               ;   Parent Loop BB58_2 Depth=1
                                        ; =>  This Loop Header: Depth=2
                                        ;       Child Loop BB58_5 Depth 3
	v_dual_mov_b32 v1, v49 :: v_dual_mov_b32 v2, v11
	s_xor_b32 s14, s16, -1
	s_mov_b32 s16, 0
.LBB58_5:                               ;   Parent Loop BB58_2 Depth=1
                                        ;     Parent Loop BB58_4 Depth=2
                                        ; =>    This Inner Loop Header: Depth=3
	s_delay_alu instid0(VALU_DEP_1) | instskip(SKIP_4) | instid1(SALU_CYCLE_1)
	v_add_nc_u32_e32 v1, 0x80, v1
	ds_store_b32 v2, v10
	v_add_nc_u32_e32 v2, 0x200, v2
	v_cmp_lt_u32_e32 vcc_lo, 0x37f, v1
	s_or_b32 s16, vcc_lo, s16
	s_and_not1_b32 exec_lo, exec_lo, s16
	s_cbranch_execnz .LBB58_5
; %bb.6:                                ;   in Loop: Header=BB58_4 Depth=2
	s_or_b32 exec_lo, exec_lo, s16
	v_lshlrev_b32_e32 v1, s15, v22
	s_delay_alu instid0(VALU_DEP_1) | instskip(NEXT) | instid1(VALU_DEP_1)
	v_lshrrev_b32_e32 v2, 21, v1
	v_and_or_b32 v2, 0x380, v2, v0
	s_delay_alu instid0(VALU_DEP_1) | instskip(NEXT) | instid1(VALU_DEP_1)
	v_alignbit_b32 v1, v2, v1, 31
	v_lshlrev_b32_e32 v25, 1, v1
	v_lshlrev_b32_e32 v1, s15, v23
	ds_load_u16 v53, v25
	v_lshrrev_b32_e32 v2, 21, v1
	s_delay_alu instid0(VALU_DEP_1) | instskip(NEXT) | instid1(VALU_DEP_1)
	v_and_or_b32 v2, 0x380, v2, v0
	v_alignbit_b32 v1, v2, v1, 31
	s_delay_alu instid0(VALU_DEP_1)
	v_lshlrev_b32_e32 v36, 1, v1
	v_lshlrev_b32_e32 v1, s15, v24
	s_waitcnt lgkmcnt(0)
	v_add_nc_u16 v2, v53, 1
	ds_store_b16 v25, v2
	ds_load_u16 v56, v36
	v_lshrrev_b32_e32 v2, 21, v1
	s_delay_alu instid0(VALU_DEP_1) | instskip(NEXT) | instid1(VALU_DEP_1)
	v_and_or_b32 v2, 0x380, v2, v0
	v_alignbit_b32 v1, v2, v1, 31
	s_delay_alu instid0(VALU_DEP_1)
	v_lshlrev_b32_e32 v48, 1, v1
	v_lshlrev_b32_e32 v1, s15, v14
	s_waitcnt lgkmcnt(0)
	v_add_nc_u16 v2, v56, 1
	ds_store_b16 v36, v2
	;; [unrolled: 11-line block ×30, first 2 shown]
	ds_load_u16 v109, v101
	v_lshrrev_b32_e32 v2, 21, v1
	s_delay_alu instid0(VALU_DEP_1) | instskip(NEXT) | instid1(VALU_DEP_1)
	v_and_or_b32 v2, 0x380, v2, v0
	v_alignbit_b32 v1, v2, v1, 31
	s_delay_alu instid0(VALU_DEP_1)
	v_lshlrev_b32_e32 v103, 1, v1
	s_waitcnt lgkmcnt(0)
	v_add_nc_u16 v2, v109, 1
	ds_store_b16 v101, v2
	ds_load_u16 v110, v103
	s_waitcnt lgkmcnt(0)
	v_add_nc_u16 v1, v110, 1
	ds_store_b16 v103, v1
	s_waitcnt lgkmcnt(0)
	s_barrier
	buffer_gl0_inv
	ds_load_2addr_b32 v[5:6], v9 offset1:1
	ds_load_2addr_b32 v[7:8], v9 offset0:2 offset1:3
	ds_load_2addr_b32 v[3:4], v9 offset0:4 offset1:5
	;; [unrolled: 1-line block ×3, first 2 shown]
	s_waitcnt lgkmcnt(3)
	v_add_nc_u32_e32 v111, v6, v5
	s_waitcnt lgkmcnt(2)
	s_delay_alu instid0(VALU_DEP_1) | instskip(SKIP_1) | instid1(VALU_DEP_1)
	v_add3_u32 v111, v111, v7, v8
	s_waitcnt lgkmcnt(1)
	v_add3_u32 v111, v111, v3, v4
	s_waitcnt lgkmcnt(0)
	s_delay_alu instid0(VALU_DEP_1) | instskip(NEXT) | instid1(VALU_DEP_1)
	v_add3_u32 v2, v111, v1, v2
	v_mov_b32_dpp v111, v2 row_shr:1 row_mask:0xf bank_mask:0xf
	s_delay_alu instid0(VALU_DEP_1) | instskip(NEXT) | instid1(VALU_DEP_1)
	v_cndmask_b32_e64 v111, v111, 0, s3
	v_add_nc_u32_e32 v2, v111, v2
	s_delay_alu instid0(VALU_DEP_1) | instskip(NEXT) | instid1(VALU_DEP_1)
	v_mov_b32_dpp v111, v2 row_shr:2 row_mask:0xf bank_mask:0xf
	v_cndmask_b32_e64 v111, 0, v111, s4
	s_delay_alu instid0(VALU_DEP_1) | instskip(NEXT) | instid1(VALU_DEP_1)
	v_add_nc_u32_e32 v2, v2, v111
	v_mov_b32_dpp v111, v2 row_shr:4 row_mask:0xf bank_mask:0xf
	s_delay_alu instid0(VALU_DEP_1) | instskip(NEXT) | instid1(VALU_DEP_1)
	v_cndmask_b32_e64 v111, 0, v111, s5
	v_add_nc_u32_e32 v2, v2, v111
	s_delay_alu instid0(VALU_DEP_1) | instskip(NEXT) | instid1(VALU_DEP_1)
	v_mov_b32_dpp v111, v2 row_shr:8 row_mask:0xf bank_mask:0xf
	v_cndmask_b32_e64 v111, 0, v111, s6
	s_delay_alu instid0(VALU_DEP_1) | instskip(SKIP_3) | instid1(VALU_DEP_1)
	v_add_nc_u32_e32 v2, v2, v111
	ds_swizzle_b32 v111, v2 offset:swizzle(BROADCAST,32,15)
	s_waitcnt lgkmcnt(0)
	v_cndmask_b32_e64 v111, v111, 0, s7
	v_add_nc_u32_e32 v2, v2, v111
	s_and_saveexec_b32 s15, s8
	s_cbranch_execz .LBB58_8
; %bb.7:                                ;   in Loop: Header=BB58_4 Depth=2
	ds_store_b32 v12, v2 offset:4096
.LBB58_8:                               ;   in Loop: Header=BB58_4 Depth=2
	s_or_b32 exec_lo, exec_lo, s15
	s_waitcnt lgkmcnt(0)
	s_barrier
	buffer_gl0_inv
	s_and_saveexec_b32 s15, s0
	s_cbranch_execz .LBB58_10
; %bb.9:                                ;   in Loop: Header=BB58_4 Depth=2
	ds_load_b32 v111, v11 offset:4096
	s_waitcnt lgkmcnt(0)
	v_mov_b32_dpp v112, v111 row_shr:1 row_mask:0xf bank_mask:0xf
	s_delay_alu instid0(VALU_DEP_1) | instskip(NEXT) | instid1(VALU_DEP_1)
	v_cndmask_b32_e64 v112, v112, 0, s9
	v_add_nc_u32_e32 v111, v112, v111
	s_delay_alu instid0(VALU_DEP_1) | instskip(NEXT) | instid1(VALU_DEP_1)
	v_mov_b32_dpp v112, v111 row_shr:2 row_mask:0xf bank_mask:0xf
	v_cndmask_b32_e64 v112, 0, v112, s10
	s_delay_alu instid0(VALU_DEP_1)
	v_add_nc_u32_e32 v111, v111, v112
	ds_store_b32 v11, v111 offset:4096
.LBB58_10:                              ;   in Loop: Header=BB58_4 Depth=2
	s_or_b32 exec_lo, exec_lo, s15
	v_mov_b32_e32 v111, 0
	s_waitcnt lgkmcnt(0)
	s_barrier
	buffer_gl0_inv
	s_and_saveexec_b32 s15, s1
	s_cbranch_execz .LBB58_3
; %bb.11:                               ;   in Loop: Header=BB58_4 Depth=2
	ds_load_b32 v111, v12 offset:4092
	s_branch .LBB58_3
.LBB58_12:
	v_and_b32_e32 v0, 0xffff, v53
	v_and_b32_e32 v1, 0xffff, v56
	;; [unrolled: 1-line block ×6, first 2 shown]
	ds_load_u16 v10, v57
	ds_load_u16 v35, v54
	;; [unrolled: 1-line block ×32, first 2 shown]
	v_and_b32_e32 v7, 0xffff, v68
	v_and_b32_e32 v8, 0xffff, v69
	v_and_b32_e32 v6, 0xffff, v66
	v_and_b32_e32 v11, 0xffff, v71
	v_and_b32_e32 v12, 0xffff, v72
	v_and_b32_e32 v13, 0xffff, v73
	v_and_b32_e32 v14, 0xffff, v74
	v_and_b32_e32 v15, 0xffff, v75
	v_and_b32_e32 v16, 0xffff, v76
	v_and_b32_e32 v17, 0xffff, v79
	v_and_b32_e32 v18, 0xffff, v82
	v_and_b32_e32 v19, 0xffff, v86
	v_and_b32_e32 v20, 0xffff, v91
	v_and_b32_e32 v21, 0xffff, v93
	v_and_b32_e32 v22, 0xffff, v95
	v_and_b32_e32 v23, 0xffff, v96
	v_and_b32_e32 v24, 0xffff, v98
	v_and_b32_e32 v26, 0xffff, v100
	v_and_b32_e32 v27, 0xffff, v102
	v_and_b32_e32 v28, 0xffff, v104
	v_and_b32_e32 v29, 0xffff, v105
	v_and_b32_e32 v30, 0xffff, v106
	v_and_b32_e32 v31, 0xffff, v107
	v_and_b32_e32 v32, 0xffff, v108
	v_and_b32_e32 v33, 0xffff, v109
	v_and_b32_e32 v34, 0xffff, v110
	s_waitcnt lgkmcnt(24)
	v_add_nc_u32_e32 v0, v25, v0
	v_add_nc_u32_e32 v1, v36, v1
	;; [unrolled: 1-line block ×5, first 2 shown]
	s_waitcnt lgkmcnt(16)
	v_add_nc_u32_e32 v10, v48, v8
	s_lshl_b64 s[0:1], s[12:13], 2
	v_lshlrev_b32_e32 v8, 2, v9
	v_add_nc_u32_e32 v4, v38, v4
	v_add_nc_u32_e32 v5, v37, v5
	;; [unrolled: 1-line block ×6, first 2 shown]
	s_add_u32 s0, s18, s0
	v_add_nc_u32_e32 v14, v44, v14
	v_add_nc_u32_e32 v15, v43, v15
	;; [unrolled: 1-line block ×4, first 2 shown]
	s_addc_u32 s1, s19, s1
	s_waitcnt lgkmcnt(8)
	v_add_nc_u32_e32 v18, v56, v18
	v_add_nc_u32_e32 v19, v55, v19
	;; [unrolled: 1-line block ×8, first 2 shown]
	s_waitcnt lgkmcnt(0)
	v_add_nc_u32_e32 v26, v64, v27
	v_add_nc_u32_e32 v27, v63, v28
	;; [unrolled: 1-line block ×8, first 2 shown]
	s_clause 0x7
	global_store_b128 v8, v[0:3], s[0:1]
	global_store_b128 v8, v[4:7], s[0:1] offset:16
	global_store_b128 v8, v[10:13], s[0:1] offset:32
	;; [unrolled: 1-line block ×7, first 2 shown]
	s_nop 0
	s_sendmsg sendmsg(MSG_DEALLOC_VGPRS)
	s_endpgm
	.section	.rodata,"a",@progbits
	.p2align	6, 0x0
	.amdhsa_kernel _Z11rank_kernelIhLj4ELb0EL18RadixRankAlgorithm1ELj128ELj32ELj10EEvPKT_Pi
		.amdhsa_group_segment_fixed_size 4112
		.amdhsa_private_segment_fixed_size 0
		.amdhsa_kernarg_size 16
		.amdhsa_user_sgpr_count 15
		.amdhsa_user_sgpr_dispatch_ptr 0
		.amdhsa_user_sgpr_queue_ptr 0
		.amdhsa_user_sgpr_kernarg_segment_ptr 1
		.amdhsa_user_sgpr_dispatch_id 0
		.amdhsa_user_sgpr_private_segment_size 0
		.amdhsa_wavefront_size32 1
		.amdhsa_uses_dynamic_stack 0
		.amdhsa_enable_private_segment 0
		.amdhsa_system_sgpr_workgroup_id_x 1
		.amdhsa_system_sgpr_workgroup_id_y 0
		.amdhsa_system_sgpr_workgroup_id_z 0
		.amdhsa_system_sgpr_workgroup_info 0
		.amdhsa_system_vgpr_workitem_id 0
		.amdhsa_next_free_vgpr 113
		.amdhsa_next_free_sgpr 20
		.amdhsa_reserve_vcc 1
		.amdhsa_float_round_mode_32 0
		.amdhsa_float_round_mode_16_64 0
		.amdhsa_float_denorm_mode_32 3
		.amdhsa_float_denorm_mode_16_64 3
		.amdhsa_dx10_clamp 1
		.amdhsa_ieee_mode 1
		.amdhsa_fp16_overflow 0
		.amdhsa_workgroup_processor_mode 1
		.amdhsa_memory_ordered 1
		.amdhsa_forward_progress 0
		.amdhsa_shared_vgpr_count 0
		.amdhsa_exception_fp_ieee_invalid_op 0
		.amdhsa_exception_fp_denorm_src 0
		.amdhsa_exception_fp_ieee_div_zero 0
		.amdhsa_exception_fp_ieee_overflow 0
		.amdhsa_exception_fp_ieee_underflow 0
		.amdhsa_exception_fp_ieee_inexact 0
		.amdhsa_exception_int_div_zero 0
	.end_amdhsa_kernel
	.section	.text._Z11rank_kernelIhLj4ELb0EL18RadixRankAlgorithm1ELj128ELj32ELj10EEvPKT_Pi,"axG",@progbits,_Z11rank_kernelIhLj4ELb0EL18RadixRankAlgorithm1ELj128ELj32ELj10EEvPKT_Pi,comdat
.Lfunc_end58:
	.size	_Z11rank_kernelIhLj4ELb0EL18RadixRankAlgorithm1ELj128ELj32ELj10EEvPKT_Pi, .Lfunc_end58-_Z11rank_kernelIhLj4ELb0EL18RadixRankAlgorithm1ELj128ELj32ELj10EEvPKT_Pi
                                        ; -- End function
	.section	.AMDGPU.csdata,"",@progbits
; Kernel info:
; codeLenInByte = 4016
; NumSgprs: 22
; NumVgprs: 113
; ScratchSize: 0
; MemoryBound: 0
; FloatMode: 240
; IeeeMode: 1
; LDSByteSize: 4112 bytes/workgroup (compile time only)
; SGPRBlocks: 2
; VGPRBlocks: 14
; NumSGPRsForWavesPerEU: 22
; NumVGPRsForWavesPerEU: 113
; Occupancy: 12
; WaveLimiterHint : 0
; COMPUTE_PGM_RSRC2:SCRATCH_EN: 0
; COMPUTE_PGM_RSRC2:USER_SGPR: 15
; COMPUTE_PGM_RSRC2:TRAP_HANDLER: 0
; COMPUTE_PGM_RSRC2:TGID_X_EN: 1
; COMPUTE_PGM_RSRC2:TGID_Y_EN: 0
; COMPUTE_PGM_RSRC2:TGID_Z_EN: 0
; COMPUTE_PGM_RSRC2:TIDIG_COMP_CNT: 0
	.section	.text._Z11rank_kernelIhLj4ELb0EL18RadixRankAlgorithm2ELj128ELj32ELj10EEvPKT_Pi,"axG",@progbits,_Z11rank_kernelIhLj4ELb0EL18RadixRankAlgorithm2ELj128ELj32ELj10EEvPKT_Pi,comdat
	.protected	_Z11rank_kernelIhLj4ELb0EL18RadixRankAlgorithm2ELj128ELj32ELj10EEvPKT_Pi ; -- Begin function _Z11rank_kernelIhLj4ELb0EL18RadixRankAlgorithm2ELj128ELj32ELj10EEvPKT_Pi
	.globl	_Z11rank_kernelIhLj4ELb0EL18RadixRankAlgorithm2ELj128ELj32ELj10EEvPKT_Pi
	.p2align	8
	.type	_Z11rank_kernelIhLj4ELb0EL18RadixRankAlgorithm2ELj128ELj32ELj10EEvPKT_Pi,@function
_Z11rank_kernelIhLj4ELb0EL18RadixRankAlgorithm2ELj128ELj32ELj10EEvPKT_Pi: ; @_Z11rank_kernelIhLj4ELb0EL18RadixRankAlgorithm2ELj128ELj32ELj10EEvPKT_Pi
; %bb.0:
	s_clause 0x1
	s_load_b128 s[16:19], s[0:1], 0x0
	s_load_b32 s8, s[0:1], 0x1c
	v_mbcnt_lo_u32_b32 v3, -1, 0
	s_lshl_b32 s12, s15, 12
	v_bfe_u32 v5, v0, 10, 10
	v_bfe_u32 v6, v0, 20, 10
	s_mov_b32 s13, 0
	v_add_nc_u32_e32 v9, -1, v3
	v_and_b32_e32 v7, 15, v3
	v_and_b32_e32 v8, 16, v3
	;; [unrolled: 1-line block ×3, first 2 shown]
	s_mov_b32 s14, s13
	v_cmp_gt_i32_e32 vcc_lo, 0, v9
	v_and_b32_e32 v4, 0x3ff, v0
	v_cmp_lt_u32_e64 s2, 1, v7
	v_mov_b32_e32 v2, 0
	v_cmp_lt_u32_e64 s3, 3, v7
	v_cmp_lt_u32_e64 s4, 7, v7
	v_lshlrev_b32_e32 v1, 5, v4
	v_cmp_eq_u32_e64 s5, 0, v8
	s_waitcnt lgkmcnt(0)
	s_add_u32 s0, s16, s12
	s_addc_u32 s1, s17, 0
	s_lshr_b32 s7, s8, 16
	s_clause 0x1
	global_load_b128 v[23:26], v1, s[0:1]
	global_load_b128 v[35:38], v1, s[0:1] offset:16
	v_mad_u32_u24 v5, v6, s7, v5
	s_and_b32 s8, s8, 0xffff
	v_cmp_eq_u32_e64 s1, 0, v7
	v_cmp_eq_u32_e64 s0, 0, v3
	v_cmp_lt_u32_e64 s9, 1, v10
	v_mad_u64_u32 v[6:7], null, v5, s8, v[4:5]
	v_cndmask_b32_e32 v5, v9, v3, vcc_lo
	v_lshrrev_b32_e32 v11, 3, v4
	v_or_b32_e32 v8, 31, v4
	v_lshlrev_b32_e32 v0, 2, v4
	v_cmp_gt_u32_e64 s6, 4, v4
	v_cmp_lt_u32_e64 s7, 31, v4
	v_and_b32_e32 v3, 12, v11
	v_cmp_eq_u32_e64 s8, 0, v10
	v_cmp_eq_u32_e64 s10, v8, v4
	v_lshlrev_b32_e32 v4, 2, v5
	v_lshrrev_b32_e32 v6, 5, v6
	v_add_nc_u32_e32 v5, -4, v3
	s_waitcnt vmcnt(1)
	v_lshrrev_b32_e32 v7, 24, v23
	v_lshrrev_b32_e32 v8, 24, v24
	;; [unrolled: 1-line block ×4, first 2 shown]
	s_waitcnt vmcnt(0)
	v_lshrrev_b32_e32 v11, 24, v35
	v_lshrrev_b32_e32 v12, 24, v36
	;; [unrolled: 1-line block ×4, first 2 shown]
	v_and_b32_e32 v15, 0xff, v23
	v_bfe_u32 v16, v23, 8, 8
	v_bfe_u32 v17, v23, 16, 8
	v_and_b32_e32 v18, 0xff, v24
	v_bfe_u32 v19, v24, 8, 8
	v_bfe_u32 v20, v24, 16, 8
	;; [unrolled: 3-line block ×8, first 2 shown]
	s_branch .LBB59_2
.LBB59_1:                               ;   in Loop: Header=BB59_2 Depth=1
	s_add_i32 s14, s14, 1
	s_delay_alu instid0(SALU_CYCLE_1)
	s_cmp_eq_u32 s14, 10
	s_cbranch_scc1 .LBB59_74
.LBB59_2:                               ; =>This Loop Header: Depth=1
                                        ;     Child Loop BB59_4 Depth 2
	s_mov_b32 s15, -1
	s_mov_b32 s16, 28
	s_branch .LBB59_4
.LBB59_3:                               ;   in Loop: Header=BB59_4 Depth=2
	s_or_b32 exec_lo, exec_lo, s11
	s_waitcnt lgkmcnt(0)
	v_add_nc_u32_e32 v134, v135, v134
	s_xor_b32 s11, s15, -1
	s_mov_b32 s16, 24
	s_mov_b32 s15, 0
	s_and_not1_b32 vcc_lo, exec_lo, s11
	ds_bpermute_b32 v134, v4, v134
	s_waitcnt lgkmcnt(0)
	v_cndmask_b32_e64 v134, v134, v135, s0
	ds_store_b32 v0, v134 offset:16
	s_waitcnt lgkmcnt(0)
	s_barrier
	buffer_gl0_inv
	s_cbranch_vccz .LBB59_1
.LBB59_4:                               ;   Parent Loop BB59_2 Depth=1
                                        ; =>  This Inner Loop Header: Depth=2
	v_lshlrev_b32_e32 v39, s16, v15
	ds_store_b32 v0, v2 offset:16
	s_waitcnt lgkmcnt(0)
	s_barrier
	buffer_gl0_inv
	v_bfe_u32 v40, v39, 28, 1
	v_lshrrev_b32_e32 v42, 28, v39
	v_not_b32_e32 v45, v39
	; wave barrier
	s_delay_alu instid0(VALU_DEP_3) | instskip(NEXT) | instid1(VALU_DEP_1)
	v_add_co_u32 v40, s11, v40, -1
	v_cndmask_b32_e64 v41, 0, 1, s11
	s_delay_alu instid0(VALU_DEP_4) | instskip(SKIP_1) | instid1(VALU_DEP_3)
	v_lshlrev_b32_e32 v43, 30, v42
	v_lshlrev_b32_e32 v44, 29, v42
	v_cmp_ne_u32_e32 vcc_lo, 0, v41
	s_delay_alu instid0(VALU_DEP_3) | instskip(SKIP_1) | instid1(VALU_DEP_4)
	v_not_b32_e32 v41, v43
	v_cmp_gt_i32_e64 s11, 0, v43
	v_not_b32_e32 v43, v44
	v_xor_b32_e32 v40, vcc_lo, v40
	s_delay_alu instid0(VALU_DEP_4) | instskip(SKIP_1) | instid1(VALU_DEP_4)
	v_ashrrev_i32_e32 v41, 31, v41
	v_cmp_gt_i32_e32 vcc_lo, 0, v44
	v_ashrrev_i32_e32 v43, 31, v43
	s_delay_alu instid0(VALU_DEP_4) | instskip(NEXT) | instid1(VALU_DEP_4)
	v_and_b32_e32 v40, exec_lo, v40
	v_xor_b32_e32 v41, s11, v41
	v_cmp_gt_i32_e64 s11, 0, v39
	v_ashrrev_i32_e32 v39, 31, v45
	v_xor_b32_e32 v43, vcc_lo, v43
	s_delay_alu instid0(VALU_DEP_4) | instskip(NEXT) | instid1(VALU_DEP_3)
	v_and_b32_e32 v40, v40, v41
	v_xor_b32_e32 v39, s11, v39
	s_delay_alu instid0(VALU_DEP_2) | instskip(NEXT) | instid1(VALU_DEP_1)
	v_and_b32_e32 v40, v40, v43
	v_and_b32_e32 v41, v40, v39
	v_mad_u32_u24 v40, v42, 5, v6
	s_delay_alu instid0(VALU_DEP_2) | instskip(SKIP_1) | instid1(VALU_DEP_3)
	v_mbcnt_lo_u32_b32 v39, v41, 0
	v_cmp_ne_u32_e64 s11, 0, v41
	v_lshl_add_u32 v40, v40, 2, 16
	s_delay_alu instid0(VALU_DEP_3) | instskip(NEXT) | instid1(VALU_DEP_3)
	v_cmp_eq_u32_e32 vcc_lo, 0, v39
	s_and_b32 s17, vcc_lo, s11
	s_delay_alu instid0(SALU_CYCLE_1)
	s_and_saveexec_b32 s11, s17
	s_cbranch_execz .LBB59_6
; %bb.5:                                ;   in Loop: Header=BB59_4 Depth=2
	v_bcnt_u32_b32 v41, v41, 0
	ds_store_b32 v40, v41
.LBB59_6:                               ;   in Loop: Header=BB59_4 Depth=2
	s_or_b32 exec_lo, exec_lo, s11
	v_lshlrev_b32_e32 v41, s16, v16
	; wave barrier
	s_delay_alu instid0(VALU_DEP_1) | instskip(SKIP_2) | instid1(VALU_DEP_3)
	v_bfe_u32 v42, v41, 28, 1
	v_lshrrev_b32_e32 v43, 28, v41
	v_not_b32_e32 v47, v41
	v_add_co_u32 v42, s11, v42, -1
	s_delay_alu instid0(VALU_DEP_1) | instskip(NEXT) | instid1(VALU_DEP_4)
	v_cndmask_b32_e64 v44, 0, 1, s11
	v_lshlrev_b32_e32 v45, 30, v43
	v_lshlrev_b32_e32 v46, 29, v43
	s_delay_alu instid0(VALU_DEP_3) | instskip(NEXT) | instid1(VALU_DEP_3)
	v_cmp_ne_u32_e32 vcc_lo, 0, v44
	v_not_b32_e32 v44, v45
	v_cmp_gt_i32_e64 s11, 0, v45
	s_delay_alu instid0(VALU_DEP_4) | instskip(SKIP_1) | instid1(VALU_DEP_4)
	v_not_b32_e32 v45, v46
	v_xor_b32_e32 v42, vcc_lo, v42
	v_ashrrev_i32_e32 v44, 31, v44
	v_cmp_gt_i32_e32 vcc_lo, 0, v46
	s_delay_alu instid0(VALU_DEP_4) | instskip(NEXT) | instid1(VALU_DEP_4)
	v_ashrrev_i32_e32 v45, 31, v45
	v_and_b32_e32 v42, exec_lo, v42
	s_delay_alu instid0(VALU_DEP_4)
	v_xor_b32_e32 v44, s11, v44
	v_cmp_gt_i32_e64 s11, 0, v41
	v_mul_u32_u24_e32 v41, 5, v43
	v_ashrrev_i32_e32 v43, 31, v47
	v_xor_b32_e32 v45, vcc_lo, v45
	v_and_b32_e32 v42, v42, v44
	s_delay_alu instid0(VALU_DEP_4) | instskip(NEXT) | instid1(VALU_DEP_4)
	v_add_lshl_u32 v46, v41, v6, 2
	v_xor_b32_e32 v43, s11, v43
	s_delay_alu instid0(VALU_DEP_3) | instskip(SKIP_3) | instid1(VALU_DEP_2)
	v_and_b32_e32 v42, v42, v45
	ds_load_b32 v41, v46 offset:16
	; wave barrier
	v_and_b32_e32 v44, v42, v43
	v_add_nc_u32_e32 v43, 16, v46
	v_mbcnt_lo_u32_b32 v42, v44, 0
	v_cmp_ne_u32_e64 s11, 0, v44
	s_delay_alu instid0(VALU_DEP_2) | instskip(NEXT) | instid1(VALU_DEP_2)
	v_cmp_eq_u32_e32 vcc_lo, 0, v42
	s_and_b32 s17, vcc_lo, s11
	s_delay_alu instid0(SALU_CYCLE_1)
	s_and_saveexec_b32 s11, s17
	s_cbranch_execz .LBB59_8
; %bb.7:                                ;   in Loop: Header=BB59_4 Depth=2
	s_waitcnt lgkmcnt(0)
	v_bcnt_u32_b32 v44, v44, v41
	ds_store_b32 v43, v44
.LBB59_8:                               ;   in Loop: Header=BB59_4 Depth=2
	s_or_b32 exec_lo, exec_lo, s11
	v_lshlrev_b32_e32 v44, s16, v17
	; wave barrier
	s_delay_alu instid0(VALU_DEP_1) | instskip(SKIP_2) | instid1(VALU_DEP_3)
	v_bfe_u32 v45, v44, 28, 1
	v_lshrrev_b32_e32 v46, 28, v44
	v_not_b32_e32 v50, v44
	v_add_co_u32 v45, s11, v45, -1
	s_delay_alu instid0(VALU_DEP_1) | instskip(NEXT) | instid1(VALU_DEP_4)
	v_cndmask_b32_e64 v47, 0, 1, s11
	v_lshlrev_b32_e32 v48, 30, v46
	v_lshlrev_b32_e32 v49, 29, v46
	s_delay_alu instid0(VALU_DEP_3) | instskip(NEXT) | instid1(VALU_DEP_3)
	v_cmp_ne_u32_e32 vcc_lo, 0, v47
	v_not_b32_e32 v47, v48
	v_cmp_gt_i32_e64 s11, 0, v48
	s_delay_alu instid0(VALU_DEP_4) | instskip(SKIP_1) | instid1(VALU_DEP_4)
	v_not_b32_e32 v48, v49
	v_xor_b32_e32 v45, vcc_lo, v45
	v_ashrrev_i32_e32 v47, 31, v47
	v_cmp_gt_i32_e32 vcc_lo, 0, v49
	s_delay_alu instid0(VALU_DEP_4) | instskip(NEXT) | instid1(VALU_DEP_4)
	v_ashrrev_i32_e32 v48, 31, v48
	v_and_b32_e32 v45, exec_lo, v45
	s_delay_alu instid0(VALU_DEP_4)
	v_xor_b32_e32 v47, s11, v47
	v_cmp_gt_i32_e64 s11, 0, v44
	v_mul_u32_u24_e32 v44, 5, v46
	v_ashrrev_i32_e32 v46, 31, v50
	v_xor_b32_e32 v48, vcc_lo, v48
	v_and_b32_e32 v45, v45, v47
	s_delay_alu instid0(VALU_DEP_4) | instskip(NEXT) | instid1(VALU_DEP_4)
	v_add_lshl_u32 v49, v44, v6, 2
	v_xor_b32_e32 v46, s11, v46
	s_delay_alu instid0(VALU_DEP_3) | instskip(SKIP_3) | instid1(VALU_DEP_2)
	v_and_b32_e32 v45, v45, v48
	ds_load_b32 v44, v49 offset:16
	; wave barrier
	v_and_b32_e32 v47, v45, v46
	v_add_nc_u32_e32 v46, 16, v49
	v_mbcnt_lo_u32_b32 v45, v47, 0
	v_cmp_ne_u32_e64 s11, 0, v47
	s_delay_alu instid0(VALU_DEP_2) | instskip(NEXT) | instid1(VALU_DEP_2)
	v_cmp_eq_u32_e32 vcc_lo, 0, v45
	s_and_b32 s17, vcc_lo, s11
	s_delay_alu instid0(SALU_CYCLE_1)
	s_and_saveexec_b32 s11, s17
	s_cbranch_execz .LBB59_10
; %bb.9:                                ;   in Loop: Header=BB59_4 Depth=2
	s_waitcnt lgkmcnt(0)
	v_bcnt_u32_b32 v47, v47, v44
	ds_store_b32 v46, v47
.LBB59_10:                              ;   in Loop: Header=BB59_4 Depth=2
	s_or_b32 exec_lo, exec_lo, s11
	v_lshlrev_b32_e32 v47, s16, v7
	; wave barrier
	s_delay_alu instid0(VALU_DEP_1) | instskip(SKIP_2) | instid1(VALU_DEP_3)
	v_bfe_u32 v48, v47, 28, 1
	v_lshrrev_b32_e32 v49, 28, v47
	v_not_b32_e32 v53, v47
	v_add_co_u32 v48, s11, v48, -1
	s_delay_alu instid0(VALU_DEP_1) | instskip(NEXT) | instid1(VALU_DEP_4)
	v_cndmask_b32_e64 v50, 0, 1, s11
	v_lshlrev_b32_e32 v51, 30, v49
	v_lshlrev_b32_e32 v52, 29, v49
	s_delay_alu instid0(VALU_DEP_3) | instskip(NEXT) | instid1(VALU_DEP_3)
	v_cmp_ne_u32_e32 vcc_lo, 0, v50
	v_not_b32_e32 v50, v51
	v_cmp_gt_i32_e64 s11, 0, v51
	s_delay_alu instid0(VALU_DEP_4) | instskip(SKIP_1) | instid1(VALU_DEP_4)
	v_not_b32_e32 v51, v52
	v_xor_b32_e32 v48, vcc_lo, v48
	v_ashrrev_i32_e32 v50, 31, v50
	v_cmp_gt_i32_e32 vcc_lo, 0, v52
	s_delay_alu instid0(VALU_DEP_4) | instskip(NEXT) | instid1(VALU_DEP_4)
	v_ashrrev_i32_e32 v51, 31, v51
	v_and_b32_e32 v48, exec_lo, v48
	s_delay_alu instid0(VALU_DEP_4)
	v_xor_b32_e32 v50, s11, v50
	v_cmp_gt_i32_e64 s11, 0, v47
	v_mul_u32_u24_e32 v47, 5, v49
	v_ashrrev_i32_e32 v49, 31, v53
	v_xor_b32_e32 v51, vcc_lo, v51
	v_and_b32_e32 v48, v48, v50
	s_delay_alu instid0(VALU_DEP_4) | instskip(NEXT) | instid1(VALU_DEP_4)
	v_add_lshl_u32 v52, v47, v6, 2
	v_xor_b32_e32 v49, s11, v49
	s_delay_alu instid0(VALU_DEP_3) | instskip(SKIP_3) | instid1(VALU_DEP_2)
	v_and_b32_e32 v48, v48, v51
	ds_load_b32 v47, v52 offset:16
	; wave barrier
	v_and_b32_e32 v50, v48, v49
	v_add_nc_u32_e32 v49, 16, v52
	v_mbcnt_lo_u32_b32 v48, v50, 0
	v_cmp_ne_u32_e64 s11, 0, v50
	s_delay_alu instid0(VALU_DEP_2) | instskip(NEXT) | instid1(VALU_DEP_2)
	v_cmp_eq_u32_e32 vcc_lo, 0, v48
	s_and_b32 s17, vcc_lo, s11
	s_delay_alu instid0(SALU_CYCLE_1)
	s_and_saveexec_b32 s11, s17
	s_cbranch_execz .LBB59_12
; %bb.11:                               ;   in Loop: Header=BB59_4 Depth=2
	s_waitcnt lgkmcnt(0)
	v_bcnt_u32_b32 v50, v50, v47
	ds_store_b32 v49, v50
.LBB59_12:                              ;   in Loop: Header=BB59_4 Depth=2
	s_or_b32 exec_lo, exec_lo, s11
	v_lshlrev_b32_e32 v50, s16, v18
	; wave barrier
	s_delay_alu instid0(VALU_DEP_1) | instskip(SKIP_2) | instid1(VALU_DEP_3)
	v_bfe_u32 v51, v50, 28, 1
	v_lshrrev_b32_e32 v52, 28, v50
	v_not_b32_e32 v56, v50
	v_add_co_u32 v51, s11, v51, -1
	s_delay_alu instid0(VALU_DEP_1) | instskip(NEXT) | instid1(VALU_DEP_4)
	v_cndmask_b32_e64 v53, 0, 1, s11
	v_lshlrev_b32_e32 v54, 30, v52
	v_lshlrev_b32_e32 v55, 29, v52
	s_delay_alu instid0(VALU_DEP_3) | instskip(NEXT) | instid1(VALU_DEP_3)
	v_cmp_ne_u32_e32 vcc_lo, 0, v53
	v_not_b32_e32 v53, v54
	v_cmp_gt_i32_e64 s11, 0, v54
	s_delay_alu instid0(VALU_DEP_4) | instskip(SKIP_1) | instid1(VALU_DEP_4)
	v_not_b32_e32 v54, v55
	v_xor_b32_e32 v51, vcc_lo, v51
	v_ashrrev_i32_e32 v53, 31, v53
	v_cmp_gt_i32_e32 vcc_lo, 0, v55
	s_delay_alu instid0(VALU_DEP_4) | instskip(NEXT) | instid1(VALU_DEP_4)
	v_ashrrev_i32_e32 v54, 31, v54
	v_and_b32_e32 v51, exec_lo, v51
	s_delay_alu instid0(VALU_DEP_4)
	v_xor_b32_e32 v53, s11, v53
	v_cmp_gt_i32_e64 s11, 0, v50
	v_mul_u32_u24_e32 v50, 5, v52
	v_ashrrev_i32_e32 v52, 31, v56
	v_xor_b32_e32 v54, vcc_lo, v54
	v_and_b32_e32 v51, v51, v53
	s_delay_alu instid0(VALU_DEP_4) | instskip(NEXT) | instid1(VALU_DEP_4)
	v_add_lshl_u32 v55, v50, v6, 2
	v_xor_b32_e32 v52, s11, v52
	s_delay_alu instid0(VALU_DEP_3) | instskip(SKIP_3) | instid1(VALU_DEP_2)
	v_and_b32_e32 v51, v51, v54
	ds_load_b32 v50, v55 offset:16
	; wave barrier
	v_and_b32_e32 v53, v51, v52
	v_add_nc_u32_e32 v52, 16, v55
	v_mbcnt_lo_u32_b32 v51, v53, 0
	v_cmp_ne_u32_e64 s11, 0, v53
	s_delay_alu instid0(VALU_DEP_2) | instskip(NEXT) | instid1(VALU_DEP_2)
	v_cmp_eq_u32_e32 vcc_lo, 0, v51
	s_and_b32 s17, vcc_lo, s11
	s_delay_alu instid0(SALU_CYCLE_1)
	s_and_saveexec_b32 s11, s17
	s_cbranch_execz .LBB59_14
; %bb.13:                               ;   in Loop: Header=BB59_4 Depth=2
	s_waitcnt lgkmcnt(0)
	v_bcnt_u32_b32 v53, v53, v50
	ds_store_b32 v52, v53
.LBB59_14:                              ;   in Loop: Header=BB59_4 Depth=2
	;; [unrolled: 53-line block ×29, first 2 shown]
	s_or_b32 exec_lo, exec_lo, s11
	; wave barrier
	s_waitcnt lgkmcnt(0)
	s_barrier
	buffer_gl0_inv
	ds_load_b32 v134, v0 offset:16
	s_waitcnt lgkmcnt(0)
	v_mov_b32_dpp v135, v134 row_shr:1 row_mask:0xf bank_mask:0xf
	s_delay_alu instid0(VALU_DEP_1) | instskip(NEXT) | instid1(VALU_DEP_1)
	v_cndmask_b32_e64 v135, v135, 0, s1
	v_add_nc_u32_e32 v134, v135, v134
	s_delay_alu instid0(VALU_DEP_1) | instskip(NEXT) | instid1(VALU_DEP_1)
	v_mov_b32_dpp v135, v134 row_shr:2 row_mask:0xf bank_mask:0xf
	v_cndmask_b32_e64 v135, 0, v135, s2
	s_delay_alu instid0(VALU_DEP_1) | instskip(NEXT) | instid1(VALU_DEP_1)
	v_add_nc_u32_e32 v134, v134, v135
	v_mov_b32_dpp v135, v134 row_shr:4 row_mask:0xf bank_mask:0xf
	s_delay_alu instid0(VALU_DEP_1) | instskip(NEXT) | instid1(VALU_DEP_1)
	v_cndmask_b32_e64 v135, 0, v135, s3
	v_add_nc_u32_e32 v134, v134, v135
	s_delay_alu instid0(VALU_DEP_1) | instskip(NEXT) | instid1(VALU_DEP_1)
	v_mov_b32_dpp v135, v134 row_shr:8 row_mask:0xf bank_mask:0xf
	v_cndmask_b32_e64 v135, 0, v135, s4
	s_delay_alu instid0(VALU_DEP_1) | instskip(SKIP_3) | instid1(VALU_DEP_1)
	v_add_nc_u32_e32 v134, v134, v135
	ds_swizzle_b32 v135, v134 offset:swizzle(BROADCAST,32,15)
	s_waitcnt lgkmcnt(0)
	v_cndmask_b32_e64 v135, v135, 0, s5
	v_add_nc_u32_e32 v134, v134, v135
	s_and_saveexec_b32 s11, s10
	s_delay_alu instid0(SALU_CYCLE_1)
	s_xor_b32 s11, exec_lo, s11
	s_cbranch_execz .LBB59_70
; %bb.69:                               ;   in Loop: Header=BB59_4 Depth=2
	ds_store_b32 v3, v134
.LBB59_70:                              ;   in Loop: Header=BB59_4 Depth=2
	s_or_b32 exec_lo, exec_lo, s11
	s_waitcnt lgkmcnt(0)
	s_barrier
	buffer_gl0_inv
	s_and_saveexec_b32 s11, s6
	s_cbranch_execz .LBB59_72
; %bb.71:                               ;   in Loop: Header=BB59_4 Depth=2
	ds_load_b32 v135, v0
	s_waitcnt lgkmcnt(0)
	v_mov_b32_dpp v136, v135 row_shr:1 row_mask:0xf bank_mask:0xf
	s_delay_alu instid0(VALU_DEP_1) | instskip(NEXT) | instid1(VALU_DEP_1)
	v_cndmask_b32_e64 v136, v136, 0, s8
	v_add_nc_u32_e32 v135, v136, v135
	s_delay_alu instid0(VALU_DEP_1) | instskip(NEXT) | instid1(VALU_DEP_1)
	v_mov_b32_dpp v136, v135 row_shr:2 row_mask:0xf bank_mask:0xf
	v_cndmask_b32_e64 v136, 0, v136, s9
	s_delay_alu instid0(VALU_DEP_1)
	v_add_nc_u32_e32 v135, v135, v136
	ds_store_b32 v0, v135
.LBB59_72:                              ;   in Loop: Header=BB59_4 Depth=2
	s_or_b32 exec_lo, exec_lo, s11
	v_mov_b32_e32 v135, 0
	s_waitcnt lgkmcnt(0)
	s_barrier
	buffer_gl0_inv
	s_and_saveexec_b32 s11, s7
	s_cbranch_execz .LBB59_3
; %bb.73:                               ;   in Loop: Header=BB59_4 Depth=2
	ds_load_b32 v135, v5
	s_branch .LBB59_3
.LBB59_74:
	ds_load_b32 v0, v43
	ds_load_b32 v2, v46
	;; [unrolled: 1-line block ×16, first 2 shown]
	s_lshl_b64 s[0:1], s[12:13], 2
	s_delay_alu instid0(SALU_CYCLE_1)
	s_add_u32 s0, s18, s0
	s_addc_u32 s1, s19, s1
	s_waitcnt lgkmcnt(15)
	v_add3_u32 v3, v42, v41, v0
	ds_load_b32 v0, v109
	ds_load_b32 v24, v106
	;; [unrolled: 1-line block ×16, first 2 shown]
	s_waitcnt lgkmcnt(30)
	v_add3_u32 v4, v45, v44, v2
	s_waitcnt lgkmcnt(28)
	v_add_nc_u32_e32 v2, v6, v39
	v_add3_u32 v5, v48, v47, v5
	s_waitcnt lgkmcnt(26)
	v_add3_u32 v8, v57, v56, v8
	s_waitcnt lgkmcnt(25)
	;; [unrolled: 2-line block ×3, first 2 shown]
	v_add3_u32 v6, v51, v50, v10
	v_add3_u32 v9, v60, v59, v9
	s_waitcnt lgkmcnt(22)
	v_add3_u32 v16, v81, v80, v16
	s_waitcnt lgkmcnt(21)
	;; [unrolled: 2-line block ×8, first 2 shown]
	v_add3_u32 v18, v87, v86, v25
	v_add3_u32 v25, v108, v107, v0
	v_lshlrev_b32_e32 v0, 2, v1
	v_add3_u32 v17, v84, v83, v17
	v_add3_u32 v19, v90, v89, v19
	;; [unrolled: 1-line block ×7, first 2 shown]
	s_waitcnt lgkmcnt(0)
	v_add3_u32 v26, v111, v110, v26
	v_add3_u32 v27, v114, v113, v27
	;; [unrolled: 1-line block ×8, first 2 shown]
	s_clause 0x7
	global_store_b128 v0, v[2:5], s[0:1]
	global_store_b128 v0, v[6:9], s[0:1] offset:16
	global_store_b128 v0, v[10:13], s[0:1] offset:32
	;; [unrolled: 1-line block ×7, first 2 shown]
	s_nop 0
	s_sendmsg sendmsg(MSG_DEALLOC_VGPRS)
	s_endpgm
	.section	.rodata,"a",@progbits
	.p2align	6, 0x0
	.amdhsa_kernel _Z11rank_kernelIhLj4ELb0EL18RadixRankAlgorithm2ELj128ELj32ELj10EEvPKT_Pi
		.amdhsa_group_segment_fixed_size 528
		.amdhsa_private_segment_fixed_size 0
		.amdhsa_kernarg_size 272
		.amdhsa_user_sgpr_count 15
		.amdhsa_user_sgpr_dispatch_ptr 0
		.amdhsa_user_sgpr_queue_ptr 0
		.amdhsa_user_sgpr_kernarg_segment_ptr 1
		.amdhsa_user_sgpr_dispatch_id 0
		.amdhsa_user_sgpr_private_segment_size 0
		.amdhsa_wavefront_size32 1
		.amdhsa_uses_dynamic_stack 0
		.amdhsa_enable_private_segment 0
		.amdhsa_system_sgpr_workgroup_id_x 1
		.amdhsa_system_sgpr_workgroup_id_y 0
		.amdhsa_system_sgpr_workgroup_id_z 0
		.amdhsa_system_sgpr_workgroup_info 0
		.amdhsa_system_vgpr_workitem_id 2
		.amdhsa_next_free_vgpr 138
		.amdhsa_next_free_sgpr 20
		.amdhsa_reserve_vcc 1
		.amdhsa_float_round_mode_32 0
		.amdhsa_float_round_mode_16_64 0
		.amdhsa_float_denorm_mode_32 3
		.amdhsa_float_denorm_mode_16_64 3
		.amdhsa_dx10_clamp 1
		.amdhsa_ieee_mode 1
		.amdhsa_fp16_overflow 0
		.amdhsa_workgroup_processor_mode 1
		.amdhsa_memory_ordered 1
		.amdhsa_forward_progress 0
		.amdhsa_shared_vgpr_count 0
		.amdhsa_exception_fp_ieee_invalid_op 0
		.amdhsa_exception_fp_denorm_src 0
		.amdhsa_exception_fp_ieee_div_zero 0
		.amdhsa_exception_fp_ieee_overflow 0
		.amdhsa_exception_fp_ieee_underflow 0
		.amdhsa_exception_fp_ieee_inexact 0
		.amdhsa_exception_int_div_zero 0
	.end_amdhsa_kernel
	.section	.text._Z11rank_kernelIhLj4ELb0EL18RadixRankAlgorithm2ELj128ELj32ELj10EEvPKT_Pi,"axG",@progbits,_Z11rank_kernelIhLj4ELb0EL18RadixRankAlgorithm2ELj128ELj32ELj10EEvPKT_Pi,comdat
.Lfunc_end59:
	.size	_Z11rank_kernelIhLj4ELb0EL18RadixRankAlgorithm2ELj128ELj32ELj10EEvPKT_Pi, .Lfunc_end59-_Z11rank_kernelIhLj4ELb0EL18RadixRankAlgorithm2ELj128ELj32ELj10EEvPKT_Pi
                                        ; -- End function
	.section	.AMDGPU.csdata,"",@progbits
; Kernel info:
; codeLenInByte = 9296
; NumSgprs: 22
; NumVgprs: 138
; ScratchSize: 0
; MemoryBound: 0
; FloatMode: 240
; IeeeMode: 1
; LDSByteSize: 528 bytes/workgroup (compile time only)
; SGPRBlocks: 2
; VGPRBlocks: 17
; NumSGPRsForWavesPerEU: 22
; NumVGPRsForWavesPerEU: 138
; Occupancy: 10
; WaveLimiterHint : 0
; COMPUTE_PGM_RSRC2:SCRATCH_EN: 0
; COMPUTE_PGM_RSRC2:USER_SGPR: 15
; COMPUTE_PGM_RSRC2:TRAP_HANDLER: 0
; COMPUTE_PGM_RSRC2:TGID_X_EN: 1
; COMPUTE_PGM_RSRC2:TGID_Y_EN: 0
; COMPUTE_PGM_RSRC2:TGID_Z_EN: 0
; COMPUTE_PGM_RSRC2:TIDIG_COMP_CNT: 2
	.section	.text._Z11rank_kernelIhLj4ELb0EL18RadixRankAlgorithm0ELj256ELj1ELj10EEvPKT_Pi,"axG",@progbits,_Z11rank_kernelIhLj4ELb0EL18RadixRankAlgorithm0ELj256ELj1ELj10EEvPKT_Pi,comdat
	.protected	_Z11rank_kernelIhLj4ELb0EL18RadixRankAlgorithm0ELj256ELj1ELj10EEvPKT_Pi ; -- Begin function _Z11rank_kernelIhLj4ELb0EL18RadixRankAlgorithm0ELj256ELj1ELj10EEvPKT_Pi
	.globl	_Z11rank_kernelIhLj4ELb0EL18RadixRankAlgorithm0ELj256ELj1ELj10EEvPKT_Pi
	.p2align	8
	.type	_Z11rank_kernelIhLj4ELb0EL18RadixRankAlgorithm0ELj256ELj1ELj10EEvPKT_Pi,@function
_Z11rank_kernelIhLj4ELb0EL18RadixRankAlgorithm0ELj256ELj1ELj10EEvPKT_Pi: ; @_Z11rank_kernelIhLj4ELb0EL18RadixRankAlgorithm0ELj256ELj1ELj10EEvPKT_Pi
; %bb.0:
	s_load_b128 s[16:19], s[0:1], 0x0
	s_lshl_b32 s12, s15, 8
	v_mbcnt_lo_u32_b32 v4, -1, 0
	v_or_b32_e32 v8, 31, v0
	v_lshrrev_b32_e32 v10, 3, v0
	v_dual_mov_b32 v1, 0 :: v_dual_lshlrev_b32 v2, 5, v0
	s_delay_alu instid0(VALU_DEP_4)
	v_add_nc_u32_e32 v9, -1, v4
	v_and_b32_e32 v6, 15, v4
	v_and_b32_e32 v7, 16, v4
	v_cmp_eq_u32_e64 s7, v8, v0
	v_and_b32_e32 v11, 7, v4
	v_cmp_gt_i32_e64 s8, 0, v9
	v_cmp_eq_u32_e64 s2, 0, v6
	v_cmp_lt_u32_e64 s3, 1, v6
	v_cmp_lt_u32_e64 s4, 3, v6
	;; [unrolled: 1-line block ×3, first 2 shown]
	v_cmp_eq_u32_e64 s6, 0, v7
	v_cndmask_b32_e64 v6, v9, v4, s8
	v_cmp_gt_u32_e32 vcc_lo, 8, v0
	s_waitcnt lgkmcnt(0)
	s_add_u32 s0, s16, s12
	s_addc_u32 s1, s17, 0
	v_lshlrev_b32_e32 v3, 2, v0
	global_load_u8 v5, v0, s[0:1]
	v_cmp_eq_u32_e64 s1, 0, v4
	v_and_b32_e32 v4, 28, v10
	v_cmp_lt_u32_e64 s0, 31, v0
	v_cmp_eq_u32_e64 s8, 0, v11
	v_cmp_lt_u32_e64 s9, 1, v11
	v_cmp_lt_u32_e64 s10, 3, v11
	v_lshlrev_b32_e32 v6, 2, v6
	s_mov_b32 s13, 0
	s_delay_alu instid0(SALU_CYCLE_1)
	s_mov_b32 s14, s13
	s_waitcnt vmcnt(0)
	v_lshlrev_b32_e32 v7, 4, v5
	v_lshrrev_b32_e32 v8, 6, v5
	v_lshlrev_b32_e32 v9, 8, v5
	v_lshrrev_b32_e32 v5, 2, v5
	s_delay_alu instid0(VALU_DEP_4) | instskip(NEXT) | instid1(VALU_DEP_4)
	v_and_or_b32 v7, 0x700, v7, v0
	v_and_b32_e32 v8, 2, v8
	s_delay_alu instid0(VALU_DEP_4) | instskip(NEXT) | instid1(VALU_DEP_4)
	v_and_or_b32 v9, 0x700, v9, v0
	v_and_b32_e32 v10, 2, v5
	s_delay_alu instid0(VALU_DEP_3) | instskip(SKIP_1) | instid1(VALU_DEP_3)
	v_lshl_or_b32 v5, v7, 2, v8
	v_or_b32_e32 v8, 0xffffff00, v0
	v_lshl_or_b32 v7, v9, 2, v10
	s_branch .LBB60_2
.LBB60_1:                               ;   in Loop: Header=BB60_2 Depth=1
	s_or_b32 exec_lo, exec_lo, s11
	s_waitcnt lgkmcnt(0)
	v_add_nc_u32_e32 v10, v11, v10
	ds_load_b32 v14, v1 offset:8220
	ds_load_2addr_b32 v[12:13], v2 offset1:1
	s_add_i32 s14, s14, 1
	s_delay_alu instid0(SALU_CYCLE_1)
	s_cmp_eq_u32 s14, 10
	ds_bpermute_b32 v10, v6, v10
	s_waitcnt lgkmcnt(0)
	v_cndmask_b32_e64 v15, v10, v11, s1
	ds_load_2addr_b32 v[10:11], v2 offset0:2 offset1:3
	v_lshl_add_u32 v16, v14, 16, v15
	ds_load_2addr_b32 v[14:15], v2 offset0:4 offset1:5
	ds_load_b32 v17, v2 offset:24
	v_add_nc_u32_e32 v12, v16, v12
	s_delay_alu instid0(VALU_DEP_1) | instskip(SKIP_1) | instid1(VALU_DEP_1)
	v_add_nc_u32_e32 v13, v13, v12
	s_waitcnt lgkmcnt(2)
	v_add_nc_u32_e32 v10, v10, v13
	s_delay_alu instid0(VALU_DEP_1) | instskip(SKIP_1) | instid1(VALU_DEP_1)
	v_add_nc_u32_e32 v11, v11, v10
	s_waitcnt lgkmcnt(1)
	;; [unrolled: 4-line block ×3, first 2 shown]
	v_add_nc_u32_e32 v17, v17, v15
	ds_store_2addr_b32 v2, v16, v12 offset1:1
	ds_store_2addr_b32 v2, v13, v10 offset0:2 offset1:3
	ds_store_2addr_b32 v2, v11, v14 offset0:4 offset1:5
	;; [unrolled: 1-line block ×3, first 2 shown]
	s_waitcnt lgkmcnt(0)
	s_barrier
	buffer_gl0_inv
	s_cbranch_scc1 .LBB60_18
.LBB60_2:                               ; =>This Loop Header: Depth=1
                                        ;     Child Loop BB60_3 Depth 2
                                        ;     Child Loop BB60_11 Depth 2
	s_delay_alu instid0(VALU_DEP_2)
	v_dual_mov_b32 v9, v8 :: v_dual_mov_b32 v10, v3
	s_mov_b32 s15, 0
.LBB60_3:                               ;   Parent Loop BB60_2 Depth=1
                                        ; =>  This Inner Loop Header: Depth=2
	s_delay_alu instid0(VALU_DEP_1) | instskip(SKIP_3) | instid1(VALU_DEP_1)
	v_add_nc_u32_e32 v9, 0x100, v9
	ds_store_b32 v10, v1
	v_add_nc_u32_e32 v10, 0x400, v10
	v_cmp_lt_u32_e64 s11, 0x6ff, v9
	s_or_b32 s15, s11, s15
	s_delay_alu instid0(SALU_CYCLE_1)
	s_and_not1_b32 exec_lo, exec_lo, s15
	s_cbranch_execnz .LBB60_3
; %bb.4:                                ;   in Loop: Header=BB60_2 Depth=1
	s_or_b32 exec_lo, exec_lo, s15
	ds_load_u16 v9, v7
	s_waitcnt lgkmcnt(0)
	v_add_nc_u16 v9, v9, 1
	ds_store_b16 v7, v9
	s_waitcnt lgkmcnt(0)
	s_barrier
	buffer_gl0_inv
	ds_load_2addr_b32 v[9:10], v2 offset1:1
	ds_load_2addr_b32 v[11:12], v2 offset0:2 offset1:3
	ds_load_2addr_b32 v[13:14], v2 offset0:4 offset1:5
	;; [unrolled: 1-line block ×3, first 2 shown]
	s_waitcnt lgkmcnt(3)
	v_add_nc_u32_e32 v9, v10, v9
	s_waitcnt lgkmcnt(2)
	s_delay_alu instid0(VALU_DEP_1) | instskip(SKIP_1) | instid1(VALU_DEP_1)
	v_add3_u32 v9, v9, v11, v12
	s_waitcnt lgkmcnt(1)
	v_add3_u32 v9, v9, v13, v14
	s_waitcnt lgkmcnt(0)
	s_delay_alu instid0(VALU_DEP_1) | instskip(NEXT) | instid1(VALU_DEP_1)
	v_add3_u32 v9, v9, v15, v16
	v_mov_b32_dpp v10, v9 row_shr:1 row_mask:0xf bank_mask:0xf
	s_delay_alu instid0(VALU_DEP_1) | instskip(NEXT) | instid1(VALU_DEP_1)
	v_cndmask_b32_e64 v10, v10, 0, s2
	v_add_nc_u32_e32 v9, v10, v9
	s_delay_alu instid0(VALU_DEP_1) | instskip(NEXT) | instid1(VALU_DEP_1)
	v_mov_b32_dpp v10, v9 row_shr:2 row_mask:0xf bank_mask:0xf
	v_cndmask_b32_e64 v10, 0, v10, s3
	s_delay_alu instid0(VALU_DEP_1) | instskip(NEXT) | instid1(VALU_DEP_1)
	v_add_nc_u32_e32 v9, v9, v10
	v_mov_b32_dpp v10, v9 row_shr:4 row_mask:0xf bank_mask:0xf
	s_delay_alu instid0(VALU_DEP_1) | instskip(NEXT) | instid1(VALU_DEP_1)
	v_cndmask_b32_e64 v10, 0, v10, s4
	v_add_nc_u32_e32 v9, v9, v10
	s_delay_alu instid0(VALU_DEP_1) | instskip(NEXT) | instid1(VALU_DEP_1)
	v_mov_b32_dpp v10, v9 row_shr:8 row_mask:0xf bank_mask:0xf
	v_cndmask_b32_e64 v10, 0, v10, s5
	s_delay_alu instid0(VALU_DEP_1) | instskip(SKIP_3) | instid1(VALU_DEP_1)
	v_add_nc_u32_e32 v9, v9, v10
	ds_swizzle_b32 v10, v9 offset:swizzle(BROADCAST,32,15)
	s_waitcnt lgkmcnt(0)
	v_cndmask_b32_e64 v10, v10, 0, s6
	v_add_nc_u32_e32 v9, v9, v10
	s_and_saveexec_b32 s11, s7
	s_cbranch_execz .LBB60_6
; %bb.5:                                ;   in Loop: Header=BB60_2 Depth=1
	ds_store_b32 v4, v9 offset:8192
.LBB60_6:                               ;   in Loop: Header=BB60_2 Depth=1
	s_or_b32 exec_lo, exec_lo, s11
	s_waitcnt lgkmcnt(0)
	s_barrier
	buffer_gl0_inv
	s_and_saveexec_b32 s11, vcc_lo
	s_cbranch_execz .LBB60_8
; %bb.7:                                ;   in Loop: Header=BB60_2 Depth=1
	ds_load_b32 v10, v3 offset:8192
	s_waitcnt lgkmcnt(0)
	v_mov_b32_dpp v11, v10 row_shr:1 row_mask:0xf bank_mask:0xf
	s_delay_alu instid0(VALU_DEP_1) | instskip(NEXT) | instid1(VALU_DEP_1)
	v_cndmask_b32_e64 v11, v11, 0, s8
	v_add_nc_u32_e32 v10, v11, v10
	s_delay_alu instid0(VALU_DEP_1) | instskip(NEXT) | instid1(VALU_DEP_1)
	v_mov_b32_dpp v11, v10 row_shr:2 row_mask:0xf bank_mask:0xf
	v_cndmask_b32_e64 v11, 0, v11, s9
	s_delay_alu instid0(VALU_DEP_1) | instskip(NEXT) | instid1(VALU_DEP_1)
	v_add_nc_u32_e32 v10, v10, v11
	v_mov_b32_dpp v11, v10 row_shr:4 row_mask:0xf bank_mask:0xf
	s_delay_alu instid0(VALU_DEP_1) | instskip(NEXT) | instid1(VALU_DEP_1)
	v_cndmask_b32_e64 v11, 0, v11, s10
	v_add_nc_u32_e32 v10, v10, v11
	ds_store_b32 v3, v10 offset:8192
.LBB60_8:                               ;   in Loop: Header=BB60_2 Depth=1
	s_or_b32 exec_lo, exec_lo, s11
	v_mov_b32_e32 v10, 0
	s_waitcnt lgkmcnt(0)
	s_barrier
	buffer_gl0_inv
	s_and_saveexec_b32 s11, s0
	s_cbranch_execz .LBB60_10
; %bb.9:                                ;   in Loop: Header=BB60_2 Depth=1
	ds_load_b32 v10, v4 offset:8188
.LBB60_10:                              ;   in Loop: Header=BB60_2 Depth=1
	s_or_b32 exec_lo, exec_lo, s11
	s_waitcnt lgkmcnt(0)
	v_add_nc_u32_e32 v9, v10, v9
	ds_load_b32 v13, v1 offset:8220
	ds_load_2addr_b32 v[11:12], v2 offset1:1
	s_mov_b32 s15, 0
	ds_bpermute_b32 v9, v6, v9
	s_waitcnt lgkmcnt(0)
	v_cndmask_b32_e64 v14, v9, v10, s1
	ds_load_2addr_b32 v[9:10], v2 offset0:2 offset1:3
	v_lshl_add_u32 v15, v13, 16, v14
	ds_load_2addr_b32 v[13:14], v2 offset0:4 offset1:5
	ds_load_b32 v16, v2 offset:24
	v_add_nc_u32_e32 v11, v15, v11
	s_delay_alu instid0(VALU_DEP_1) | instskip(SKIP_1) | instid1(VALU_DEP_1)
	v_add_nc_u32_e32 v12, v12, v11
	s_waitcnt lgkmcnt(2)
	v_add_nc_u32_e32 v17, v9, v12
	s_delay_alu instid0(VALU_DEP_1) | instskip(SKIP_1) | instid1(VALU_DEP_1)
	v_dual_mov_b32 v9, v8 :: v_dual_add_nc_u32 v18, v10, v17
	s_waitcnt lgkmcnt(1)
	v_dual_mov_b32 v10, v3 :: v_dual_add_nc_u32 v13, v13, v18
	s_delay_alu instid0(VALU_DEP_1) | instskip(SKIP_1) | instid1(VALU_DEP_1)
	v_add_nc_u32_e32 v14, v14, v13
	s_waitcnt lgkmcnt(0)
	v_add_nc_u32_e32 v16, v16, v14
	ds_store_2addr_b32 v2, v15, v11 offset1:1
	ds_store_2addr_b32 v2, v12, v17 offset0:2 offset1:3
	ds_store_2addr_b32 v2, v18, v13 offset0:4 offset1:5
	;; [unrolled: 1-line block ×3, first 2 shown]
	s_waitcnt lgkmcnt(0)
	s_barrier
	buffer_gl0_inv
.LBB60_11:                              ;   Parent Loop BB60_2 Depth=1
                                        ; =>  This Inner Loop Header: Depth=2
	v_add_nc_u32_e32 v9, 0x100, v9
	ds_store_b32 v10, v1
	v_add_nc_u32_e32 v10, 0x400, v10
	v_cmp_lt_u32_e64 s11, 0x6ff, v9
	s_delay_alu instid0(VALU_DEP_1) | instskip(NEXT) | instid1(SALU_CYCLE_1)
	s_or_b32 s15, s11, s15
	s_and_not1_b32 exec_lo, exec_lo, s15
	s_cbranch_execnz .LBB60_11
; %bb.12:                               ;   in Loop: Header=BB60_2 Depth=1
	s_or_b32 exec_lo, exec_lo, s15
	ds_load_u16 v9, v5
	s_waitcnt lgkmcnt(0)
	v_add_nc_u16 v10, v9, 1
	ds_store_b16 v5, v10
	s_waitcnt lgkmcnt(0)
	s_barrier
	buffer_gl0_inv
	ds_load_2addr_b32 v[10:11], v2 offset1:1
	ds_load_2addr_b32 v[12:13], v2 offset0:2 offset1:3
	ds_load_2addr_b32 v[14:15], v2 offset0:4 offset1:5
	;; [unrolled: 1-line block ×3, first 2 shown]
	s_waitcnt lgkmcnt(3)
	v_add_nc_u32_e32 v10, v11, v10
	s_waitcnt lgkmcnt(2)
	s_delay_alu instid0(VALU_DEP_1) | instskip(SKIP_1) | instid1(VALU_DEP_1)
	v_add3_u32 v10, v10, v12, v13
	s_waitcnt lgkmcnt(1)
	v_add3_u32 v10, v10, v14, v15
	s_waitcnt lgkmcnt(0)
	s_delay_alu instid0(VALU_DEP_1) | instskip(NEXT) | instid1(VALU_DEP_1)
	v_add3_u32 v10, v10, v16, v17
	v_mov_b32_dpp v11, v10 row_shr:1 row_mask:0xf bank_mask:0xf
	s_delay_alu instid0(VALU_DEP_1) | instskip(NEXT) | instid1(VALU_DEP_1)
	v_cndmask_b32_e64 v11, v11, 0, s2
	v_add_nc_u32_e32 v10, v11, v10
	s_delay_alu instid0(VALU_DEP_1) | instskip(NEXT) | instid1(VALU_DEP_1)
	v_mov_b32_dpp v11, v10 row_shr:2 row_mask:0xf bank_mask:0xf
	v_cndmask_b32_e64 v11, 0, v11, s3
	s_delay_alu instid0(VALU_DEP_1) | instskip(NEXT) | instid1(VALU_DEP_1)
	v_add_nc_u32_e32 v10, v10, v11
	v_mov_b32_dpp v11, v10 row_shr:4 row_mask:0xf bank_mask:0xf
	s_delay_alu instid0(VALU_DEP_1) | instskip(NEXT) | instid1(VALU_DEP_1)
	v_cndmask_b32_e64 v11, 0, v11, s4
	v_add_nc_u32_e32 v10, v10, v11
	s_delay_alu instid0(VALU_DEP_1) | instskip(NEXT) | instid1(VALU_DEP_1)
	v_mov_b32_dpp v11, v10 row_shr:8 row_mask:0xf bank_mask:0xf
	v_cndmask_b32_e64 v11, 0, v11, s5
	s_delay_alu instid0(VALU_DEP_1) | instskip(SKIP_3) | instid1(VALU_DEP_1)
	v_add_nc_u32_e32 v10, v10, v11
	ds_swizzle_b32 v11, v10 offset:swizzle(BROADCAST,32,15)
	s_waitcnt lgkmcnt(0)
	v_cndmask_b32_e64 v11, v11, 0, s6
	v_add_nc_u32_e32 v10, v10, v11
	s_and_saveexec_b32 s11, s7
	s_cbranch_execz .LBB60_14
; %bb.13:                               ;   in Loop: Header=BB60_2 Depth=1
	ds_store_b32 v4, v10 offset:8192
.LBB60_14:                              ;   in Loop: Header=BB60_2 Depth=1
	s_or_b32 exec_lo, exec_lo, s11
	s_waitcnt lgkmcnt(0)
	s_barrier
	buffer_gl0_inv
	s_and_saveexec_b32 s11, vcc_lo
	s_cbranch_execz .LBB60_16
; %bb.15:                               ;   in Loop: Header=BB60_2 Depth=1
	ds_load_b32 v11, v3 offset:8192
	s_waitcnt lgkmcnt(0)
	v_mov_b32_dpp v12, v11 row_shr:1 row_mask:0xf bank_mask:0xf
	s_delay_alu instid0(VALU_DEP_1) | instskip(NEXT) | instid1(VALU_DEP_1)
	v_cndmask_b32_e64 v12, v12, 0, s8
	v_add_nc_u32_e32 v11, v12, v11
	s_delay_alu instid0(VALU_DEP_1) | instskip(NEXT) | instid1(VALU_DEP_1)
	v_mov_b32_dpp v12, v11 row_shr:2 row_mask:0xf bank_mask:0xf
	v_cndmask_b32_e64 v12, 0, v12, s9
	s_delay_alu instid0(VALU_DEP_1) | instskip(NEXT) | instid1(VALU_DEP_1)
	v_add_nc_u32_e32 v11, v11, v12
	v_mov_b32_dpp v12, v11 row_shr:4 row_mask:0xf bank_mask:0xf
	s_delay_alu instid0(VALU_DEP_1) | instskip(NEXT) | instid1(VALU_DEP_1)
	v_cndmask_b32_e64 v12, 0, v12, s10
	v_add_nc_u32_e32 v11, v11, v12
	ds_store_b32 v3, v11 offset:8192
.LBB60_16:                              ;   in Loop: Header=BB60_2 Depth=1
	s_or_b32 exec_lo, exec_lo, s11
	v_mov_b32_e32 v11, 0
	s_waitcnt lgkmcnt(0)
	s_barrier
	buffer_gl0_inv
	s_and_saveexec_b32 s11, s0
	s_cbranch_execz .LBB60_1
; %bb.17:                               ;   in Loop: Header=BB60_2 Depth=1
	ds_load_b32 v11, v4 offset:8188
	s_branch .LBB60_1
.LBB60_18:
	ds_load_u16 v1, v5
	v_and_b32_e32 v2, 0xffff, v9
	s_lshl_b64 s[0:1], s[12:13], 2
	v_lshlrev_b32_e32 v0, 2, v0
	s_add_u32 s0, s18, s0
	s_addc_u32 s1, s19, s1
	s_waitcnt lgkmcnt(0)
	v_add_nc_u32_e32 v1, v1, v2
	global_store_b32 v0, v1, s[0:1]
	s_nop 0
	s_sendmsg sendmsg(MSG_DEALLOC_VGPRS)
	s_endpgm
	.section	.rodata,"a",@progbits
	.p2align	6, 0x0
	.amdhsa_kernel _Z11rank_kernelIhLj4ELb0EL18RadixRankAlgorithm0ELj256ELj1ELj10EEvPKT_Pi
		.amdhsa_group_segment_fixed_size 8224
		.amdhsa_private_segment_fixed_size 0
		.amdhsa_kernarg_size 16
		.amdhsa_user_sgpr_count 15
		.amdhsa_user_sgpr_dispatch_ptr 0
		.amdhsa_user_sgpr_queue_ptr 0
		.amdhsa_user_sgpr_kernarg_segment_ptr 1
		.amdhsa_user_sgpr_dispatch_id 0
		.amdhsa_user_sgpr_private_segment_size 0
		.amdhsa_wavefront_size32 1
		.amdhsa_uses_dynamic_stack 0
		.amdhsa_enable_private_segment 0
		.amdhsa_system_sgpr_workgroup_id_x 1
		.amdhsa_system_sgpr_workgroup_id_y 0
		.amdhsa_system_sgpr_workgroup_id_z 0
		.amdhsa_system_sgpr_workgroup_info 0
		.amdhsa_system_vgpr_workitem_id 0
		.amdhsa_next_free_vgpr 19
		.amdhsa_next_free_sgpr 20
		.amdhsa_reserve_vcc 1
		.amdhsa_float_round_mode_32 0
		.amdhsa_float_round_mode_16_64 0
		.amdhsa_float_denorm_mode_32 3
		.amdhsa_float_denorm_mode_16_64 3
		.amdhsa_dx10_clamp 1
		.amdhsa_ieee_mode 1
		.amdhsa_fp16_overflow 0
		.amdhsa_workgroup_processor_mode 1
		.amdhsa_memory_ordered 1
		.amdhsa_forward_progress 0
		.amdhsa_shared_vgpr_count 0
		.amdhsa_exception_fp_ieee_invalid_op 0
		.amdhsa_exception_fp_denorm_src 0
		.amdhsa_exception_fp_ieee_div_zero 0
		.amdhsa_exception_fp_ieee_overflow 0
		.amdhsa_exception_fp_ieee_underflow 0
		.amdhsa_exception_fp_ieee_inexact 0
		.amdhsa_exception_int_div_zero 0
	.end_amdhsa_kernel
	.section	.text._Z11rank_kernelIhLj4ELb0EL18RadixRankAlgorithm0ELj256ELj1ELj10EEvPKT_Pi,"axG",@progbits,_Z11rank_kernelIhLj4ELb0EL18RadixRankAlgorithm0ELj256ELj1ELj10EEvPKT_Pi,comdat
.Lfunc_end60:
	.size	_Z11rank_kernelIhLj4ELb0EL18RadixRankAlgorithm0ELj256ELj1ELj10EEvPKT_Pi, .Lfunc_end60-_Z11rank_kernelIhLj4ELb0EL18RadixRankAlgorithm0ELj256ELj1ELj10EEvPKT_Pi
                                        ; -- End function
	.section	.AMDGPU.csdata,"",@progbits
; Kernel info:
; codeLenInByte = 1756
; NumSgprs: 22
; NumVgprs: 19
; ScratchSize: 0
; MemoryBound: 0
; FloatMode: 240
; IeeeMode: 1
; LDSByteSize: 8224 bytes/workgroup (compile time only)
; SGPRBlocks: 2
; VGPRBlocks: 2
; NumSGPRsForWavesPerEU: 22
; NumVGPRsForWavesPerEU: 19
; Occupancy: 16
; WaveLimiterHint : 0
; COMPUTE_PGM_RSRC2:SCRATCH_EN: 0
; COMPUTE_PGM_RSRC2:USER_SGPR: 15
; COMPUTE_PGM_RSRC2:TRAP_HANDLER: 0
; COMPUTE_PGM_RSRC2:TGID_X_EN: 1
; COMPUTE_PGM_RSRC2:TGID_Y_EN: 0
; COMPUTE_PGM_RSRC2:TGID_Z_EN: 0
; COMPUTE_PGM_RSRC2:TIDIG_COMP_CNT: 0
	.section	.text._Z11rank_kernelIhLj4ELb0EL18RadixRankAlgorithm1ELj256ELj1ELj10EEvPKT_Pi,"axG",@progbits,_Z11rank_kernelIhLj4ELb0EL18RadixRankAlgorithm1ELj256ELj1ELj10EEvPKT_Pi,comdat
	.protected	_Z11rank_kernelIhLj4ELb0EL18RadixRankAlgorithm1ELj256ELj1ELj10EEvPKT_Pi ; -- Begin function _Z11rank_kernelIhLj4ELb0EL18RadixRankAlgorithm1ELj256ELj1ELj10EEvPKT_Pi
	.globl	_Z11rank_kernelIhLj4ELb0EL18RadixRankAlgorithm1ELj256ELj1ELj10EEvPKT_Pi
	.p2align	8
	.type	_Z11rank_kernelIhLj4ELb0EL18RadixRankAlgorithm1ELj256ELj1ELj10EEvPKT_Pi,@function
_Z11rank_kernelIhLj4ELb0EL18RadixRankAlgorithm1ELj256ELj1ELj10EEvPKT_Pi: ; @_Z11rank_kernelIhLj4ELb0EL18RadixRankAlgorithm1ELj256ELj1ELj10EEvPKT_Pi
; %bb.0:
	s_load_b128 s[16:19], s[0:1], 0x0
	s_lshl_b32 s12, s15, 8
	v_mbcnt_lo_u32_b32 v2, -1, 0
	v_or_b32_e32 v5, 31, v0
	v_lshrrev_b32_e32 v7, 3, v0
	v_dual_mov_b32 v9, 0 :: v_dual_lshlrev_b32 v10, 5, v0
	s_delay_alu instid0(VALU_DEP_4)
	v_and_b32_e32 v3, 15, v2
	v_and_b32_e32 v4, 16, v2
	v_add_nc_u32_e32 v6, -1, v2
	v_cmp_eq_u32_e64 s7, v5, v0
	v_and_b32_e32 v8, 7, v2
	v_cmp_eq_u32_e64 s2, 0, v3
	v_cmp_lt_u32_e64 s3, 1, v3
	v_cmp_lt_u32_e64 s4, 3, v3
	v_cmp_lt_u32_e64 s5, 7, v3
	v_cmp_eq_u32_e64 s6, 0, v4
	v_cmp_gt_i32_e64 s8, 0, v6
	v_cmp_gt_u32_e32 vcc_lo, 8, v0
	v_lshlrev_b32_e32 v11, 2, v0
	s_waitcnt lgkmcnt(0)
	s_add_u32 s0, s16, s12
	s_addc_u32 s1, s17, 0
	v_and_b32_e32 v12, 28, v7
	global_load_u8 v1, v0, s[0:1]
	v_cmp_eq_u32_e64 s1, 0, v2
	v_cndmask_b32_e64 v2, v6, v2, s8
	v_cmp_lt_u32_e64 s0, 31, v0
	v_cmp_eq_u32_e64 s8, 0, v8
	v_cmp_lt_u32_e64 s9, 1, v8
	v_cmp_lt_u32_e64 s10, 3, v8
	v_lshlrev_b32_e32 v14, 2, v2
	v_or_b32_e32 v16, 0xffffff00, v0
	s_mov_b32 s13, 0
	s_delay_alu instid0(SALU_CYCLE_1)
	s_mov_b32 s14, s13
	s_waitcnt vmcnt(0)
	v_lshlrev_b32_e32 v3, 4, v1
	v_lshrrev_b32_e32 v4, 6, v1
	v_lshlrev_b32_e32 v5, 8, v1
	v_lshrrev_b32_e32 v1, 2, v1
	s_delay_alu instid0(VALU_DEP_4) | instskip(NEXT) | instid1(VALU_DEP_4)
	v_and_or_b32 v3, 0x700, v3, v0
	v_and_b32_e32 v4, 2, v4
	s_delay_alu instid0(VALU_DEP_4) | instskip(NEXT) | instid1(VALU_DEP_4)
	v_and_or_b32 v5, 0x700, v5, v0
	v_and_b32_e32 v1, 2, v1
	s_delay_alu instid0(VALU_DEP_3) | instskip(NEXT) | instid1(VALU_DEP_2)
	v_lshl_or_b32 v13, v3, 2, v4
	v_lshl_or_b32 v15, v5, 2, v1
	s_branch .LBB61_2
.LBB61_1:                               ;   in Loop: Header=BB61_2 Depth=1
	s_or_b32 exec_lo, exec_lo, s11
	s_waitcnt lgkmcnt(0)
	v_add_nc_u32_e32 v2, v18, v2
	ds_load_b32 v19, v9 offset:8220
	s_add_i32 s14, s14, 1
	s_delay_alu instid0(SALU_CYCLE_1) | instskip(SKIP_3) | instid1(VALU_DEP_1)
	s_cmp_eq_u32 s14, 10
	ds_bpermute_b32 v2, v14, v2
	s_waitcnt lgkmcnt(0)
	v_cndmask_b32_e64 v2, v2, v18, s1
	v_lshl_add_u32 v2, v19, 16, v2
	s_delay_alu instid0(VALU_DEP_1) | instskip(NEXT) | instid1(VALU_DEP_1)
	v_add_nc_u32_e32 v7, v2, v7
	v_add_nc_u32_e32 v8, v7, v8
	s_delay_alu instid0(VALU_DEP_1) | instskip(NEXT) | instid1(VALU_DEP_1)
	v_add_nc_u32_e32 v5, v8, v5
	v_add_nc_u32_e32 v6, v5, v6
	;; [unrolled: 3-line block ×3, first 2 shown]
	s_delay_alu instid0(VALU_DEP_1)
	v_add_nc_u32_e32 v1, v4, v1
	ds_store_2addr_b32 v10, v2, v7 offset1:1
	ds_store_2addr_b32 v10, v8, v5 offset0:2 offset1:3
	ds_store_2addr_b32 v10, v6, v3 offset0:4 offset1:5
	;; [unrolled: 1-line block ×3, first 2 shown]
	s_waitcnt lgkmcnt(0)
	s_barrier
	buffer_gl0_inv
	s_cbranch_scc1 .LBB61_18
.LBB61_2:                               ; =>This Loop Header: Depth=1
                                        ;     Child Loop BB61_3 Depth 2
                                        ;     Child Loop BB61_11 Depth 2
	v_dual_mov_b32 v1, v16 :: v_dual_mov_b32 v2, v11
	s_mov_b32 s15, 0
.LBB61_3:                               ;   Parent Loop BB61_2 Depth=1
                                        ; =>  This Inner Loop Header: Depth=2
	s_delay_alu instid0(VALU_DEP_1) | instskip(SKIP_3) | instid1(VALU_DEP_1)
	v_add_nc_u32_e32 v1, 0x100, v1
	ds_store_b32 v2, v9
	v_add_nc_u32_e32 v2, 0x400, v2
	v_cmp_lt_u32_e64 s11, 0x6ff, v1
	s_or_b32 s15, s11, s15
	s_delay_alu instid0(SALU_CYCLE_1)
	s_and_not1_b32 exec_lo, exec_lo, s15
	s_cbranch_execnz .LBB61_3
; %bb.4:                                ;   in Loop: Header=BB61_2 Depth=1
	s_or_b32 exec_lo, exec_lo, s15
	ds_load_u16 v1, v15
	s_waitcnt lgkmcnt(0)
	v_add_nc_u16 v1, v1, 1
	ds_store_b16 v15, v1
	s_waitcnt lgkmcnt(0)
	s_barrier
	buffer_gl0_inv
	ds_load_2addr_b32 v[7:8], v10 offset1:1
	ds_load_2addr_b32 v[5:6], v10 offset0:2 offset1:3
	ds_load_2addr_b32 v[3:4], v10 offset0:4 offset1:5
	;; [unrolled: 1-line block ×3, first 2 shown]
	s_waitcnt lgkmcnt(3)
	v_add_nc_u32_e32 v17, v8, v7
	s_waitcnt lgkmcnt(2)
	s_delay_alu instid0(VALU_DEP_1) | instskip(SKIP_1) | instid1(VALU_DEP_1)
	v_add3_u32 v17, v17, v5, v6
	s_waitcnt lgkmcnt(1)
	v_add3_u32 v17, v17, v3, v4
	s_waitcnt lgkmcnt(0)
	s_delay_alu instid0(VALU_DEP_1) | instskip(NEXT) | instid1(VALU_DEP_1)
	v_add3_u32 v2, v17, v1, v2
	v_mov_b32_dpp v17, v2 row_shr:1 row_mask:0xf bank_mask:0xf
	s_delay_alu instid0(VALU_DEP_1) | instskip(NEXT) | instid1(VALU_DEP_1)
	v_cndmask_b32_e64 v17, v17, 0, s2
	v_add_nc_u32_e32 v2, v17, v2
	s_delay_alu instid0(VALU_DEP_1) | instskip(NEXT) | instid1(VALU_DEP_1)
	v_mov_b32_dpp v17, v2 row_shr:2 row_mask:0xf bank_mask:0xf
	v_cndmask_b32_e64 v17, 0, v17, s3
	s_delay_alu instid0(VALU_DEP_1) | instskip(NEXT) | instid1(VALU_DEP_1)
	v_add_nc_u32_e32 v2, v2, v17
	v_mov_b32_dpp v17, v2 row_shr:4 row_mask:0xf bank_mask:0xf
	s_delay_alu instid0(VALU_DEP_1) | instskip(NEXT) | instid1(VALU_DEP_1)
	v_cndmask_b32_e64 v17, 0, v17, s4
	v_add_nc_u32_e32 v2, v2, v17
	s_delay_alu instid0(VALU_DEP_1) | instskip(NEXT) | instid1(VALU_DEP_1)
	v_mov_b32_dpp v17, v2 row_shr:8 row_mask:0xf bank_mask:0xf
	v_cndmask_b32_e64 v17, 0, v17, s5
	s_delay_alu instid0(VALU_DEP_1) | instskip(SKIP_3) | instid1(VALU_DEP_1)
	v_add_nc_u32_e32 v2, v2, v17
	ds_swizzle_b32 v17, v2 offset:swizzle(BROADCAST,32,15)
	s_waitcnt lgkmcnt(0)
	v_cndmask_b32_e64 v17, v17, 0, s6
	v_add_nc_u32_e32 v2, v2, v17
	s_and_saveexec_b32 s11, s7
	s_cbranch_execz .LBB61_6
; %bb.5:                                ;   in Loop: Header=BB61_2 Depth=1
	ds_store_b32 v12, v2 offset:8192
.LBB61_6:                               ;   in Loop: Header=BB61_2 Depth=1
	s_or_b32 exec_lo, exec_lo, s11
	s_waitcnt lgkmcnt(0)
	s_barrier
	buffer_gl0_inv
	s_and_saveexec_b32 s11, vcc_lo
	s_cbranch_execz .LBB61_8
; %bb.7:                                ;   in Loop: Header=BB61_2 Depth=1
	ds_load_b32 v17, v11 offset:8192
	s_waitcnt lgkmcnt(0)
	v_mov_b32_dpp v18, v17 row_shr:1 row_mask:0xf bank_mask:0xf
	s_delay_alu instid0(VALU_DEP_1) | instskip(NEXT) | instid1(VALU_DEP_1)
	v_cndmask_b32_e64 v18, v18, 0, s8
	v_add_nc_u32_e32 v17, v18, v17
	s_delay_alu instid0(VALU_DEP_1) | instskip(NEXT) | instid1(VALU_DEP_1)
	v_mov_b32_dpp v18, v17 row_shr:2 row_mask:0xf bank_mask:0xf
	v_cndmask_b32_e64 v18, 0, v18, s9
	s_delay_alu instid0(VALU_DEP_1) | instskip(NEXT) | instid1(VALU_DEP_1)
	v_add_nc_u32_e32 v17, v17, v18
	v_mov_b32_dpp v18, v17 row_shr:4 row_mask:0xf bank_mask:0xf
	s_delay_alu instid0(VALU_DEP_1) | instskip(NEXT) | instid1(VALU_DEP_1)
	v_cndmask_b32_e64 v18, 0, v18, s10
	v_add_nc_u32_e32 v17, v17, v18
	ds_store_b32 v11, v17 offset:8192
.LBB61_8:                               ;   in Loop: Header=BB61_2 Depth=1
	s_or_b32 exec_lo, exec_lo, s11
	v_mov_b32_e32 v17, 0
	s_waitcnt lgkmcnt(0)
	s_barrier
	buffer_gl0_inv
	s_and_saveexec_b32 s11, s0
	s_cbranch_execz .LBB61_10
; %bb.9:                                ;   in Loop: Header=BB61_2 Depth=1
	ds_load_b32 v17, v12 offset:8188
.LBB61_10:                              ;   in Loop: Header=BB61_2 Depth=1
	s_or_b32 exec_lo, exec_lo, s11
	s_waitcnt lgkmcnt(0)
	v_add_nc_u32_e32 v2, v17, v2
	ds_load_b32 v18, v9 offset:8220
	s_mov_b32 s15, 0
	ds_bpermute_b32 v2, v14, v2
	s_waitcnt lgkmcnt(0)
	v_cndmask_b32_e64 v2, v2, v17, s1
	s_delay_alu instid0(VALU_DEP_1) | instskip(NEXT) | instid1(VALU_DEP_1)
	v_lshl_add_u32 v17, v18, 16, v2
	v_dual_mov_b32 v2, v16 :: v_dual_add_nc_u32 v7, v17, v7
	s_delay_alu instid0(VALU_DEP_1) | instskip(NEXT) | instid1(VALU_DEP_1)
	v_add_nc_u32_e32 v8, v7, v8
	v_add_nc_u32_e32 v5, v8, v5
	s_delay_alu instid0(VALU_DEP_1) | instskip(NEXT) | instid1(VALU_DEP_1)
	v_add_nc_u32_e32 v6, v5, v6
	v_add_nc_u32_e32 v3, v6, v3
	s_delay_alu instid0(VALU_DEP_1) | instskip(NEXT) | instid1(VALU_DEP_1)
	v_add_nc_u32_e32 v4, v3, v4
	v_dual_mov_b32 v1, v11 :: v_dual_add_nc_u32 v18, v4, v1
	ds_store_2addr_b32 v10, v17, v7 offset1:1
	ds_store_2addr_b32 v10, v8, v5 offset0:2 offset1:3
	ds_store_2addr_b32 v10, v6, v3 offset0:4 offset1:5
	;; [unrolled: 1-line block ×3, first 2 shown]
	s_waitcnt lgkmcnt(0)
	s_barrier
	buffer_gl0_inv
.LBB61_11:                              ;   Parent Loop BB61_2 Depth=1
                                        ; =>  This Inner Loop Header: Depth=2
	v_add_nc_u32_e32 v2, 0x100, v2
	ds_store_b32 v1, v9
	v_add_nc_u32_e32 v1, 0x400, v1
	v_cmp_lt_u32_e64 s11, 0x6ff, v2
	s_delay_alu instid0(VALU_DEP_1) | instskip(NEXT) | instid1(SALU_CYCLE_1)
	s_or_b32 s15, s11, s15
	s_and_not1_b32 exec_lo, exec_lo, s15
	s_cbranch_execnz .LBB61_11
; %bb.12:                               ;   in Loop: Header=BB61_2 Depth=1
	s_or_b32 exec_lo, exec_lo, s15
	ds_load_u16 v17, v13
	s_waitcnt lgkmcnt(0)
	v_add_nc_u16 v1, v17, 1
	ds_store_b16 v13, v1
	s_waitcnt lgkmcnt(0)
	s_barrier
	buffer_gl0_inv
	ds_load_2addr_b32 v[7:8], v10 offset1:1
	ds_load_2addr_b32 v[5:6], v10 offset0:2 offset1:3
	ds_load_2addr_b32 v[3:4], v10 offset0:4 offset1:5
	;; [unrolled: 1-line block ×3, first 2 shown]
	s_waitcnt lgkmcnt(3)
	v_add_nc_u32_e32 v18, v8, v7
	s_waitcnt lgkmcnt(2)
	s_delay_alu instid0(VALU_DEP_1) | instskip(SKIP_1) | instid1(VALU_DEP_1)
	v_add3_u32 v18, v18, v5, v6
	s_waitcnt lgkmcnt(1)
	v_add3_u32 v18, v18, v3, v4
	s_waitcnt lgkmcnt(0)
	s_delay_alu instid0(VALU_DEP_1) | instskip(NEXT) | instid1(VALU_DEP_1)
	v_add3_u32 v2, v18, v1, v2
	v_mov_b32_dpp v18, v2 row_shr:1 row_mask:0xf bank_mask:0xf
	s_delay_alu instid0(VALU_DEP_1) | instskip(NEXT) | instid1(VALU_DEP_1)
	v_cndmask_b32_e64 v18, v18, 0, s2
	v_add_nc_u32_e32 v2, v18, v2
	s_delay_alu instid0(VALU_DEP_1) | instskip(NEXT) | instid1(VALU_DEP_1)
	v_mov_b32_dpp v18, v2 row_shr:2 row_mask:0xf bank_mask:0xf
	v_cndmask_b32_e64 v18, 0, v18, s3
	s_delay_alu instid0(VALU_DEP_1) | instskip(NEXT) | instid1(VALU_DEP_1)
	v_add_nc_u32_e32 v2, v2, v18
	v_mov_b32_dpp v18, v2 row_shr:4 row_mask:0xf bank_mask:0xf
	s_delay_alu instid0(VALU_DEP_1) | instskip(NEXT) | instid1(VALU_DEP_1)
	v_cndmask_b32_e64 v18, 0, v18, s4
	v_add_nc_u32_e32 v2, v2, v18
	s_delay_alu instid0(VALU_DEP_1) | instskip(NEXT) | instid1(VALU_DEP_1)
	v_mov_b32_dpp v18, v2 row_shr:8 row_mask:0xf bank_mask:0xf
	v_cndmask_b32_e64 v18, 0, v18, s5
	s_delay_alu instid0(VALU_DEP_1) | instskip(SKIP_3) | instid1(VALU_DEP_1)
	v_add_nc_u32_e32 v2, v2, v18
	ds_swizzle_b32 v18, v2 offset:swizzle(BROADCAST,32,15)
	s_waitcnt lgkmcnt(0)
	v_cndmask_b32_e64 v18, v18, 0, s6
	v_add_nc_u32_e32 v2, v2, v18
	s_and_saveexec_b32 s11, s7
	s_cbranch_execz .LBB61_14
; %bb.13:                               ;   in Loop: Header=BB61_2 Depth=1
	ds_store_b32 v12, v2 offset:8192
.LBB61_14:                              ;   in Loop: Header=BB61_2 Depth=1
	s_or_b32 exec_lo, exec_lo, s11
	s_waitcnt lgkmcnt(0)
	s_barrier
	buffer_gl0_inv
	s_and_saveexec_b32 s11, vcc_lo
	s_cbranch_execz .LBB61_16
; %bb.15:                               ;   in Loop: Header=BB61_2 Depth=1
	ds_load_b32 v18, v11 offset:8192
	s_waitcnt lgkmcnt(0)
	v_mov_b32_dpp v19, v18 row_shr:1 row_mask:0xf bank_mask:0xf
	s_delay_alu instid0(VALU_DEP_1) | instskip(NEXT) | instid1(VALU_DEP_1)
	v_cndmask_b32_e64 v19, v19, 0, s8
	v_add_nc_u32_e32 v18, v19, v18
	s_delay_alu instid0(VALU_DEP_1) | instskip(NEXT) | instid1(VALU_DEP_1)
	v_mov_b32_dpp v19, v18 row_shr:2 row_mask:0xf bank_mask:0xf
	v_cndmask_b32_e64 v19, 0, v19, s9
	s_delay_alu instid0(VALU_DEP_1) | instskip(NEXT) | instid1(VALU_DEP_1)
	v_add_nc_u32_e32 v18, v18, v19
	v_mov_b32_dpp v19, v18 row_shr:4 row_mask:0xf bank_mask:0xf
	s_delay_alu instid0(VALU_DEP_1) | instskip(NEXT) | instid1(VALU_DEP_1)
	v_cndmask_b32_e64 v19, 0, v19, s10
	v_add_nc_u32_e32 v18, v18, v19
	ds_store_b32 v11, v18 offset:8192
.LBB61_16:                              ;   in Loop: Header=BB61_2 Depth=1
	s_or_b32 exec_lo, exec_lo, s11
	v_mov_b32_e32 v18, 0
	s_waitcnt lgkmcnt(0)
	s_barrier
	buffer_gl0_inv
	s_and_saveexec_b32 s11, s0
	s_cbranch_execz .LBB61_1
; %bb.17:                               ;   in Loop: Header=BB61_2 Depth=1
	ds_load_b32 v18, v12 offset:8188
	s_branch .LBB61_1
.LBB61_18:
	ds_load_u16 v1, v13
	v_and_b32_e32 v2, 0xffff, v17
	s_lshl_b64 s[0:1], s[12:13], 2
	v_lshlrev_b32_e32 v0, 2, v0
	s_add_u32 s0, s18, s0
	s_addc_u32 s1, s19, s1
	s_waitcnt lgkmcnt(0)
	v_add_nc_u32_e32 v1, v1, v2
	global_store_b32 v0, v1, s[0:1]
	s_nop 0
	s_sendmsg sendmsg(MSG_DEALLOC_VGPRS)
	s_endpgm
	.section	.rodata,"a",@progbits
	.p2align	6, 0x0
	.amdhsa_kernel _Z11rank_kernelIhLj4ELb0EL18RadixRankAlgorithm1ELj256ELj1ELj10EEvPKT_Pi
		.amdhsa_group_segment_fixed_size 8224
		.amdhsa_private_segment_fixed_size 0
		.amdhsa_kernarg_size 16
		.amdhsa_user_sgpr_count 15
		.amdhsa_user_sgpr_dispatch_ptr 0
		.amdhsa_user_sgpr_queue_ptr 0
		.amdhsa_user_sgpr_kernarg_segment_ptr 1
		.amdhsa_user_sgpr_dispatch_id 0
		.amdhsa_user_sgpr_private_segment_size 0
		.amdhsa_wavefront_size32 1
		.amdhsa_uses_dynamic_stack 0
		.amdhsa_enable_private_segment 0
		.amdhsa_system_sgpr_workgroup_id_x 1
		.amdhsa_system_sgpr_workgroup_id_y 0
		.amdhsa_system_sgpr_workgroup_id_z 0
		.amdhsa_system_sgpr_workgroup_info 0
		.amdhsa_system_vgpr_workitem_id 0
		.amdhsa_next_free_vgpr 20
		.amdhsa_next_free_sgpr 20
		.amdhsa_reserve_vcc 1
		.amdhsa_float_round_mode_32 0
		.amdhsa_float_round_mode_16_64 0
		.amdhsa_float_denorm_mode_32 3
		.amdhsa_float_denorm_mode_16_64 3
		.amdhsa_dx10_clamp 1
		.amdhsa_ieee_mode 1
		.amdhsa_fp16_overflow 0
		.amdhsa_workgroup_processor_mode 1
		.amdhsa_memory_ordered 1
		.amdhsa_forward_progress 0
		.amdhsa_shared_vgpr_count 0
		.amdhsa_exception_fp_ieee_invalid_op 0
		.amdhsa_exception_fp_denorm_src 0
		.amdhsa_exception_fp_ieee_div_zero 0
		.amdhsa_exception_fp_ieee_overflow 0
		.amdhsa_exception_fp_ieee_underflow 0
		.amdhsa_exception_fp_ieee_inexact 0
		.amdhsa_exception_int_div_zero 0
	.end_amdhsa_kernel
	.section	.text._Z11rank_kernelIhLj4ELb0EL18RadixRankAlgorithm1ELj256ELj1ELj10EEvPKT_Pi,"axG",@progbits,_Z11rank_kernelIhLj4ELb0EL18RadixRankAlgorithm1ELj256ELj1ELj10EEvPKT_Pi,comdat
.Lfunc_end61:
	.size	_Z11rank_kernelIhLj4ELb0EL18RadixRankAlgorithm1ELj256ELj1ELj10EEvPKT_Pi, .Lfunc_end61-_Z11rank_kernelIhLj4ELb0EL18RadixRankAlgorithm1ELj256ELj1ELj10EEvPKT_Pi
                                        ; -- End function
	.section	.AMDGPU.csdata,"",@progbits
; Kernel info:
; codeLenInByte = 1672
; NumSgprs: 22
; NumVgprs: 20
; ScratchSize: 0
; MemoryBound: 0
; FloatMode: 240
; IeeeMode: 1
; LDSByteSize: 8224 bytes/workgroup (compile time only)
; SGPRBlocks: 2
; VGPRBlocks: 2
; NumSGPRsForWavesPerEU: 22
; NumVGPRsForWavesPerEU: 20
; Occupancy: 16
; WaveLimiterHint : 0
; COMPUTE_PGM_RSRC2:SCRATCH_EN: 0
; COMPUTE_PGM_RSRC2:USER_SGPR: 15
; COMPUTE_PGM_RSRC2:TRAP_HANDLER: 0
; COMPUTE_PGM_RSRC2:TGID_X_EN: 1
; COMPUTE_PGM_RSRC2:TGID_Y_EN: 0
; COMPUTE_PGM_RSRC2:TGID_Z_EN: 0
; COMPUTE_PGM_RSRC2:TIDIG_COMP_CNT: 0
	.section	.text._Z11rank_kernelIhLj4ELb0EL18RadixRankAlgorithm2ELj256ELj1ELj10EEvPKT_Pi,"axG",@progbits,_Z11rank_kernelIhLj4ELb0EL18RadixRankAlgorithm2ELj256ELj1ELj10EEvPKT_Pi,comdat
	.protected	_Z11rank_kernelIhLj4ELb0EL18RadixRankAlgorithm2ELj256ELj1ELj10EEvPKT_Pi ; -- Begin function _Z11rank_kernelIhLj4ELb0EL18RadixRankAlgorithm2ELj256ELj1ELj10EEvPKT_Pi
	.globl	_Z11rank_kernelIhLj4ELb0EL18RadixRankAlgorithm2ELj256ELj1ELj10EEvPKT_Pi
	.p2align	8
	.type	_Z11rank_kernelIhLj4ELb0EL18RadixRankAlgorithm2ELj256ELj1ELj10EEvPKT_Pi,@function
_Z11rank_kernelIhLj4ELb0EL18RadixRankAlgorithm2ELj256ELj1ELj10EEvPKT_Pi: ; @_Z11rank_kernelIhLj4ELb0EL18RadixRankAlgorithm2ELj256ELj1ELj10EEvPKT_Pi
; %bb.0:
	s_clause 0x1
	s_load_b128 s[16:19], s[0:1], 0x0
	s_load_b32 s8, s[0:1], 0x1c
	s_lshl_b32 s14, s15, 8
	v_dual_mov_b32 v2, 0 :: v_dual_and_b32 v1, 0x3ff, v0
	v_mbcnt_lo_u32_b32 v3, -1, 0
	v_bfe_u32 v4, v0, 10, 10
	v_bfe_u32 v5, v0, 20, 10
	s_delay_alu instid0(VALU_DEP_4)
	v_or_b32_e32 v11, 31, v1
	v_lshlrev_b32_e32 v0, 2, v1
	v_add_nc_u32_e32 v9, -1, v3
	v_and_b32_e32 v6, 15, v3
	v_and_b32_e32 v7, 16, v3
	;; [unrolled: 1-line block ×3, first 2 shown]
	v_cmp_eq_u32_e64 s10, v11, v1
	v_cmp_eq_u32_e32 vcc_lo, 0, v3
	v_cmp_lt_u32_e64 s2, 3, v6
	v_cmp_lt_u32_e64 s3, 7, v6
	v_cmp_eq_u32_e64 s4, 0, v7
	v_cmp_lt_u32_e64 s9, 3, v10
	s_waitcnt lgkmcnt(0)
	s_add_u32 s0, s16, s14
	s_addc_u32 s1, s17, 0
	s_lshr_b32 s7, s8, 16
	global_load_u8 v8, v1, s[0:1]
	v_mad_u32_u24 v4, v5, s7, v4
	v_cmp_gt_i32_e64 s7, 0, v9
	v_cmp_eq_u32_e64 s0, 0, v6
	v_cmp_lt_u32_e64 s1, 1, v6
	v_cmp_gt_u32_e64 s5, 8, v1
	v_cmp_lt_u32_e64 s6, 31, v1
	v_cndmask_b32_e64 v5, v9, v3, s7
	s_and_b32 s7, s8, 0xffff
	v_cmp_lt_u32_e64 s8, 1, v10
	v_mad_u64_u32 v[6:7], null, v4, s7, v[1:2]
	v_cmp_eq_u32_e64 s7, 0, v10
	v_lshrrev_b32_e32 v3, 3, v1
	v_lshlrev_b32_e32 v4, 2, v5
	s_mov_b32 s15, 0
	s_mov_b32 s13, 10
	s_delay_alu instid0(VALU_DEP_4) | instskip(SKIP_1) | instid1(VALU_DEP_1)
	v_lshrrev_b32_e32 v17, 5, v6
	v_and_b32_e32 v3, 28, v3
	v_add_nc_u32_e32 v5, -4, v3
	s_waitcnt vmcnt(0)
	v_lshrrev_b32_e32 v6, 4, v8
	v_and_b32_e32 v9, 1, v8
	v_and_b32_e32 v7, 15, v8
	v_lshlrev_b32_e32 v10, 30, v8
	v_lshlrev_b32_e32 v11, 29, v8
	v_mul_u32_u24_e32 v14, 9, v6
	v_lshlrev_b32_e32 v20, 30, v6
	v_lshlrev_b32_e32 v21, 29, v6
	;; [unrolled: 1-line block ×3, first 2 shown]
	v_add_co_u32 v6, s11, v9, -1
	v_mul_u32_u24_e32 v19, 9, v7
	v_cndmask_b32_e64 v7, 0, 1, s11
	v_cmp_gt_i32_e64 s11, 0, v10
	v_lshlrev_b32_e32 v12, 28, v8
	v_bfe_u32 v13, v8, 4, 1
	v_not_b32_e32 v15, v10
	v_not_b32_e32 v16, v11
	v_cndmask_b32_e64 v8, 0, 1, s11
	v_cmp_gt_i32_e64 s11, 0, v11
	v_not_b32_e32 v18, v12
	v_not_b32_e32 v22, v20
	v_not_b32_e32 v24, v21
	v_not_b32_e32 v25, v23
	v_cndmask_b32_e64 v9, 0, 1, s11
	v_cmp_gt_i32_e64 s11, 0, v12
	v_add_lshl_u32 v12, v17, v14, 2
	v_ashrrev_i32_e32 v14, 31, v15
	v_ashrrev_i32_e32 v15, 31, v16
	;; [unrolled: 1-line block ×3, first 2 shown]
	v_cndmask_b32_e64 v10, 0, 1, s11
	v_add_co_u32 v11, s11, v13, -1
	s_delay_alu instid0(VALU_DEP_1) | instskip(SKIP_4) | instid1(VALU_DEP_4)
	v_cndmask_b32_e64 v13, 0, 1, s11
	v_cmp_gt_i32_e64 s11, 0, v20
	v_add_lshl_u32 v17, v17, v19, 2
	v_ashrrev_i32_e32 v20, 31, v22
	v_ashrrev_i32_e32 v22, 31, v25
	v_cndmask_b32_e64 v18, 0, 1, s11
	v_cmp_gt_i32_e64 s11, 0, v21
	v_ashrrev_i32_e32 v21, 31, v24
	s_delay_alu instid0(VALU_DEP_2) | instskip(SKIP_1) | instid1(VALU_DEP_1)
	v_cndmask_b32_e64 v19, 0, 1, s11
	v_cmp_gt_i32_e64 s11, 0, v23
	v_cndmask_b32_e64 v23, 0, 1, s11
	s_branch .LBB62_2
.LBB62_1:                               ;   in Loop: Header=BB62_2 Depth=1
	s_or_b32 exec_lo, exec_lo, s11
	s_waitcnt lgkmcnt(0)
	v_add_nc_u32_e32 v25, v26, v25
	s_add_i32 s13, s13, -1
	s_delay_alu instid0(SALU_CYCLE_1)
	s_cmp_eq_u32 s13, 0
	ds_bpermute_b32 v25, v4, v25
	s_waitcnt lgkmcnt(0)
	v_cndmask_b32_e32 v25, v25, v26, vcc_lo
	ds_store_b32 v0, v25 offset:32
	s_waitcnt lgkmcnt(0)
	s_barrier
	buffer_gl0_inv
	s_cbranch_scc1 .LBB62_18
.LBB62_2:                               ; =>This Inner Loop Header: Depth=1
	v_cmp_ne_u32_e64 s11, 0, v7
	v_cmp_ne_u32_e64 s12, 0, v8
	ds_store_b32 v0, v2 offset:32
	s_waitcnt lgkmcnt(0)
	s_barrier
	v_xor_b32_e32 v24, s11, v6
	v_cmp_ne_u32_e64 s11, 0, v9
	v_xor_b32_e32 v25, s12, v14
	v_cmp_ne_u32_e64 s12, 0, v10
	buffer_gl0_inv
	v_and_b32_e32 v24, exec_lo, v24
	v_xor_b32_e32 v26, s11, v15
	; wave barrier
	s_delay_alu instid0(VALU_DEP_2) | instskip(SKIP_1) | instid1(VALU_DEP_2)
	v_and_b32_e32 v24, v24, v25
	v_xor_b32_e32 v25, s12, v16
	v_and_b32_e32 v24, v24, v26
	s_delay_alu instid0(VALU_DEP_1) | instskip(NEXT) | instid1(VALU_DEP_1)
	v_and_b32_e32 v24, v24, v25
	v_mbcnt_lo_u32_b32 v25, v24, 0
	v_cmp_ne_u32_e64 s12, 0, v24
	s_delay_alu instid0(VALU_DEP_2) | instskip(NEXT) | instid1(VALU_DEP_1)
	v_cmp_eq_u32_e64 s11, 0, v25
	s_and_b32 s12, s12, s11
	s_delay_alu instid0(SALU_CYCLE_1)
	s_and_saveexec_b32 s11, s12
	s_cbranch_execz .LBB62_4
; %bb.3:                                ;   in Loop: Header=BB62_2 Depth=1
	v_bcnt_u32_b32 v24, v24, 0
	ds_store_b32 v17, v24 offset:32
.LBB62_4:                               ;   in Loop: Header=BB62_2 Depth=1
	s_or_b32 exec_lo, exec_lo, s11
	; wave barrier
	s_waitcnt lgkmcnt(0)
	s_barrier
	buffer_gl0_inv
	ds_load_b32 v24, v0 offset:32
	s_waitcnt lgkmcnt(0)
	v_mov_b32_dpp v25, v24 row_shr:1 row_mask:0xf bank_mask:0xf
	s_delay_alu instid0(VALU_DEP_1) | instskip(NEXT) | instid1(VALU_DEP_1)
	v_cndmask_b32_e64 v25, v25, 0, s0
	v_add_nc_u32_e32 v24, v25, v24
	s_delay_alu instid0(VALU_DEP_1) | instskip(NEXT) | instid1(VALU_DEP_1)
	v_mov_b32_dpp v25, v24 row_shr:2 row_mask:0xf bank_mask:0xf
	v_cndmask_b32_e64 v25, 0, v25, s1
	s_delay_alu instid0(VALU_DEP_1) | instskip(NEXT) | instid1(VALU_DEP_1)
	v_add_nc_u32_e32 v24, v24, v25
	v_mov_b32_dpp v25, v24 row_shr:4 row_mask:0xf bank_mask:0xf
	s_delay_alu instid0(VALU_DEP_1) | instskip(NEXT) | instid1(VALU_DEP_1)
	v_cndmask_b32_e64 v25, 0, v25, s2
	v_add_nc_u32_e32 v24, v24, v25
	s_delay_alu instid0(VALU_DEP_1) | instskip(NEXT) | instid1(VALU_DEP_1)
	v_mov_b32_dpp v25, v24 row_shr:8 row_mask:0xf bank_mask:0xf
	v_cndmask_b32_e64 v25, 0, v25, s3
	s_delay_alu instid0(VALU_DEP_1) | instskip(SKIP_3) | instid1(VALU_DEP_1)
	v_add_nc_u32_e32 v24, v24, v25
	ds_swizzle_b32 v25, v24 offset:swizzle(BROADCAST,32,15)
	s_waitcnt lgkmcnt(0)
	v_cndmask_b32_e64 v25, v25, 0, s4
	v_add_nc_u32_e32 v24, v24, v25
	s_and_saveexec_b32 s11, s10
	s_cbranch_execz .LBB62_6
; %bb.5:                                ;   in Loop: Header=BB62_2 Depth=1
	ds_store_b32 v3, v24
.LBB62_6:                               ;   in Loop: Header=BB62_2 Depth=1
	s_or_b32 exec_lo, exec_lo, s11
	s_waitcnt lgkmcnt(0)
	s_barrier
	buffer_gl0_inv
	s_and_saveexec_b32 s11, s5
	s_cbranch_execz .LBB62_8
; %bb.7:                                ;   in Loop: Header=BB62_2 Depth=1
	ds_load_b32 v25, v0
	s_waitcnt lgkmcnt(0)
	v_mov_b32_dpp v26, v25 row_shr:1 row_mask:0xf bank_mask:0xf
	s_delay_alu instid0(VALU_DEP_1) | instskip(NEXT) | instid1(VALU_DEP_1)
	v_cndmask_b32_e64 v26, v26, 0, s7
	v_add_nc_u32_e32 v25, v26, v25
	s_delay_alu instid0(VALU_DEP_1) | instskip(NEXT) | instid1(VALU_DEP_1)
	v_mov_b32_dpp v26, v25 row_shr:2 row_mask:0xf bank_mask:0xf
	v_cndmask_b32_e64 v26, 0, v26, s8
	s_delay_alu instid0(VALU_DEP_1) | instskip(NEXT) | instid1(VALU_DEP_1)
	v_add_nc_u32_e32 v25, v25, v26
	v_mov_b32_dpp v26, v25 row_shr:4 row_mask:0xf bank_mask:0xf
	s_delay_alu instid0(VALU_DEP_1) | instskip(NEXT) | instid1(VALU_DEP_1)
	v_cndmask_b32_e64 v26, 0, v26, s9
	v_add_nc_u32_e32 v25, v25, v26
	ds_store_b32 v0, v25
.LBB62_8:                               ;   in Loop: Header=BB62_2 Depth=1
	s_or_b32 exec_lo, exec_lo, s11
	v_mov_b32_e32 v25, 0
	s_waitcnt lgkmcnt(0)
	s_barrier
	buffer_gl0_inv
	s_and_saveexec_b32 s11, s6
	s_cbranch_execz .LBB62_10
; %bb.9:                                ;   in Loop: Header=BB62_2 Depth=1
	ds_load_b32 v25, v5
.LBB62_10:                              ;   in Loop: Header=BB62_2 Depth=1
	s_or_b32 exec_lo, exec_lo, s11
	s_waitcnt lgkmcnt(0)
	v_add_nc_u32_e32 v24, v25, v24
	v_cmp_ne_u32_e64 s11, 0, v13
	v_cmp_ne_u32_e64 s12, 0, v18
	ds_bpermute_b32 v24, v4, v24
	v_xor_b32_e32 v26, s11, v11
	v_cmp_ne_u32_e64 s11, 0, v19
	v_xor_b32_e32 v27, s12, v20
	v_cmp_ne_u32_e64 s12, 0, v23
	s_delay_alu instid0(VALU_DEP_4) | instskip(NEXT) | instid1(VALU_DEP_4)
	v_and_b32_e32 v26, exec_lo, v26
	v_xor_b32_e32 v28, s11, v21
	s_delay_alu instid0(VALU_DEP_2) | instskip(NEXT) | instid1(VALU_DEP_4)
	v_and_b32_e32 v26, v26, v27
	v_xor_b32_e32 v27, s12, v22
	s_delay_alu instid0(VALU_DEP_2) | instskip(SKIP_1) | instid1(VALU_DEP_1)
	v_and_b32_e32 v26, v26, v28
	s_waitcnt lgkmcnt(0)
	v_dual_cndmask_b32 v24, v24, v25 :: v_dual_and_b32 v25, v26, v27
	ds_store_b32 v0, v24 offset:32
	v_mbcnt_lo_u32_b32 v24, v25, 0
	v_cmp_ne_u32_e64 s12, 0, v25
	s_waitcnt lgkmcnt(0)
	s_barrier
	buffer_gl0_inv
	v_cmp_eq_u32_e64 s11, 0, v24
	ds_store_b32 v0, v2 offset:32
	s_waitcnt lgkmcnt(0)
	s_barrier
	buffer_gl0_inv
	s_and_b32 s12, s12, s11
	; wave barrier
	s_delay_alu instid0(SALU_CYCLE_1)
	s_and_saveexec_b32 s11, s12
	s_cbranch_execz .LBB62_12
; %bb.11:                               ;   in Loop: Header=BB62_2 Depth=1
	v_bcnt_u32_b32 v25, v25, 0
	ds_store_b32 v12, v25 offset:32
.LBB62_12:                              ;   in Loop: Header=BB62_2 Depth=1
	s_or_b32 exec_lo, exec_lo, s11
	; wave barrier
	s_waitcnt lgkmcnt(0)
	s_barrier
	buffer_gl0_inv
	ds_load_b32 v25, v0 offset:32
	s_waitcnt lgkmcnt(0)
	v_mov_b32_dpp v26, v25 row_shr:1 row_mask:0xf bank_mask:0xf
	s_delay_alu instid0(VALU_DEP_1) | instskip(NEXT) | instid1(VALU_DEP_1)
	v_cndmask_b32_e64 v26, v26, 0, s0
	v_add_nc_u32_e32 v25, v26, v25
	s_delay_alu instid0(VALU_DEP_1) | instskip(NEXT) | instid1(VALU_DEP_1)
	v_mov_b32_dpp v26, v25 row_shr:2 row_mask:0xf bank_mask:0xf
	v_cndmask_b32_e64 v26, 0, v26, s1
	s_delay_alu instid0(VALU_DEP_1) | instskip(NEXT) | instid1(VALU_DEP_1)
	v_add_nc_u32_e32 v25, v25, v26
	v_mov_b32_dpp v26, v25 row_shr:4 row_mask:0xf bank_mask:0xf
	s_delay_alu instid0(VALU_DEP_1) | instskip(NEXT) | instid1(VALU_DEP_1)
	v_cndmask_b32_e64 v26, 0, v26, s2
	v_add_nc_u32_e32 v25, v25, v26
	s_delay_alu instid0(VALU_DEP_1) | instskip(NEXT) | instid1(VALU_DEP_1)
	v_mov_b32_dpp v26, v25 row_shr:8 row_mask:0xf bank_mask:0xf
	v_cndmask_b32_e64 v26, 0, v26, s3
	s_delay_alu instid0(VALU_DEP_1) | instskip(SKIP_3) | instid1(VALU_DEP_1)
	v_add_nc_u32_e32 v25, v25, v26
	ds_swizzle_b32 v26, v25 offset:swizzle(BROADCAST,32,15)
	s_waitcnt lgkmcnt(0)
	v_cndmask_b32_e64 v26, v26, 0, s4
	v_add_nc_u32_e32 v25, v25, v26
	s_and_saveexec_b32 s11, s10
	s_cbranch_execz .LBB62_14
; %bb.13:                               ;   in Loop: Header=BB62_2 Depth=1
	ds_store_b32 v3, v25
.LBB62_14:                              ;   in Loop: Header=BB62_2 Depth=1
	s_or_b32 exec_lo, exec_lo, s11
	s_waitcnt lgkmcnt(0)
	s_barrier
	buffer_gl0_inv
	s_and_saveexec_b32 s11, s5
	s_cbranch_execz .LBB62_16
; %bb.15:                               ;   in Loop: Header=BB62_2 Depth=1
	ds_load_b32 v26, v0
	s_waitcnt lgkmcnt(0)
	v_mov_b32_dpp v27, v26 row_shr:1 row_mask:0xf bank_mask:0xf
	s_delay_alu instid0(VALU_DEP_1) | instskip(NEXT) | instid1(VALU_DEP_1)
	v_cndmask_b32_e64 v27, v27, 0, s7
	v_add_nc_u32_e32 v26, v27, v26
	s_delay_alu instid0(VALU_DEP_1) | instskip(NEXT) | instid1(VALU_DEP_1)
	v_mov_b32_dpp v27, v26 row_shr:2 row_mask:0xf bank_mask:0xf
	v_cndmask_b32_e64 v27, 0, v27, s8
	s_delay_alu instid0(VALU_DEP_1) | instskip(NEXT) | instid1(VALU_DEP_1)
	v_add_nc_u32_e32 v26, v26, v27
	v_mov_b32_dpp v27, v26 row_shr:4 row_mask:0xf bank_mask:0xf
	s_delay_alu instid0(VALU_DEP_1) | instskip(NEXT) | instid1(VALU_DEP_1)
	v_cndmask_b32_e64 v27, 0, v27, s9
	v_add_nc_u32_e32 v26, v26, v27
	ds_store_b32 v0, v26
.LBB62_16:                              ;   in Loop: Header=BB62_2 Depth=1
	s_or_b32 exec_lo, exec_lo, s11
	v_mov_b32_e32 v26, 0
	s_waitcnt lgkmcnt(0)
	s_barrier
	buffer_gl0_inv
	s_and_saveexec_b32 s11, s6
	s_cbranch_execz .LBB62_1
; %bb.17:                               ;   in Loop: Header=BB62_2 Depth=1
	ds_load_b32 v26, v5
	s_branch .LBB62_1
.LBB62_18:
	ds_load_b32 v0, v12 offset:32
	s_lshl_b64 s[0:1], s[14:15], 2
	v_lshlrev_b32_e32 v1, 2, v1
	s_add_u32 s0, s18, s0
	s_addc_u32 s1, s19, s1
	s_waitcnt lgkmcnt(0)
	v_add_nc_u32_e32 v0, v0, v24
	global_store_b32 v1, v0, s[0:1]
	s_nop 0
	s_sendmsg sendmsg(MSG_DEALLOC_VGPRS)
	s_endpgm
	.section	.rodata,"a",@progbits
	.p2align	6, 0x0
	.amdhsa_kernel _Z11rank_kernelIhLj4ELb0EL18RadixRankAlgorithm2ELj256ELj1ELj10EEvPKT_Pi
		.amdhsa_group_segment_fixed_size 1056
		.amdhsa_private_segment_fixed_size 0
		.amdhsa_kernarg_size 272
		.amdhsa_user_sgpr_count 15
		.amdhsa_user_sgpr_dispatch_ptr 0
		.amdhsa_user_sgpr_queue_ptr 0
		.amdhsa_user_sgpr_kernarg_segment_ptr 1
		.amdhsa_user_sgpr_dispatch_id 0
		.amdhsa_user_sgpr_private_segment_size 0
		.amdhsa_wavefront_size32 1
		.amdhsa_uses_dynamic_stack 0
		.amdhsa_enable_private_segment 0
		.amdhsa_system_sgpr_workgroup_id_x 1
		.amdhsa_system_sgpr_workgroup_id_y 0
		.amdhsa_system_sgpr_workgroup_id_z 0
		.amdhsa_system_sgpr_workgroup_info 0
		.amdhsa_system_vgpr_workitem_id 2
		.amdhsa_next_free_vgpr 29
		.amdhsa_next_free_sgpr 20
		.amdhsa_reserve_vcc 1
		.amdhsa_float_round_mode_32 0
		.amdhsa_float_round_mode_16_64 0
		.amdhsa_float_denorm_mode_32 3
		.amdhsa_float_denorm_mode_16_64 3
		.amdhsa_dx10_clamp 1
		.amdhsa_ieee_mode 1
		.amdhsa_fp16_overflow 0
		.amdhsa_workgroup_processor_mode 1
		.amdhsa_memory_ordered 1
		.amdhsa_forward_progress 0
		.amdhsa_shared_vgpr_count 0
		.amdhsa_exception_fp_ieee_invalid_op 0
		.amdhsa_exception_fp_denorm_src 0
		.amdhsa_exception_fp_ieee_div_zero 0
		.amdhsa_exception_fp_ieee_overflow 0
		.amdhsa_exception_fp_ieee_underflow 0
		.amdhsa_exception_fp_ieee_inexact 0
		.amdhsa_exception_int_div_zero 0
	.end_amdhsa_kernel
	.section	.text._Z11rank_kernelIhLj4ELb0EL18RadixRankAlgorithm2ELj256ELj1ELj10EEvPKT_Pi,"axG",@progbits,_Z11rank_kernelIhLj4ELb0EL18RadixRankAlgorithm2ELj256ELj1ELj10EEvPKT_Pi,comdat
.Lfunc_end62:
	.size	_Z11rank_kernelIhLj4ELb0EL18RadixRankAlgorithm2ELj256ELj1ELj10EEvPKT_Pi, .Lfunc_end62-_Z11rank_kernelIhLj4ELb0EL18RadixRankAlgorithm2ELj256ELj1ELj10EEvPKT_Pi
                                        ; -- End function
	.section	.AMDGPU.csdata,"",@progbits
; Kernel info:
; codeLenInByte = 1704
; NumSgprs: 22
; NumVgprs: 29
; ScratchSize: 0
; MemoryBound: 0
; FloatMode: 240
; IeeeMode: 1
; LDSByteSize: 1056 bytes/workgroup (compile time only)
; SGPRBlocks: 2
; VGPRBlocks: 3
; NumSGPRsForWavesPerEU: 22
; NumVGPRsForWavesPerEU: 29
; Occupancy: 16
; WaveLimiterHint : 0
; COMPUTE_PGM_RSRC2:SCRATCH_EN: 0
; COMPUTE_PGM_RSRC2:USER_SGPR: 15
; COMPUTE_PGM_RSRC2:TRAP_HANDLER: 0
; COMPUTE_PGM_RSRC2:TGID_X_EN: 1
; COMPUTE_PGM_RSRC2:TGID_Y_EN: 0
; COMPUTE_PGM_RSRC2:TGID_Z_EN: 0
; COMPUTE_PGM_RSRC2:TIDIG_COMP_CNT: 2
	.section	.text._Z11rank_kernelIhLj4ELb0EL18RadixRankAlgorithm0ELj256ELj4ELj10EEvPKT_Pi,"axG",@progbits,_Z11rank_kernelIhLj4ELb0EL18RadixRankAlgorithm0ELj256ELj4ELj10EEvPKT_Pi,comdat
	.protected	_Z11rank_kernelIhLj4ELb0EL18RadixRankAlgorithm0ELj256ELj4ELj10EEvPKT_Pi ; -- Begin function _Z11rank_kernelIhLj4ELb0EL18RadixRankAlgorithm0ELj256ELj4ELj10EEvPKT_Pi
	.globl	_Z11rank_kernelIhLj4ELb0EL18RadixRankAlgorithm0ELj256ELj4ELj10EEvPKT_Pi
	.p2align	8
	.type	_Z11rank_kernelIhLj4ELb0EL18RadixRankAlgorithm0ELj256ELj4ELj10EEvPKT_Pi,@function
_Z11rank_kernelIhLj4ELb0EL18RadixRankAlgorithm0ELj256ELj4ELj10EEvPKT_Pi: ; @_Z11rank_kernelIhLj4ELb0EL18RadixRankAlgorithm0ELj256ELj4ELj10EEvPKT_Pi
; %bb.0:
	s_load_b128 s[16:19], s[0:1], 0x0
	s_lshl_b32 s12, s15, 10
	v_dual_mov_b32 v2, 0 :: v_dual_lshlrev_b32 v1, 2, v0
	v_mbcnt_lo_u32_b32 v4, -1, 0
	v_lshrrev_b32_e32 v10, 3, v0
	v_or_b32_e32 v8, 31, v0
	v_lshlrev_b32_e32 v3, 5, v0
	v_cmp_gt_u32_e32 vcc_lo, 8, v0
	v_add_nc_u32_e32 v9, -1, v4
	v_and_b32_e32 v5, 15, v4
	v_and_b32_e32 v6, 16, v4
	;; [unrolled: 1-line block ×3, first 2 shown]
	v_cmp_eq_u32_e64 s7, v8, v0
	v_cmp_gt_i32_e64 s8, 0, v9
	v_cmp_eq_u32_e64 s2, 0, v5
	v_cmp_lt_u32_e64 s3, 1, v5
	v_cmp_lt_u32_e64 s4, 3, v5
	;; [unrolled: 1-line block ×3, first 2 shown]
	v_cndmask_b32_e64 v5, v9, v4, s8
	s_waitcnt lgkmcnt(0)
	s_add_u32 s0, s16, s12
	s_addc_u32 s1, s17, 0
	v_cmp_eq_u32_e64 s6, 0, v6
	global_load_b32 v7, v1, s[0:1]
	v_cmp_eq_u32_e64 s1, 0, v4
	v_and_b32_e32 v4, 28, v10
	v_cmp_eq_u32_e64 s8, 0, v11
	v_cmp_lt_u32_e64 s9, 1, v11
	v_cmp_lt_u32_e64 s10, 3, v11
	;; [unrolled: 1-line block ×3, first 2 shown]
	v_lshlrev_b32_e32 v5, 2, v5
	s_mov_b32 s13, 0
	s_delay_alu instid0(SALU_CYCLE_1)
	s_mov_b32 s14, s13
	s_waitcnt vmcnt(0)
	v_lshlrev_b32_e32 v9, 4, v7
	v_lshrrev_b32_e32 v10, 6, v7
	v_lshrrev_b32_e32 v21, 20, v7
	;; [unrolled: 1-line block ×4, first 2 shown]
	v_lshlrev_b32_e32 v11, 8, v7
	v_lshrrev_b32_e32 v12, 2, v7
	v_lshrrev_b32_e32 v14, 10, v7
	;; [unrolled: 1-line block ×8, first 2 shown]
	v_and_or_b32 v9, 0x700, v9, v0
	v_and_b32_e32 v10, 2, v10
	v_and_or_b32 v21, 0x700, v21, v0
	v_and_or_b32 v13, 0x700, v7, v0
	;; [unrolled: 1-line block ×3, first 2 shown]
	v_and_b32_e32 v12, 2, v12
	v_and_b32_e32 v14, 2, v14
	v_and_or_b32 v8, 0x700, v8, v0
	v_and_b32_e32 v15, 2, v15
	v_and_or_b32 v22, 0x700, v6, v0
	;; [unrolled: 2-line block ×4, first 2 shown]
	v_and_b32_e32 v20, 2, v20
	v_lshl_or_b32 v6, v9, 2, v10
	v_alignbit_b32 v9, v21, v7, 30
	v_lshl_or_b32 v10, v11, 2, v12
	v_lshl_or_b32 v11, v13, 2, v14
	;; [unrolled: 1-line block ×6, first 2 shown]
	v_and_b32_e32 v9, 0x1ffe, v9
	v_or_b32_e32 v0, 0xffffff00, v0
	s_branch .LBB63_2
.LBB63_1:                               ;   in Loop: Header=BB63_2 Depth=1
	s_or_b32 exec_lo, exec_lo, s11
	s_waitcnt lgkmcnt(0)
	v_add_nc_u32_e32 v18, v19, v18
	ds_load_b32 v22, v2 offset:8220
	ds_load_2addr_b32 v[20:21], v3 offset1:1
	s_add_i32 s14, s14, 1
	s_delay_alu instid0(SALU_CYCLE_1)
	s_cmp_eq_u32 s14, 10
	ds_bpermute_b32 v18, v5, v18
	s_waitcnt lgkmcnt(0)
	v_cndmask_b32_e64 v23, v18, v19, s1
	ds_load_2addr_b32 v[18:19], v3 offset0:2 offset1:3
	v_lshl_add_u32 v24, v22, 16, v23
	ds_load_2addr_b32 v[22:23], v3 offset0:4 offset1:5
	ds_load_b32 v25, v3 offset:24
	v_add_nc_u32_e32 v20, v24, v20
	s_delay_alu instid0(VALU_DEP_1) | instskip(SKIP_1) | instid1(VALU_DEP_1)
	v_add_nc_u32_e32 v21, v21, v20
	s_waitcnt lgkmcnt(2)
	v_add_nc_u32_e32 v18, v18, v21
	s_delay_alu instid0(VALU_DEP_1) | instskip(SKIP_1) | instid1(VALU_DEP_1)
	v_add_nc_u32_e32 v19, v19, v18
	s_waitcnt lgkmcnt(1)
	;; [unrolled: 4-line block ×3, first 2 shown]
	v_add_nc_u32_e32 v25, v25, v23
	ds_store_2addr_b32 v3, v24, v20 offset1:1
	ds_store_2addr_b32 v3, v21, v18 offset0:2 offset1:3
	ds_store_2addr_b32 v3, v19, v22 offset0:4 offset1:5
	ds_store_2addr_b32 v3, v23, v25 offset0:6 offset1:7
	s_waitcnt lgkmcnt(0)
	s_barrier
	buffer_gl0_inv
	s_cbranch_scc1 .LBB63_18
.LBB63_2:                               ; =>This Loop Header: Depth=1
                                        ;     Child Loop BB63_3 Depth 2
                                        ;     Child Loop BB63_11 Depth 2
	s_delay_alu instid0(VALU_DEP_1)
	v_dual_mov_b32 v14, v0 :: v_dual_mov_b32 v15, v1
	s_mov_b32 s15, 0
.LBB63_3:                               ;   Parent Loop BB63_2 Depth=1
                                        ; =>  This Inner Loop Header: Depth=2
	s_delay_alu instid0(VALU_DEP_1) | instskip(SKIP_3) | instid1(VALU_DEP_1)
	v_add_nc_u32_e32 v14, 0x100, v14
	ds_store_b32 v15, v2
	v_add_nc_u32_e32 v15, 0x400, v15
	v_cmp_lt_u32_e64 s11, 0x6ff, v14
	s_or_b32 s15, s11, s15
	s_delay_alu instid0(SALU_CYCLE_1)
	s_and_not1_b32 exec_lo, exec_lo, s15
	s_cbranch_execnz .LBB63_3
; %bb.4:                                ;   in Loop: Header=BB63_2 Depth=1
	s_or_b32 exec_lo, exec_lo, s15
	ds_load_u16 v14, v10
	s_waitcnt lgkmcnt(0)
	v_add_nc_u16 v14, v14, 1
	ds_store_b16 v10, v14
	ds_load_u16 v14, v11
	s_waitcnt lgkmcnt(0)
	v_add_nc_u16 v14, v14, 1
	ds_store_b16 v11, v14
	;; [unrolled: 4-line block ×4, first 2 shown]
	s_waitcnt lgkmcnt(0)
	s_barrier
	buffer_gl0_inv
	ds_load_2addr_b32 v[14:15], v3 offset1:1
	ds_load_2addr_b32 v[16:17], v3 offset0:2 offset1:3
	ds_load_2addr_b32 v[18:19], v3 offset0:4 offset1:5
	;; [unrolled: 1-line block ×3, first 2 shown]
	s_waitcnt lgkmcnt(3)
	v_add_nc_u32_e32 v14, v15, v14
	s_waitcnt lgkmcnt(2)
	s_delay_alu instid0(VALU_DEP_1) | instskip(SKIP_1) | instid1(VALU_DEP_1)
	v_add3_u32 v14, v14, v16, v17
	s_waitcnt lgkmcnt(1)
	v_add3_u32 v14, v14, v18, v19
	s_waitcnt lgkmcnt(0)
	s_delay_alu instid0(VALU_DEP_1) | instskip(NEXT) | instid1(VALU_DEP_1)
	v_add3_u32 v14, v14, v20, v21
	v_mov_b32_dpp v15, v14 row_shr:1 row_mask:0xf bank_mask:0xf
	s_delay_alu instid0(VALU_DEP_1) | instskip(NEXT) | instid1(VALU_DEP_1)
	v_cndmask_b32_e64 v15, v15, 0, s2
	v_add_nc_u32_e32 v14, v15, v14
	s_delay_alu instid0(VALU_DEP_1) | instskip(NEXT) | instid1(VALU_DEP_1)
	v_mov_b32_dpp v15, v14 row_shr:2 row_mask:0xf bank_mask:0xf
	v_cndmask_b32_e64 v15, 0, v15, s3
	s_delay_alu instid0(VALU_DEP_1) | instskip(NEXT) | instid1(VALU_DEP_1)
	v_add_nc_u32_e32 v14, v14, v15
	v_mov_b32_dpp v15, v14 row_shr:4 row_mask:0xf bank_mask:0xf
	s_delay_alu instid0(VALU_DEP_1) | instskip(NEXT) | instid1(VALU_DEP_1)
	v_cndmask_b32_e64 v15, 0, v15, s4
	v_add_nc_u32_e32 v14, v14, v15
	s_delay_alu instid0(VALU_DEP_1) | instskip(NEXT) | instid1(VALU_DEP_1)
	v_mov_b32_dpp v15, v14 row_shr:8 row_mask:0xf bank_mask:0xf
	v_cndmask_b32_e64 v15, 0, v15, s5
	s_delay_alu instid0(VALU_DEP_1) | instskip(SKIP_3) | instid1(VALU_DEP_1)
	v_add_nc_u32_e32 v14, v14, v15
	ds_swizzle_b32 v15, v14 offset:swizzle(BROADCAST,32,15)
	s_waitcnt lgkmcnt(0)
	v_cndmask_b32_e64 v15, v15, 0, s6
	v_add_nc_u32_e32 v14, v14, v15
	s_and_saveexec_b32 s11, s7
	s_cbranch_execz .LBB63_6
; %bb.5:                                ;   in Loop: Header=BB63_2 Depth=1
	ds_store_b32 v4, v14 offset:8192
.LBB63_6:                               ;   in Loop: Header=BB63_2 Depth=1
	s_or_b32 exec_lo, exec_lo, s11
	s_waitcnt lgkmcnt(0)
	s_barrier
	buffer_gl0_inv
	s_and_saveexec_b32 s11, vcc_lo
	s_cbranch_execz .LBB63_8
; %bb.7:                                ;   in Loop: Header=BB63_2 Depth=1
	ds_load_b32 v15, v1 offset:8192
	s_waitcnt lgkmcnt(0)
	v_mov_b32_dpp v16, v15 row_shr:1 row_mask:0xf bank_mask:0xf
	s_delay_alu instid0(VALU_DEP_1) | instskip(NEXT) | instid1(VALU_DEP_1)
	v_cndmask_b32_e64 v16, v16, 0, s8
	v_add_nc_u32_e32 v15, v16, v15
	s_delay_alu instid0(VALU_DEP_1) | instskip(NEXT) | instid1(VALU_DEP_1)
	v_mov_b32_dpp v16, v15 row_shr:2 row_mask:0xf bank_mask:0xf
	v_cndmask_b32_e64 v16, 0, v16, s9
	s_delay_alu instid0(VALU_DEP_1) | instskip(NEXT) | instid1(VALU_DEP_1)
	v_add_nc_u32_e32 v15, v15, v16
	v_mov_b32_dpp v16, v15 row_shr:4 row_mask:0xf bank_mask:0xf
	s_delay_alu instid0(VALU_DEP_1) | instskip(NEXT) | instid1(VALU_DEP_1)
	v_cndmask_b32_e64 v16, 0, v16, s10
	v_add_nc_u32_e32 v15, v15, v16
	ds_store_b32 v1, v15 offset:8192
.LBB63_8:                               ;   in Loop: Header=BB63_2 Depth=1
	s_or_b32 exec_lo, exec_lo, s11
	v_mov_b32_e32 v15, 0
	s_waitcnt lgkmcnt(0)
	s_barrier
	buffer_gl0_inv
	s_and_saveexec_b32 s11, s0
	s_cbranch_execz .LBB63_10
; %bb.9:                                ;   in Loop: Header=BB63_2 Depth=1
	ds_load_b32 v15, v4 offset:8188
.LBB63_10:                              ;   in Loop: Header=BB63_2 Depth=1
	s_or_b32 exec_lo, exec_lo, s11
	s_waitcnt lgkmcnt(0)
	v_add_nc_u32_e32 v14, v15, v14
	ds_load_b32 v18, v2 offset:8220
	ds_load_2addr_b32 v[16:17], v3 offset1:1
	s_mov_b32 s15, 0
	ds_bpermute_b32 v14, v5, v14
	s_waitcnt lgkmcnt(0)
	v_cndmask_b32_e64 v19, v14, v15, s1
	ds_load_2addr_b32 v[14:15], v3 offset0:2 offset1:3
	v_lshl_add_u32 v20, v18, 16, v19
	ds_load_2addr_b32 v[18:19], v3 offset0:4 offset1:5
	ds_load_b32 v21, v3 offset:24
	v_add_nc_u32_e32 v16, v20, v16
	s_delay_alu instid0(VALU_DEP_1) | instskip(SKIP_1) | instid1(VALU_DEP_1)
	v_add_nc_u32_e32 v17, v17, v16
	s_waitcnt lgkmcnt(2)
	v_add_nc_u32_e32 v22, v14, v17
	s_delay_alu instid0(VALU_DEP_1) | instskip(SKIP_1) | instid1(VALU_DEP_1)
	v_dual_mov_b32 v14, v0 :: v_dual_add_nc_u32 v23, v15, v22
	s_waitcnt lgkmcnt(1)
	v_dual_mov_b32 v15, v1 :: v_dual_add_nc_u32 v18, v18, v23
	s_delay_alu instid0(VALU_DEP_1) | instskip(SKIP_1) | instid1(VALU_DEP_1)
	v_add_nc_u32_e32 v19, v19, v18
	s_waitcnt lgkmcnt(0)
	v_add_nc_u32_e32 v21, v21, v19
	ds_store_2addr_b32 v3, v20, v16 offset1:1
	ds_store_2addr_b32 v3, v17, v22 offset0:2 offset1:3
	ds_store_2addr_b32 v3, v23, v18 offset0:4 offset1:5
	;; [unrolled: 1-line block ×3, first 2 shown]
	s_waitcnt lgkmcnt(0)
	s_barrier
	buffer_gl0_inv
.LBB63_11:                              ;   Parent Loop BB63_2 Depth=1
                                        ; =>  This Inner Loop Header: Depth=2
	v_add_nc_u32_e32 v14, 0x100, v14
	ds_store_b32 v15, v2
	v_add_nc_u32_e32 v15, 0x400, v15
	v_cmp_lt_u32_e64 s11, 0x6ff, v14
	s_delay_alu instid0(VALU_DEP_1) | instskip(NEXT) | instid1(SALU_CYCLE_1)
	s_or_b32 s15, s11, s15
	s_and_not1_b32 exec_lo, exec_lo, s15
	s_cbranch_execnz .LBB63_11
; %bb.12:                               ;   in Loop: Header=BB63_2 Depth=1
	s_or_b32 exec_lo, exec_lo, s15
	ds_load_u16 v14, v6
	s_waitcnt lgkmcnt(0)
	v_add_nc_u16 v15, v14, 1
	ds_store_b16 v6, v15
	ds_load_u16 v15, v7
	s_waitcnt lgkmcnt(0)
	v_add_nc_u16 v16, v15, 1
	ds_store_b16 v7, v16
	;; [unrolled: 4-line block ×4, first 2 shown]
	s_waitcnt lgkmcnt(0)
	s_barrier
	buffer_gl0_inv
	ds_load_2addr_b32 v[18:19], v3 offset1:1
	ds_load_2addr_b32 v[20:21], v3 offset0:2 offset1:3
	ds_load_2addr_b32 v[22:23], v3 offset0:4 offset1:5
	ds_load_2addr_b32 v[24:25], v3 offset0:6 offset1:7
	s_waitcnt lgkmcnt(3)
	v_add_nc_u32_e32 v18, v19, v18
	s_waitcnt lgkmcnt(2)
	s_delay_alu instid0(VALU_DEP_1) | instskip(SKIP_1) | instid1(VALU_DEP_1)
	v_add3_u32 v18, v18, v20, v21
	s_waitcnt lgkmcnt(1)
	v_add3_u32 v18, v18, v22, v23
	s_waitcnt lgkmcnt(0)
	s_delay_alu instid0(VALU_DEP_1) | instskip(NEXT) | instid1(VALU_DEP_1)
	v_add3_u32 v18, v18, v24, v25
	v_mov_b32_dpp v19, v18 row_shr:1 row_mask:0xf bank_mask:0xf
	s_delay_alu instid0(VALU_DEP_1) | instskip(NEXT) | instid1(VALU_DEP_1)
	v_cndmask_b32_e64 v19, v19, 0, s2
	v_add_nc_u32_e32 v18, v19, v18
	s_delay_alu instid0(VALU_DEP_1) | instskip(NEXT) | instid1(VALU_DEP_1)
	v_mov_b32_dpp v19, v18 row_shr:2 row_mask:0xf bank_mask:0xf
	v_cndmask_b32_e64 v19, 0, v19, s3
	s_delay_alu instid0(VALU_DEP_1) | instskip(NEXT) | instid1(VALU_DEP_1)
	v_add_nc_u32_e32 v18, v18, v19
	v_mov_b32_dpp v19, v18 row_shr:4 row_mask:0xf bank_mask:0xf
	s_delay_alu instid0(VALU_DEP_1) | instskip(NEXT) | instid1(VALU_DEP_1)
	v_cndmask_b32_e64 v19, 0, v19, s4
	v_add_nc_u32_e32 v18, v18, v19
	s_delay_alu instid0(VALU_DEP_1) | instskip(NEXT) | instid1(VALU_DEP_1)
	v_mov_b32_dpp v19, v18 row_shr:8 row_mask:0xf bank_mask:0xf
	v_cndmask_b32_e64 v19, 0, v19, s5
	s_delay_alu instid0(VALU_DEP_1) | instskip(SKIP_3) | instid1(VALU_DEP_1)
	v_add_nc_u32_e32 v18, v18, v19
	ds_swizzle_b32 v19, v18 offset:swizzle(BROADCAST,32,15)
	s_waitcnt lgkmcnt(0)
	v_cndmask_b32_e64 v19, v19, 0, s6
	v_add_nc_u32_e32 v18, v18, v19
	s_and_saveexec_b32 s11, s7
	s_cbranch_execz .LBB63_14
; %bb.13:                               ;   in Loop: Header=BB63_2 Depth=1
	ds_store_b32 v4, v18 offset:8192
.LBB63_14:                              ;   in Loop: Header=BB63_2 Depth=1
	s_or_b32 exec_lo, exec_lo, s11
	s_waitcnt lgkmcnt(0)
	s_barrier
	buffer_gl0_inv
	s_and_saveexec_b32 s11, vcc_lo
	s_cbranch_execz .LBB63_16
; %bb.15:                               ;   in Loop: Header=BB63_2 Depth=1
	ds_load_b32 v19, v1 offset:8192
	s_waitcnt lgkmcnt(0)
	v_mov_b32_dpp v20, v19 row_shr:1 row_mask:0xf bank_mask:0xf
	s_delay_alu instid0(VALU_DEP_1) | instskip(NEXT) | instid1(VALU_DEP_1)
	v_cndmask_b32_e64 v20, v20, 0, s8
	v_add_nc_u32_e32 v19, v20, v19
	s_delay_alu instid0(VALU_DEP_1) | instskip(NEXT) | instid1(VALU_DEP_1)
	v_mov_b32_dpp v20, v19 row_shr:2 row_mask:0xf bank_mask:0xf
	v_cndmask_b32_e64 v20, 0, v20, s9
	s_delay_alu instid0(VALU_DEP_1) | instskip(NEXT) | instid1(VALU_DEP_1)
	v_add_nc_u32_e32 v19, v19, v20
	v_mov_b32_dpp v20, v19 row_shr:4 row_mask:0xf bank_mask:0xf
	s_delay_alu instid0(VALU_DEP_1) | instskip(NEXT) | instid1(VALU_DEP_1)
	v_cndmask_b32_e64 v20, 0, v20, s10
	v_add_nc_u32_e32 v19, v19, v20
	ds_store_b32 v1, v19 offset:8192
.LBB63_16:                              ;   in Loop: Header=BB63_2 Depth=1
	s_or_b32 exec_lo, exec_lo, s11
	v_mov_b32_e32 v19, 0
	s_waitcnt lgkmcnt(0)
	s_barrier
	buffer_gl0_inv
	s_and_saveexec_b32 s11, s0
	s_cbranch_execz .LBB63_1
; %bb.17:                               ;   in Loop: Header=BB63_2 Depth=1
	ds_load_b32 v19, v4 offset:8188
	s_branch .LBB63_1
.LBB63_18:
	ds_load_u16 v0, v6
	ds_load_u16 v3, v7
	;; [unrolled: 1-line block ×4, first 2 shown]
	v_and_b32_e32 v2, 0xffff, v14
	v_and_b32_e32 v6, 0xffff, v15
	v_and_b32_e32 v7, 0xffff, v16
	v_and_b32_e32 v8, 0xffff, v17
	s_lshl_b64 s[0:1], s[12:13], 2
	s_delay_alu instid0(SALU_CYCLE_1)
	s_add_u32 s0, s18, s0
	s_addc_u32 s1, s19, s1
	s_waitcnt lgkmcnt(3)
	v_add_nc_u32_e32 v2, v0, v2
	s_waitcnt lgkmcnt(2)
	v_add_nc_u32_e32 v3, v3, v6
	;; [unrolled: 2-line block ×4, first 2 shown]
	v_lshlrev_b32_e32 v0, 2, v1
	global_store_b128 v0, v[2:5], s[0:1]
	s_nop 0
	s_sendmsg sendmsg(MSG_DEALLOC_VGPRS)
	s_endpgm
	.section	.rodata,"a",@progbits
	.p2align	6, 0x0
	.amdhsa_kernel _Z11rank_kernelIhLj4ELb0EL18RadixRankAlgorithm0ELj256ELj4ELj10EEvPKT_Pi
		.amdhsa_group_segment_fixed_size 8224
		.amdhsa_private_segment_fixed_size 0
		.amdhsa_kernarg_size 16
		.amdhsa_user_sgpr_count 15
		.amdhsa_user_sgpr_dispatch_ptr 0
		.amdhsa_user_sgpr_queue_ptr 0
		.amdhsa_user_sgpr_kernarg_segment_ptr 1
		.amdhsa_user_sgpr_dispatch_id 0
		.amdhsa_user_sgpr_private_segment_size 0
		.amdhsa_wavefront_size32 1
		.amdhsa_uses_dynamic_stack 0
		.amdhsa_enable_private_segment 0
		.amdhsa_system_sgpr_workgroup_id_x 1
		.amdhsa_system_sgpr_workgroup_id_y 0
		.amdhsa_system_sgpr_workgroup_id_z 0
		.amdhsa_system_sgpr_workgroup_info 0
		.amdhsa_system_vgpr_workitem_id 0
		.amdhsa_next_free_vgpr 26
		.amdhsa_next_free_sgpr 20
		.amdhsa_reserve_vcc 1
		.amdhsa_float_round_mode_32 0
		.amdhsa_float_round_mode_16_64 0
		.amdhsa_float_denorm_mode_32 3
		.amdhsa_float_denorm_mode_16_64 3
		.amdhsa_dx10_clamp 1
		.amdhsa_ieee_mode 1
		.amdhsa_fp16_overflow 0
		.amdhsa_workgroup_processor_mode 1
		.amdhsa_memory_ordered 1
		.amdhsa_forward_progress 0
		.amdhsa_shared_vgpr_count 0
		.amdhsa_exception_fp_ieee_invalid_op 0
		.amdhsa_exception_fp_denorm_src 0
		.amdhsa_exception_fp_ieee_div_zero 0
		.amdhsa_exception_fp_ieee_overflow 0
		.amdhsa_exception_fp_ieee_underflow 0
		.amdhsa_exception_fp_ieee_inexact 0
		.amdhsa_exception_int_div_zero 0
	.end_amdhsa_kernel
	.section	.text._Z11rank_kernelIhLj4ELb0EL18RadixRankAlgorithm0ELj256ELj4ELj10EEvPKT_Pi,"axG",@progbits,_Z11rank_kernelIhLj4ELb0EL18RadixRankAlgorithm0ELj256ELj4ELj10EEvPKT_Pi,comdat
.Lfunc_end63:
	.size	_Z11rank_kernelIhLj4ELb0EL18RadixRankAlgorithm0ELj256ELj4ELj10EEvPKT_Pi, .Lfunc_end63-_Z11rank_kernelIhLj4ELb0EL18RadixRankAlgorithm0ELj256ELj4ELj10EEvPKT_Pi
                                        ; -- End function
	.section	.AMDGPU.csdata,"",@progbits
; Kernel info:
; codeLenInByte = 2172
; NumSgprs: 22
; NumVgprs: 26
; ScratchSize: 0
; MemoryBound: 0
; FloatMode: 240
; IeeeMode: 1
; LDSByteSize: 8224 bytes/workgroup (compile time only)
; SGPRBlocks: 2
; VGPRBlocks: 3
; NumSGPRsForWavesPerEU: 22
; NumVGPRsForWavesPerEU: 26
; Occupancy: 16
; WaveLimiterHint : 0
; COMPUTE_PGM_RSRC2:SCRATCH_EN: 0
; COMPUTE_PGM_RSRC2:USER_SGPR: 15
; COMPUTE_PGM_RSRC2:TRAP_HANDLER: 0
; COMPUTE_PGM_RSRC2:TGID_X_EN: 1
; COMPUTE_PGM_RSRC2:TGID_Y_EN: 0
; COMPUTE_PGM_RSRC2:TGID_Z_EN: 0
; COMPUTE_PGM_RSRC2:TIDIG_COMP_CNT: 0
	.section	.text._Z11rank_kernelIhLj4ELb0EL18RadixRankAlgorithm1ELj256ELj4ELj10EEvPKT_Pi,"axG",@progbits,_Z11rank_kernelIhLj4ELb0EL18RadixRankAlgorithm1ELj256ELj4ELj10EEvPKT_Pi,comdat
	.protected	_Z11rank_kernelIhLj4ELb0EL18RadixRankAlgorithm1ELj256ELj4ELj10EEvPKT_Pi ; -- Begin function _Z11rank_kernelIhLj4ELb0EL18RadixRankAlgorithm1ELj256ELj4ELj10EEvPKT_Pi
	.globl	_Z11rank_kernelIhLj4ELb0EL18RadixRankAlgorithm1ELj256ELj4ELj10EEvPKT_Pi
	.p2align	8
	.type	_Z11rank_kernelIhLj4ELb0EL18RadixRankAlgorithm1ELj256ELj4ELj10EEvPKT_Pi,@function
_Z11rank_kernelIhLj4ELb0EL18RadixRankAlgorithm1ELj256ELj4ELj10EEvPKT_Pi: ; @_Z11rank_kernelIhLj4ELb0EL18RadixRankAlgorithm1ELj256ELj4ELj10EEvPKT_Pi
; %bb.0:
	s_load_b128 s[16:19], s[0:1], 0x0
	s_lshl_b32 s12, s15, 10
	v_dual_mov_b32 v9, 0 :: v_dual_lshlrev_b32 v8, 2, v0
	v_mbcnt_lo_u32_b32 v2, -1, 0
	v_or_b32_e32 v5, 31, v0
	v_lshrrev_b32_e32 v7, 3, v0
	v_lshlrev_b32_e32 v10, 5, v0
	v_cmp_gt_u32_e32 vcc_lo, 8, v0
	v_add_nc_u32_e32 v6, -1, v2
	v_and_b32_e32 v3, 15, v2
	v_and_b32_e32 v4, 16, v2
	;; [unrolled: 1-line block ×3, first 2 shown]
	v_cmp_eq_u32_e64 s7, v5, v0
	v_cmp_gt_i32_e64 s8, 0, v6
	v_cmp_eq_u32_e64 s2, 0, v3
	v_cmp_lt_u32_e64 s3, 1, v3
	v_cmp_lt_u32_e64 s4, 3, v3
	;; [unrolled: 1-line block ×3, first 2 shown]
	v_cmp_eq_u32_e64 s6, 0, v4
	s_waitcnt lgkmcnt(0)
	s_add_u32 s0, s16, s12
	s_addc_u32 s1, s17, 0
	v_and_b32_e32 v11, 28, v7
	global_load_b32 v1, v8, s[0:1]
	v_cmp_eq_u32_e64 s1, 0, v2
	v_cndmask_b32_e64 v2, v6, v2, s8
	v_cmp_eq_u32_e64 s8, 0, v12
	v_cmp_lt_u32_e64 s9, 1, v12
	v_cmp_lt_u32_e64 s10, 3, v12
	;; [unrolled: 1-line block ×3, first 2 shown]
	v_lshlrev_b32_e32 v12, 2, v2
	s_mov_b32 s13, 0
	s_delay_alu instid0(SALU_CYCLE_1)
	s_mov_b32 s14, s13
	s_waitcnt vmcnt(0)
	v_lshrrev_b32_e32 v19, 12, v1
	v_lshrrev_b32_e32 v21, 20, v1
	;; [unrolled: 1-line block ×4, first 2 shown]
	v_lshlrev_b32_e32 v4, 4, v1
	v_lshrrev_b32_e32 v5, 6, v1
	v_lshlrev_b32_e32 v6, 8, v1
	v_lshrrev_b32_e32 v7, 2, v1
	v_lshrrev_b32_e32 v13, 10, v1
	;; [unrolled: 1-line block ×7, first 2 shown]
	v_and_or_b32 v25, 0x700, v19, v0
	v_and_or_b32 v19, 0x700, v21, v0
	;; [unrolled: 1-line block ×4, first 2 shown]
	v_and_b32_e32 v5, 2, v5
	v_and_or_b32 v6, 0x700, v6, v0
	v_and_b32_e32 v7, 2, v7
	v_and_b32_e32 v22, 2, v13
	v_and_or_b32 v3, 0x700, v3, v0
	v_and_b32_e32 v15, 2, v15
	v_and_or_b32 v2, 0x700, v2, v0
	;; [unrolled: 2-line block ×3, first 2 shown]
	v_and_b32_e32 v24, 2, v18
	v_and_b32_e32 v21, 2, v20
	v_alignbit_b32 v1, v19, v1, 30
	v_lshl_or_b32 v13, v4, 2, v5
	v_lshl_or_b32 v17, v6, 2, v7
	;; [unrolled: 1-line block ×7, first 2 shown]
	v_and_b32_e32 v16, 0x1ffe, v1
	v_or_b32_e32 v21, 0xffffff00, v0
	s_branch .LBB64_2
.LBB64_1:                               ;   in Loop: Header=BB64_2 Depth=1
	s_or_b32 exec_lo, exec_lo, s11
	s_waitcnt lgkmcnt(0)
	v_add_nc_u32_e32 v1, v26, v1
	ds_load_b32 v27, v9 offset:8220
	s_add_i32 s14, s14, 1
	s_delay_alu instid0(SALU_CYCLE_1) | instskip(SKIP_3) | instid1(VALU_DEP_1)
	s_cmp_eq_u32 s14, 10
	ds_bpermute_b32 v1, v12, v1
	s_waitcnt lgkmcnt(0)
	v_cndmask_b32_e64 v1, v1, v26, s1
	v_lshl_add_u32 v1, v27, 16, v1
	s_delay_alu instid0(VALU_DEP_1) | instskip(NEXT) | instid1(VALU_DEP_1)
	v_add_nc_u32_e32 v6, v1, v6
	v_add_nc_u32_e32 v7, v6, v7
	s_delay_alu instid0(VALU_DEP_1) | instskip(NEXT) | instid1(VALU_DEP_1)
	v_add_nc_u32_e32 v4, v7, v4
	v_add_nc_u32_e32 v5, v4, v5
	;; [unrolled: 3-line block ×3, first 2 shown]
	s_delay_alu instid0(VALU_DEP_1)
	v_add_nc_u32_e32 v0, v3, v0
	ds_store_2addr_b32 v10, v1, v6 offset1:1
	ds_store_2addr_b32 v10, v7, v4 offset0:2 offset1:3
	ds_store_2addr_b32 v10, v5, v2 offset0:4 offset1:5
	;; [unrolled: 1-line block ×3, first 2 shown]
	s_waitcnt lgkmcnt(0)
	s_barrier
	buffer_gl0_inv
	s_cbranch_scc1 .LBB64_18
.LBB64_2:                               ; =>This Loop Header: Depth=1
                                        ;     Child Loop BB64_3 Depth 2
                                        ;     Child Loop BB64_11 Depth 2
	s_delay_alu instid0(VALU_DEP_1)
	v_dual_mov_b32 v0, v21 :: v_dual_mov_b32 v1, v8
	s_mov_b32 s15, 0
.LBB64_3:                               ;   Parent Loop BB64_2 Depth=1
                                        ; =>  This Inner Loop Header: Depth=2
	s_delay_alu instid0(VALU_DEP_1) | instskip(SKIP_3) | instid1(VALU_DEP_1)
	v_add_nc_u32_e32 v0, 0x100, v0
	ds_store_b32 v1, v9
	v_add_nc_u32_e32 v1, 0x400, v1
	v_cmp_lt_u32_e64 s11, 0x6ff, v0
	s_or_b32 s15, s11, s15
	s_delay_alu instid0(SALU_CYCLE_1)
	s_and_not1_b32 exec_lo, exec_lo, s15
	s_cbranch_execnz .LBB64_3
; %bb.4:                                ;   in Loop: Header=BB64_2 Depth=1
	s_or_b32 exec_lo, exec_lo, s15
	ds_load_u16 v0, v17
	s_waitcnt lgkmcnt(0)
	v_add_nc_u16 v0, v0, 1
	ds_store_b16 v17, v0
	ds_load_u16 v0, v18
	s_waitcnt lgkmcnt(0)
	v_add_nc_u16 v0, v0, 1
	ds_store_b16 v18, v0
	;; [unrolled: 4-line block ×4, first 2 shown]
	s_waitcnt lgkmcnt(0)
	s_barrier
	buffer_gl0_inv
	ds_load_2addr_b32 v[6:7], v10 offset1:1
	ds_load_2addr_b32 v[4:5], v10 offset0:2 offset1:3
	ds_load_2addr_b32 v[2:3], v10 offset0:4 offset1:5
	ds_load_2addr_b32 v[0:1], v10 offset0:6 offset1:7
	s_waitcnt lgkmcnt(3)
	v_add_nc_u32_e32 v22, v7, v6
	s_waitcnt lgkmcnt(2)
	s_delay_alu instid0(VALU_DEP_1) | instskip(SKIP_1) | instid1(VALU_DEP_1)
	v_add3_u32 v22, v22, v4, v5
	s_waitcnt lgkmcnt(1)
	v_add3_u32 v22, v22, v2, v3
	s_waitcnt lgkmcnt(0)
	s_delay_alu instid0(VALU_DEP_1) | instskip(NEXT) | instid1(VALU_DEP_1)
	v_add3_u32 v1, v22, v0, v1
	v_mov_b32_dpp v22, v1 row_shr:1 row_mask:0xf bank_mask:0xf
	s_delay_alu instid0(VALU_DEP_1) | instskip(NEXT) | instid1(VALU_DEP_1)
	v_cndmask_b32_e64 v22, v22, 0, s2
	v_add_nc_u32_e32 v1, v22, v1
	s_delay_alu instid0(VALU_DEP_1) | instskip(NEXT) | instid1(VALU_DEP_1)
	v_mov_b32_dpp v22, v1 row_shr:2 row_mask:0xf bank_mask:0xf
	v_cndmask_b32_e64 v22, 0, v22, s3
	s_delay_alu instid0(VALU_DEP_1) | instskip(NEXT) | instid1(VALU_DEP_1)
	v_add_nc_u32_e32 v1, v1, v22
	v_mov_b32_dpp v22, v1 row_shr:4 row_mask:0xf bank_mask:0xf
	s_delay_alu instid0(VALU_DEP_1) | instskip(NEXT) | instid1(VALU_DEP_1)
	v_cndmask_b32_e64 v22, 0, v22, s4
	v_add_nc_u32_e32 v1, v1, v22
	s_delay_alu instid0(VALU_DEP_1) | instskip(NEXT) | instid1(VALU_DEP_1)
	v_mov_b32_dpp v22, v1 row_shr:8 row_mask:0xf bank_mask:0xf
	v_cndmask_b32_e64 v22, 0, v22, s5
	s_delay_alu instid0(VALU_DEP_1) | instskip(SKIP_3) | instid1(VALU_DEP_1)
	v_add_nc_u32_e32 v1, v1, v22
	ds_swizzle_b32 v22, v1 offset:swizzle(BROADCAST,32,15)
	s_waitcnt lgkmcnt(0)
	v_cndmask_b32_e64 v22, v22, 0, s6
	v_add_nc_u32_e32 v1, v1, v22
	s_and_saveexec_b32 s11, s7
	s_cbranch_execz .LBB64_6
; %bb.5:                                ;   in Loop: Header=BB64_2 Depth=1
	ds_store_b32 v11, v1 offset:8192
.LBB64_6:                               ;   in Loop: Header=BB64_2 Depth=1
	s_or_b32 exec_lo, exec_lo, s11
	s_waitcnt lgkmcnt(0)
	s_barrier
	buffer_gl0_inv
	s_and_saveexec_b32 s11, vcc_lo
	s_cbranch_execz .LBB64_8
; %bb.7:                                ;   in Loop: Header=BB64_2 Depth=1
	ds_load_b32 v22, v8 offset:8192
	s_waitcnt lgkmcnt(0)
	v_mov_b32_dpp v23, v22 row_shr:1 row_mask:0xf bank_mask:0xf
	s_delay_alu instid0(VALU_DEP_1) | instskip(NEXT) | instid1(VALU_DEP_1)
	v_cndmask_b32_e64 v23, v23, 0, s8
	v_add_nc_u32_e32 v22, v23, v22
	s_delay_alu instid0(VALU_DEP_1) | instskip(NEXT) | instid1(VALU_DEP_1)
	v_mov_b32_dpp v23, v22 row_shr:2 row_mask:0xf bank_mask:0xf
	v_cndmask_b32_e64 v23, 0, v23, s9
	s_delay_alu instid0(VALU_DEP_1) | instskip(NEXT) | instid1(VALU_DEP_1)
	v_add_nc_u32_e32 v22, v22, v23
	v_mov_b32_dpp v23, v22 row_shr:4 row_mask:0xf bank_mask:0xf
	s_delay_alu instid0(VALU_DEP_1) | instskip(NEXT) | instid1(VALU_DEP_1)
	v_cndmask_b32_e64 v23, 0, v23, s10
	v_add_nc_u32_e32 v22, v22, v23
	ds_store_b32 v8, v22 offset:8192
.LBB64_8:                               ;   in Loop: Header=BB64_2 Depth=1
	s_or_b32 exec_lo, exec_lo, s11
	v_mov_b32_e32 v22, 0
	s_waitcnt lgkmcnt(0)
	s_barrier
	buffer_gl0_inv
	s_and_saveexec_b32 s11, s0
	s_cbranch_execz .LBB64_10
; %bb.9:                                ;   in Loop: Header=BB64_2 Depth=1
	ds_load_b32 v22, v11 offset:8188
.LBB64_10:                              ;   in Loop: Header=BB64_2 Depth=1
	s_or_b32 exec_lo, exec_lo, s11
	s_waitcnt lgkmcnt(0)
	v_add_nc_u32_e32 v1, v22, v1
	ds_load_b32 v23, v9 offset:8220
	s_mov_b32 s15, 0
	ds_bpermute_b32 v1, v12, v1
	s_waitcnt lgkmcnt(0)
	v_cndmask_b32_e64 v1, v1, v22, s1
	s_delay_alu instid0(VALU_DEP_1) | instskip(NEXT) | instid1(VALU_DEP_1)
	v_lshl_add_u32 v22, v23, 16, v1
	v_dual_mov_b32 v1, v21 :: v_dual_add_nc_u32 v6, v22, v6
	s_delay_alu instid0(VALU_DEP_1) | instskip(NEXT) | instid1(VALU_DEP_1)
	v_add_nc_u32_e32 v7, v6, v7
	v_add_nc_u32_e32 v4, v7, v4
	s_delay_alu instid0(VALU_DEP_1) | instskip(NEXT) | instid1(VALU_DEP_1)
	v_add_nc_u32_e32 v5, v4, v5
	v_add_nc_u32_e32 v2, v5, v2
	s_delay_alu instid0(VALU_DEP_1) | instskip(NEXT) | instid1(VALU_DEP_1)
	v_add_nc_u32_e32 v3, v2, v3
	v_dual_mov_b32 v0, v8 :: v_dual_add_nc_u32 v23, v3, v0
	ds_store_2addr_b32 v10, v22, v6 offset1:1
	ds_store_2addr_b32 v10, v7, v4 offset0:2 offset1:3
	ds_store_2addr_b32 v10, v5, v2 offset0:4 offset1:5
	;; [unrolled: 1-line block ×3, first 2 shown]
	s_waitcnt lgkmcnt(0)
	s_barrier
	buffer_gl0_inv
.LBB64_11:                              ;   Parent Loop BB64_2 Depth=1
                                        ; =>  This Inner Loop Header: Depth=2
	v_add_nc_u32_e32 v1, 0x100, v1
	ds_store_b32 v0, v9
	v_add_nc_u32_e32 v0, 0x400, v0
	v_cmp_lt_u32_e64 s11, 0x6ff, v1
	s_delay_alu instid0(VALU_DEP_1) | instskip(NEXT) | instid1(SALU_CYCLE_1)
	s_or_b32 s15, s11, s15
	s_and_not1_b32 exec_lo, exec_lo, s15
	s_cbranch_execnz .LBB64_11
; %bb.12:                               ;   in Loop: Header=BB64_2 Depth=1
	s_or_b32 exec_lo, exec_lo, s15
	ds_load_u16 v22, v13
	s_waitcnt lgkmcnt(0)
	v_add_nc_u16 v0, v22, 1
	ds_store_b16 v13, v0
	ds_load_u16 v23, v14
	s_waitcnt lgkmcnt(0)
	v_add_nc_u16 v0, v23, 1
	ds_store_b16 v14, v0
	;; [unrolled: 4-line block ×4, first 2 shown]
	s_waitcnt lgkmcnt(0)
	s_barrier
	buffer_gl0_inv
	ds_load_2addr_b32 v[6:7], v10 offset1:1
	ds_load_2addr_b32 v[4:5], v10 offset0:2 offset1:3
	ds_load_2addr_b32 v[2:3], v10 offset0:4 offset1:5
	;; [unrolled: 1-line block ×3, first 2 shown]
	s_waitcnt lgkmcnt(3)
	v_add_nc_u32_e32 v26, v7, v6
	s_waitcnt lgkmcnt(2)
	s_delay_alu instid0(VALU_DEP_1) | instskip(SKIP_1) | instid1(VALU_DEP_1)
	v_add3_u32 v26, v26, v4, v5
	s_waitcnt lgkmcnt(1)
	v_add3_u32 v26, v26, v2, v3
	s_waitcnt lgkmcnt(0)
	s_delay_alu instid0(VALU_DEP_1) | instskip(NEXT) | instid1(VALU_DEP_1)
	v_add3_u32 v1, v26, v0, v1
	v_mov_b32_dpp v26, v1 row_shr:1 row_mask:0xf bank_mask:0xf
	s_delay_alu instid0(VALU_DEP_1) | instskip(NEXT) | instid1(VALU_DEP_1)
	v_cndmask_b32_e64 v26, v26, 0, s2
	v_add_nc_u32_e32 v1, v26, v1
	s_delay_alu instid0(VALU_DEP_1) | instskip(NEXT) | instid1(VALU_DEP_1)
	v_mov_b32_dpp v26, v1 row_shr:2 row_mask:0xf bank_mask:0xf
	v_cndmask_b32_e64 v26, 0, v26, s3
	s_delay_alu instid0(VALU_DEP_1) | instskip(NEXT) | instid1(VALU_DEP_1)
	v_add_nc_u32_e32 v1, v1, v26
	v_mov_b32_dpp v26, v1 row_shr:4 row_mask:0xf bank_mask:0xf
	s_delay_alu instid0(VALU_DEP_1) | instskip(NEXT) | instid1(VALU_DEP_1)
	v_cndmask_b32_e64 v26, 0, v26, s4
	v_add_nc_u32_e32 v1, v1, v26
	s_delay_alu instid0(VALU_DEP_1) | instskip(NEXT) | instid1(VALU_DEP_1)
	v_mov_b32_dpp v26, v1 row_shr:8 row_mask:0xf bank_mask:0xf
	v_cndmask_b32_e64 v26, 0, v26, s5
	s_delay_alu instid0(VALU_DEP_1) | instskip(SKIP_3) | instid1(VALU_DEP_1)
	v_add_nc_u32_e32 v1, v1, v26
	ds_swizzle_b32 v26, v1 offset:swizzle(BROADCAST,32,15)
	s_waitcnt lgkmcnt(0)
	v_cndmask_b32_e64 v26, v26, 0, s6
	v_add_nc_u32_e32 v1, v1, v26
	s_and_saveexec_b32 s11, s7
	s_cbranch_execz .LBB64_14
; %bb.13:                               ;   in Loop: Header=BB64_2 Depth=1
	ds_store_b32 v11, v1 offset:8192
.LBB64_14:                              ;   in Loop: Header=BB64_2 Depth=1
	s_or_b32 exec_lo, exec_lo, s11
	s_waitcnt lgkmcnt(0)
	s_barrier
	buffer_gl0_inv
	s_and_saveexec_b32 s11, vcc_lo
	s_cbranch_execz .LBB64_16
; %bb.15:                               ;   in Loop: Header=BB64_2 Depth=1
	ds_load_b32 v26, v8 offset:8192
	s_waitcnt lgkmcnt(0)
	v_mov_b32_dpp v27, v26 row_shr:1 row_mask:0xf bank_mask:0xf
	s_delay_alu instid0(VALU_DEP_1) | instskip(NEXT) | instid1(VALU_DEP_1)
	v_cndmask_b32_e64 v27, v27, 0, s8
	v_add_nc_u32_e32 v26, v27, v26
	s_delay_alu instid0(VALU_DEP_1) | instskip(NEXT) | instid1(VALU_DEP_1)
	v_mov_b32_dpp v27, v26 row_shr:2 row_mask:0xf bank_mask:0xf
	v_cndmask_b32_e64 v27, 0, v27, s9
	s_delay_alu instid0(VALU_DEP_1) | instskip(NEXT) | instid1(VALU_DEP_1)
	v_add_nc_u32_e32 v26, v26, v27
	v_mov_b32_dpp v27, v26 row_shr:4 row_mask:0xf bank_mask:0xf
	s_delay_alu instid0(VALU_DEP_1) | instskip(NEXT) | instid1(VALU_DEP_1)
	v_cndmask_b32_e64 v27, 0, v27, s10
	v_add_nc_u32_e32 v26, v26, v27
	ds_store_b32 v8, v26 offset:8192
.LBB64_16:                              ;   in Loop: Header=BB64_2 Depth=1
	s_or_b32 exec_lo, exec_lo, s11
	v_mov_b32_e32 v26, 0
	s_waitcnt lgkmcnt(0)
	s_barrier
	buffer_gl0_inv
	s_and_saveexec_b32 s11, s0
	s_cbranch_execz .LBB64_1
; %bb.17:                               ;   in Loop: Header=BB64_2 Depth=1
	ds_load_b32 v26, v11 offset:8188
	s_branch .LBB64_1
.LBB64_18:
	ds_load_u16 v0, v13
	ds_load_u16 v1, v14
	;; [unrolled: 1-line block ×4, first 2 shown]
	v_and_b32_e32 v4, 0xffff, v22
	v_and_b32_e32 v5, 0xffff, v23
	;; [unrolled: 1-line block ×4, first 2 shown]
	s_lshl_b64 s[0:1], s[12:13], 2
	s_delay_alu instid0(SALU_CYCLE_1)
	s_add_u32 s0, s18, s0
	s_addc_u32 s1, s19, s1
	s_waitcnt lgkmcnt(3)
	v_add_nc_u32_e32 v0, v0, v4
	s_waitcnt lgkmcnt(2)
	v_add_nc_u32_e32 v1, v1, v5
	;; [unrolled: 2-line block ×4, first 2 shown]
	v_lshlrev_b32_e32 v4, 2, v8
	global_store_b128 v4, v[0:3], s[0:1]
	s_nop 0
	s_sendmsg sendmsg(MSG_DEALLOC_VGPRS)
	s_endpgm
	.section	.rodata,"a",@progbits
	.p2align	6, 0x0
	.amdhsa_kernel _Z11rank_kernelIhLj4ELb0EL18RadixRankAlgorithm1ELj256ELj4ELj10EEvPKT_Pi
		.amdhsa_group_segment_fixed_size 8224
		.amdhsa_private_segment_fixed_size 0
		.amdhsa_kernarg_size 16
		.amdhsa_user_sgpr_count 15
		.amdhsa_user_sgpr_dispatch_ptr 0
		.amdhsa_user_sgpr_queue_ptr 0
		.amdhsa_user_sgpr_kernarg_segment_ptr 1
		.amdhsa_user_sgpr_dispatch_id 0
		.amdhsa_user_sgpr_private_segment_size 0
		.amdhsa_wavefront_size32 1
		.amdhsa_uses_dynamic_stack 0
		.amdhsa_enable_private_segment 0
		.amdhsa_system_sgpr_workgroup_id_x 1
		.amdhsa_system_sgpr_workgroup_id_y 0
		.amdhsa_system_sgpr_workgroup_id_z 0
		.amdhsa_system_sgpr_workgroup_info 0
		.amdhsa_system_vgpr_workitem_id 0
		.amdhsa_next_free_vgpr 28
		.amdhsa_next_free_sgpr 20
		.amdhsa_reserve_vcc 1
		.amdhsa_float_round_mode_32 0
		.amdhsa_float_round_mode_16_64 0
		.amdhsa_float_denorm_mode_32 3
		.amdhsa_float_denorm_mode_16_64 3
		.amdhsa_dx10_clamp 1
		.amdhsa_ieee_mode 1
		.amdhsa_fp16_overflow 0
		.amdhsa_workgroup_processor_mode 1
		.amdhsa_memory_ordered 1
		.amdhsa_forward_progress 0
		.amdhsa_shared_vgpr_count 0
		.amdhsa_exception_fp_ieee_invalid_op 0
		.amdhsa_exception_fp_denorm_src 0
		.amdhsa_exception_fp_ieee_div_zero 0
		.amdhsa_exception_fp_ieee_overflow 0
		.amdhsa_exception_fp_ieee_underflow 0
		.amdhsa_exception_fp_ieee_inexact 0
		.amdhsa_exception_int_div_zero 0
	.end_amdhsa_kernel
	.section	.text._Z11rank_kernelIhLj4ELb0EL18RadixRankAlgorithm1ELj256ELj4ELj10EEvPKT_Pi,"axG",@progbits,_Z11rank_kernelIhLj4ELb0EL18RadixRankAlgorithm1ELj256ELj4ELj10EEvPKT_Pi,comdat
.Lfunc_end64:
	.size	_Z11rank_kernelIhLj4ELb0EL18RadixRankAlgorithm1ELj256ELj4ELj10EEvPKT_Pi, .Lfunc_end64-_Z11rank_kernelIhLj4ELb0EL18RadixRankAlgorithm1ELj256ELj4ELj10EEvPKT_Pi
                                        ; -- End function
	.section	.AMDGPU.csdata,"",@progbits
; Kernel info:
; codeLenInByte = 2092
; NumSgprs: 22
; NumVgprs: 28
; ScratchSize: 0
; MemoryBound: 0
; FloatMode: 240
; IeeeMode: 1
; LDSByteSize: 8224 bytes/workgroup (compile time only)
; SGPRBlocks: 2
; VGPRBlocks: 3
; NumSGPRsForWavesPerEU: 22
; NumVGPRsForWavesPerEU: 28
; Occupancy: 16
; WaveLimiterHint : 0
; COMPUTE_PGM_RSRC2:SCRATCH_EN: 0
; COMPUTE_PGM_RSRC2:USER_SGPR: 15
; COMPUTE_PGM_RSRC2:TRAP_HANDLER: 0
; COMPUTE_PGM_RSRC2:TGID_X_EN: 1
; COMPUTE_PGM_RSRC2:TGID_Y_EN: 0
; COMPUTE_PGM_RSRC2:TGID_Z_EN: 0
; COMPUTE_PGM_RSRC2:TIDIG_COMP_CNT: 0
	.section	.text._Z11rank_kernelIhLj4ELb0EL18RadixRankAlgorithm2ELj256ELj4ELj10EEvPKT_Pi,"axG",@progbits,_Z11rank_kernelIhLj4ELb0EL18RadixRankAlgorithm2ELj256ELj4ELj10EEvPKT_Pi,comdat
	.protected	_Z11rank_kernelIhLj4ELb0EL18RadixRankAlgorithm2ELj256ELj4ELj10EEvPKT_Pi ; -- Begin function _Z11rank_kernelIhLj4ELb0EL18RadixRankAlgorithm2ELj256ELj4ELj10EEvPKT_Pi
	.globl	_Z11rank_kernelIhLj4ELb0EL18RadixRankAlgorithm2ELj256ELj4ELj10EEvPKT_Pi
	.p2align	8
	.type	_Z11rank_kernelIhLj4ELb0EL18RadixRankAlgorithm2ELj256ELj4ELj10EEvPKT_Pi,@function
_Z11rank_kernelIhLj4ELb0EL18RadixRankAlgorithm2ELj256ELj4ELj10EEvPKT_Pi: ; @_Z11rank_kernelIhLj4ELb0EL18RadixRankAlgorithm2ELj256ELj4ELj10EEvPKT_Pi
; %bb.0:
	s_clause 0x1
	s_load_b128 s[36:39], s[0:1], 0x0
	s_load_b32 s8, s[0:1], 0x1c
	v_dual_mov_b32 v2, 0 :: v_dual_and_b32 v3, 0x3ff, v0
	s_lshl_b32 s34, s15, 10
	v_mbcnt_lo_u32_b32 v4, -1, 0
	v_bfe_u32 v5, v0, 10, 10
	s_delay_alu instid0(VALU_DEP_3)
	v_lshlrev_b32_e32 v1, 2, v3
	v_bfe_u32 v0, v0, 20, 10
	v_cmp_gt_u32_e64 s5, 8, v3
	v_add_nc_u32_e32 v9, -1, v4
	v_and_b32_e32 v6, 15, v4
	v_and_b32_e32 v8, 16, v4
	v_cmp_eq_u32_e32 vcc_lo, 0, v4
	v_and_b32_e32 v10, 7, v4
	v_cmp_lt_u32_e64 s6, 31, v3
	v_cmp_lt_u32_e64 s2, 3, v6
	;; [unrolled: 1-line block ×3, first 2 shown]
	v_cmp_eq_u32_e64 s4, 0, v8
	v_or_b32_e32 v8, 31, v3
	s_waitcnt lgkmcnt(0)
	s_add_u32 s0, s36, s34
	s_addc_u32 s1, s37, 0
	s_lshr_b32 s7, s8, 16
	global_load_b32 v7, v1, s[0:1]
	v_mad_u32_u24 v0, v0, s7, v5
	v_cmp_gt_i32_e64 s7, 0, v9
	v_cmp_eq_u32_e64 s0, 0, v6
	v_cmp_lt_u32_e64 s1, 1, v6
	v_cmp_eq_u32_e64 s10, v8, v3
	v_cmp_lt_u32_e64 s9, 3, v10
	v_cndmask_b32_e64 v4, v9, v4, s7
	s_and_b32 s7, s8, 0xffff
	v_lshrrev_b32_e32 v9, 3, v3
	v_cmp_lt_u32_e64 s8, 1, v10
	s_mov_b32 s42, 10
	v_mad_u64_u32 v[5:6], null, v0, s7, v[3:4]
	s_delay_alu instid0(VALU_DEP_3) | instskip(SKIP_3) | instid1(VALU_DEP_3)
	v_and_b32_e32 v0, 28, v9
	v_cmp_eq_u32_e64 s7, 0, v10
	v_lshlrev_b32_e32 v3, 2, v4
	s_mov_b32 s35, 0
	v_add_nc_u32_e32 v4, -4, v0
	v_lshrrev_b32_e32 v29, 5, v5
	s_waitcnt vmcnt(0)
	v_and_b32_e32 v12, 1, v7
	v_lshlrev_b32_e32 v14, 30, v7
	v_bfe_u32 v13, v7, 16, 4
	v_lshrrev_b32_e32 v5, 8, v7
	v_lshlrev_b32_e32 v16, 29, v7
	v_add_co_u32 v12, s12, v12, -1
	v_bfe_u32 v15, v7, 16, 1
	v_mul_u32_u24_e32 v42, 9, v13
	v_cndmask_b32_e64 v13, 0, 1, s12
	v_cmp_gt_i32_e64 s12, 0, v14
	v_lshrrev_b32_e32 v8, 24, v7
	v_and_b32_e32 v9, 15, v7
	v_lshrrev_b32_e32 v27, 20, v7
	v_bfe_u32 v30, v7, 20, 1
	v_lshlrev_b32_e32 v40, 30, v5
	v_lshlrev_b32_e32 v17, 28, v7
	;; [unrolled: 1-line block ×4, first 2 shown]
	v_add_co_u32 v5, s31, v15, -1
	v_cndmask_b32_e64 v15, 0, 1, s12
	v_cmp_gt_i32_e64 s12, 0, v16
	v_lshrrev_b32_e32 v6, 16, v7
	v_lshrrev_b32_e32 v11, 28, v7
	v_bfe_u32 v10, v7, 8, 4
	v_bfe_u32 v19, v7, 24, 4
	v_lshrrev_b32_e32 v21, 4, v7
	v_bfe_u32 v22, v7, 4, 4
	v_lshrrev_b32_e32 v24, 12, v7
	v_bfe_u32 v25, v7, 12, 4
	v_bfe_u32 v31, v7, 28, 1
	v_mul_u32_u24_e32 v38, 9, v9
	v_lshlrev_b32_e32 v49, 28, v8
	v_add_co_u32 v9, s40, v30, -1
	v_lshlrev_b32_e32 v30, 30, v27
	v_cmp_gt_i32_e64 s29, 0, v40
	v_bfe_u32 v18, v7, 8, 1
	v_not_b32_e32 v36, v16
	v_cndmask_b32_e64 v16, 0, 1, s12
	v_cmp_gt_i32_e64 s12, 0, v17
	v_bfe_u32 v20, v7, 24, 1
	v_bfe_u32 v23, v7, 4, 1
	;; [unrolled: 1-line block ×4, first 2 shown]
	v_and_b32_e32 v32, 0xf0000000, v7
	v_not_b32_e32 v33, v7
	v_mul_u32_u24_e32 v34, 9, v11
	v_not_b32_e32 v35, v14
	v_not_b32_e32 v37, v17
	v_mul_u32_u24_e32 v39, 9, v10
	v_lshlrev_b32_e32 v43, 30, v6
	v_lshlrev_b32_e32 v44, 29, v6
	;; [unrolled: 1-line block ×3, first 2 shown]
	v_mul_u32_u24_e32 v46, 9, v19
	v_lshlrev_b32_e32 v47, 30, v8
	v_lshlrev_b32_e32 v48, 29, v8
	v_mul_u32_u24_e32 v50, 9, v22
	v_lshlrev_b32_e32 v51, 30, v21
	v_lshlrev_b32_e32 v53, 29, v21
	;; [unrolled: 1-line block ×3, first 2 shown]
	v_mul_u32_u24_e32 v55, 9, v25
	v_lshlrev_b32_e32 v56, 30, v24
	v_lshlrev_b32_e32 v57, 29, v24
	;; [unrolled: 1-line block ×5, first 2 shown]
	v_add_co_u32 v10, s41, v31, -1
	v_lshlrev_b32_e32 v31, 30, v11
	v_lshlrev_b32_e32 v62, 29, v11
	v_add_lshl_u32 v25, v29, v42, 2
	v_cmp_gt_i32_e64 s17, 0, v49
	v_not_b32_e32 v42, v49
	v_cmp_gt_i32_e64 s24, 0, v30
	v_not_b32_e32 v49, v30
	v_cndmask_b32_e64 v30, 0, 1, s29
	v_cmp_gt_i32_e64 s29, 0, v41
	v_cndmask_b32_e64 v17, 0, 1, s12
	v_add_co_u32 v18, s12, v18, -1
	v_add_co_u32 v6, s33, v20, -1
	;; [unrolled: 1-line block ×4, first 2 shown]
	v_mul_u32_u24_e32 v59, 9, v28
	v_cmp_gt_i32_e64 s11, 0, v32
	v_ashrrev_i32_e32 v11, 31, v33
	v_cndmask_b32_e64 v19, 0, 1, s12
	v_add_lshl_u32 v14, v29, v34, 2
	v_ashrrev_i32_e32 v20, 31, v35
	v_ashrrev_i32_e32 v21, 31, v36
	;; [unrolled: 1-line block ×3, first 2 shown]
	v_add_lshl_u32 v23, v29, v38, 2
	v_add_lshl_u32 v24, v29, v39, 2
	v_not_b32_e32 v32, v40
	v_not_b32_e32 v33, v41
	v_not_b32_e32 v34, v52
	v_cmp_gt_i32_e64 s12, 0, v43
	v_not_b32_e32 v35, v43
	v_cmp_gt_i32_e64 s13, 0, v44
	v_not_b32_e32 v36, v44
	;; [unrolled: 2-line block ×3, first 2 shown]
	v_add_lshl_u32 v26, v29, v46, 2
	v_cmp_gt_i32_e64 s15, 0, v47
	v_not_b32_e32 v38, v47
	v_cmp_gt_i32_e64 s16, 0, v48
	v_not_b32_e32 v39, v48
	v_add_lshl_u32 v27, v29, v50, 2
	v_cmp_gt_i32_e64 s18, 0, v51
	v_not_b32_e32 v43, v51
	v_cmp_gt_i32_e64 s19, 0, v53
	v_not_b32_e32 v44, v53
	v_cmp_gt_i32_e64 s20, 0, v54
	v_not_b32_e32 v45, v54
	v_not_b32_e32 v46, v56
	v_not_b32_e32 v47, v57
	;; [unrolled: 1-line block ×5, first 2 shown]
	v_cmp_gt_i32_e64 s27, 0, v31
	v_not_b32_e32 v53, v31
	v_not_b32_e32 v54, v62
	v_cndmask_b32_e64 v31, 0, 1, s29
	v_cmp_gt_i32_e64 s29, 0, v52
	v_add_lshl_u32 v28, v29, v55, 2
	v_cmp_gt_i32_e64 s21, 0, v56
	v_cmp_gt_i32_e64 s22, 0, v57
	;; [unrolled: 1-line block ×3, first 2 shown]
	v_add_lshl_u32 v29, v29, v59, 2
	v_cmp_gt_i32_e64 s25, 0, v60
	v_cmp_gt_i32_e64 s26, 0, v61
	;; [unrolled: 1-line block ×3, first 2 shown]
	v_ashrrev_i32_e32 v32, 31, v32
	v_ashrrev_i32_e32 v33, 31, v33
	;; [unrolled: 1-line block ×20, first 2 shown]
	v_cndmask_b32_e64 v52, 0, 1, s29
	s_branch .LBB65_2
.LBB65_1:                               ;   in Loop: Header=BB65_2 Depth=1
	s_or_b32 exec_lo, exec_lo, s29
	s_waitcnt lgkmcnt(0)
	v_add_nc_u32_e32 v60, v61, v60
	s_add_i32 s42, s42, -1
	s_delay_alu instid0(SALU_CYCLE_1)
	s_cmp_eq_u32 s42, 0
	ds_bpermute_b32 v60, v3, v60
	s_waitcnt lgkmcnt(0)
	v_cndmask_b32_e32 v60, v60, v61, vcc_lo
	ds_store_b32 v1, v60 offset:32
	s_waitcnt lgkmcnt(0)
	s_barrier
	buffer_gl0_inv
	s_cbranch_scc1 .LBB65_30
.LBB65_2:                               ; =>This Inner Loop Header: Depth=1
	v_cmp_ne_u32_e64 s29, 0, v13
	v_cmp_ne_u32_e64 s30, 0, v15
	ds_store_b32 v1, v2 offset:32
	s_waitcnt lgkmcnt(0)
	s_barrier
	v_xor_b32_e32 v53, s29, v12
	v_cmp_ne_u32_e64 s29, 0, v16
	v_xor_b32_e32 v54, s30, v20
	v_cmp_ne_u32_e64 s30, 0, v17
	buffer_gl0_inv
	v_and_b32_e32 v53, exec_lo, v53
	v_xor_b32_e32 v55, s29, v21
	; wave barrier
	s_delay_alu instid0(VALU_DEP_2) | instskip(SKIP_1) | instid1(VALU_DEP_2)
	v_and_b32_e32 v53, v53, v54
	v_xor_b32_e32 v54, s30, v22
	v_and_b32_e32 v53, v53, v55
	s_delay_alu instid0(VALU_DEP_1) | instskip(NEXT) | instid1(VALU_DEP_1)
	v_and_b32_e32 v53, v53, v54
	v_mbcnt_lo_u32_b32 v54, v53, 0
	v_cmp_ne_u32_e64 s30, 0, v53
	s_delay_alu instid0(VALU_DEP_2) | instskip(NEXT) | instid1(VALU_DEP_1)
	v_cmp_eq_u32_e64 s29, 0, v54
	s_and_b32 s30, s30, s29
	s_delay_alu instid0(SALU_CYCLE_1)
	s_and_saveexec_b32 s29, s30
	s_cbranch_execz .LBB65_4
; %bb.3:                                ;   in Loop: Header=BB65_2 Depth=1
	v_bcnt_u32_b32 v53, v53, 0
	ds_store_b32 v23, v53 offset:32
.LBB65_4:                               ;   in Loop: Header=BB65_2 Depth=1
	s_or_b32 exec_lo, exec_lo, s29
	v_cmp_ne_u32_e64 s29, 0, v19
	v_cmp_ne_u32_e64 s30, 0, v30
	; wave barrier
	s_delay_alu instid0(VALU_DEP_2) | instskip(SKIP_1) | instid1(VALU_DEP_3)
	v_xor_b32_e32 v53, s29, v18
	v_cmp_ne_u32_e64 s29, 0, v31
	v_xor_b32_e32 v54, s30, v32
	v_cmp_ne_u32_e64 s30, 0, v52
	s_delay_alu instid0(VALU_DEP_4) | instskip(NEXT) | instid1(VALU_DEP_4)
	v_and_b32_e32 v53, exec_lo, v53
	v_xor_b32_e32 v55, s29, v33
	s_delay_alu instid0(VALU_DEP_2) | instskip(NEXT) | instid1(VALU_DEP_4)
	v_and_b32_e32 v53, v53, v54
	v_xor_b32_e32 v54, s30, v34
	s_delay_alu instid0(VALU_DEP_2) | instskip(SKIP_2) | instid1(VALU_DEP_1)
	v_and_b32_e32 v55, v53, v55
	ds_load_b32 v53, v24 offset:32
	; wave barrier
	v_and_b32_e32 v54, v55, v54
	v_mbcnt_lo_u32_b32 v55, v54, 0
	v_cmp_ne_u32_e64 s30, 0, v54
	s_delay_alu instid0(VALU_DEP_2) | instskip(NEXT) | instid1(VALU_DEP_1)
	v_cmp_eq_u32_e64 s29, 0, v55
	s_and_b32 s30, s30, s29
	s_delay_alu instid0(SALU_CYCLE_1)
	s_and_saveexec_b32 s29, s30
	s_cbranch_execz .LBB65_6
; %bb.5:                                ;   in Loop: Header=BB65_2 Depth=1
	s_waitcnt lgkmcnt(0)
	v_bcnt_u32_b32 v53, v54, v53
	ds_store_b32 v24, v53 offset:32
.LBB65_6:                               ;   in Loop: Header=BB65_2 Depth=1
	s_or_b32 exec_lo, exec_lo, s29
	s_waitcnt lgkmcnt(0)
	v_cndmask_b32_e64 v53, 0, 1, s31
	v_cndmask_b32_e64 v54, 0, 1, s12
	v_cndmask_b32_e64 v55, 0, 1, s14
	; wave barrier
	s_delay_alu instid0(VALU_DEP_3) | instskip(SKIP_1) | instid1(VALU_DEP_4)
	v_cmp_ne_u32_e64 s29, 0, v53
	v_cndmask_b32_e64 v53, 0, 1, s13
	v_cmp_ne_u32_e64 s30, 0, v54
	s_delay_alu instid0(VALU_DEP_3) | instskip(NEXT) | instid1(VALU_DEP_3)
	v_xor_b32_e32 v54, s29, v5
	v_cmp_ne_u32_e64 s29, 0, v53
	s_delay_alu instid0(VALU_DEP_3) | instskip(SKIP_1) | instid1(VALU_DEP_4)
	v_xor_b32_e32 v53, s30, v35
	v_cmp_ne_u32_e64 s30, 0, v55
	v_and_b32_e32 v54, exec_lo, v54
	s_delay_alu instid0(VALU_DEP_4) | instskip(NEXT) | instid1(VALU_DEP_2)
	v_xor_b32_e32 v55, s29, v36
	v_and_b32_e32 v53, v54, v53
	s_delay_alu instid0(VALU_DEP_4) | instskip(NEXT) | instid1(VALU_DEP_2)
	v_xor_b32_e32 v54, s30, v37
	v_and_b32_e32 v55, v53, v55
	ds_load_b32 v53, v25 offset:32
	; wave barrier
	v_and_b32_e32 v54, v55, v54
	s_delay_alu instid0(VALU_DEP_1) | instskip(SKIP_1) | instid1(VALU_DEP_2)
	v_mbcnt_lo_u32_b32 v55, v54, 0
	v_cmp_ne_u32_e64 s30, 0, v54
	v_cmp_eq_u32_e64 s29, 0, v55
	s_delay_alu instid0(VALU_DEP_1) | instskip(NEXT) | instid1(SALU_CYCLE_1)
	s_and_b32 s30, s30, s29
	s_and_saveexec_b32 s29, s30
	s_cbranch_execz .LBB65_8
; %bb.7:                                ;   in Loop: Header=BB65_2 Depth=1
	s_waitcnt lgkmcnt(0)
	v_bcnt_u32_b32 v53, v54, v53
	ds_store_b32 v25, v53 offset:32
.LBB65_8:                               ;   in Loop: Header=BB65_2 Depth=1
	s_or_b32 exec_lo, exec_lo, s29
	s_waitcnt lgkmcnt(0)
	v_cndmask_b32_e64 v53, 0, 1, s33
	v_cndmask_b32_e64 v54, 0, 1, s15
	;; [unrolled: 1-line block ×3, first 2 shown]
	; wave barrier
	s_delay_alu instid0(VALU_DEP_3) | instskip(SKIP_1) | instid1(VALU_DEP_4)
	v_cmp_ne_u32_e64 s29, 0, v53
	v_cndmask_b32_e64 v53, 0, 1, s16
	v_cmp_ne_u32_e64 s30, 0, v54
	s_delay_alu instid0(VALU_DEP_3) | instskip(NEXT) | instid1(VALU_DEP_3)
	v_xor_b32_e32 v54, s29, v6
	v_cmp_ne_u32_e64 s29, 0, v53
	s_delay_alu instid0(VALU_DEP_3) | instskip(SKIP_1) | instid1(VALU_DEP_4)
	v_xor_b32_e32 v53, s30, v38
	v_cmp_ne_u32_e64 s30, 0, v55
	v_and_b32_e32 v54, exec_lo, v54
	s_delay_alu instid0(VALU_DEP_4) | instskip(NEXT) | instid1(VALU_DEP_2)
	v_xor_b32_e32 v55, s29, v39
	v_and_b32_e32 v53, v54, v53
	s_delay_alu instid0(VALU_DEP_4) | instskip(NEXT) | instid1(VALU_DEP_2)
	v_xor_b32_e32 v54, s30, v40
	v_and_b32_e32 v55, v53, v55
	ds_load_b32 v53, v26 offset:32
	; wave barrier
	v_and_b32_e32 v54, v55, v54
	s_delay_alu instid0(VALU_DEP_1) | instskip(SKIP_1) | instid1(VALU_DEP_2)
	v_mbcnt_lo_u32_b32 v55, v54, 0
	v_cmp_ne_u32_e64 s30, 0, v54
	v_cmp_eq_u32_e64 s29, 0, v55
	s_delay_alu instid0(VALU_DEP_1) | instskip(NEXT) | instid1(SALU_CYCLE_1)
	s_and_b32 s30, s30, s29
	s_and_saveexec_b32 s29, s30
	s_cbranch_execz .LBB65_10
; %bb.9:                                ;   in Loop: Header=BB65_2 Depth=1
	s_waitcnt lgkmcnt(0)
	v_bcnt_u32_b32 v53, v54, v53
	ds_store_b32 v26, v53 offset:32
.LBB65_10:                              ;   in Loop: Header=BB65_2 Depth=1
	s_or_b32 exec_lo, exec_lo, s29
	; wave barrier
	s_waitcnt lgkmcnt(0)
	s_barrier
	buffer_gl0_inv
	ds_load_b32 v53, v1 offset:32
	s_waitcnt lgkmcnt(0)
	v_mov_b32_dpp v54, v53 row_shr:1 row_mask:0xf bank_mask:0xf
	s_delay_alu instid0(VALU_DEP_1) | instskip(NEXT) | instid1(VALU_DEP_1)
	v_cndmask_b32_e64 v54, v54, 0, s0
	v_add_nc_u32_e32 v53, v54, v53
	s_delay_alu instid0(VALU_DEP_1) | instskip(NEXT) | instid1(VALU_DEP_1)
	v_mov_b32_dpp v54, v53 row_shr:2 row_mask:0xf bank_mask:0xf
	v_cndmask_b32_e64 v54, 0, v54, s1
	s_delay_alu instid0(VALU_DEP_1) | instskip(NEXT) | instid1(VALU_DEP_1)
	v_add_nc_u32_e32 v53, v53, v54
	v_mov_b32_dpp v54, v53 row_shr:4 row_mask:0xf bank_mask:0xf
	s_delay_alu instid0(VALU_DEP_1) | instskip(NEXT) | instid1(VALU_DEP_1)
	v_cndmask_b32_e64 v54, 0, v54, s2
	v_add_nc_u32_e32 v53, v53, v54
	s_delay_alu instid0(VALU_DEP_1) | instskip(NEXT) | instid1(VALU_DEP_1)
	v_mov_b32_dpp v54, v53 row_shr:8 row_mask:0xf bank_mask:0xf
	v_cndmask_b32_e64 v54, 0, v54, s3
	s_delay_alu instid0(VALU_DEP_1) | instskip(SKIP_3) | instid1(VALU_DEP_1)
	v_add_nc_u32_e32 v53, v53, v54
	ds_swizzle_b32 v54, v53 offset:swizzle(BROADCAST,32,15)
	s_waitcnt lgkmcnt(0)
	v_cndmask_b32_e64 v54, v54, 0, s4
	v_add_nc_u32_e32 v53, v53, v54
	s_and_saveexec_b32 s29, s10
	s_delay_alu instid0(SALU_CYCLE_1)
	s_xor_b32 s29, exec_lo, s29
	s_cbranch_execz .LBB65_12
; %bb.11:                               ;   in Loop: Header=BB65_2 Depth=1
	ds_store_b32 v0, v53
.LBB65_12:                              ;   in Loop: Header=BB65_2 Depth=1
	s_or_b32 exec_lo, exec_lo, s29
	s_waitcnt lgkmcnt(0)
	s_barrier
	buffer_gl0_inv
	s_and_saveexec_b32 s29, s5
	s_cbranch_execz .LBB65_14
; %bb.13:                               ;   in Loop: Header=BB65_2 Depth=1
	ds_load_b32 v54, v1
	s_waitcnt lgkmcnt(0)
	v_mov_b32_dpp v55, v54 row_shr:1 row_mask:0xf bank_mask:0xf
	s_delay_alu instid0(VALU_DEP_1) | instskip(NEXT) | instid1(VALU_DEP_1)
	v_cndmask_b32_e64 v55, v55, 0, s7
	v_add_nc_u32_e32 v54, v55, v54
	s_delay_alu instid0(VALU_DEP_1) | instskip(NEXT) | instid1(VALU_DEP_1)
	v_mov_b32_dpp v55, v54 row_shr:2 row_mask:0xf bank_mask:0xf
	v_cndmask_b32_e64 v55, 0, v55, s8
	s_delay_alu instid0(VALU_DEP_1) | instskip(NEXT) | instid1(VALU_DEP_1)
	v_add_nc_u32_e32 v54, v54, v55
	v_mov_b32_dpp v55, v54 row_shr:4 row_mask:0xf bank_mask:0xf
	s_delay_alu instid0(VALU_DEP_1) | instskip(NEXT) | instid1(VALU_DEP_1)
	v_cndmask_b32_e64 v55, 0, v55, s9
	v_add_nc_u32_e32 v54, v54, v55
	ds_store_b32 v1, v54
.LBB65_14:                              ;   in Loop: Header=BB65_2 Depth=1
	s_or_b32 exec_lo, exec_lo, s29
	v_mov_b32_e32 v54, 0
	s_waitcnt lgkmcnt(0)
	s_barrier
	buffer_gl0_inv
	s_and_saveexec_b32 s29, s6
	s_cbranch_execz .LBB65_16
; %bb.15:                               ;   in Loop: Header=BB65_2 Depth=1
	ds_load_b32 v54, v4
.LBB65_16:                              ;   in Loop: Header=BB65_2 Depth=1
	s_or_b32 exec_lo, exec_lo, s29
	s_waitcnt lgkmcnt(0)
	v_add_nc_u32_e32 v53, v54, v53
	v_cndmask_b32_e64 v55, 0, 1, s36
	v_cndmask_b32_e64 v56, 0, 1, s18
	;; [unrolled: 1-line block ×3, first 2 shown]
	ds_bpermute_b32 v53, v3, v53
	v_cmp_ne_u32_e64 s29, 0, v55
	v_cndmask_b32_e64 v55, 0, 1, s19
	v_cmp_ne_u32_e64 s30, 0, v56
	s_delay_alu instid0(VALU_DEP_3) | instskip(NEXT) | instid1(VALU_DEP_3)
	v_xor_b32_e32 v56, s29, v7
	v_cmp_ne_u32_e64 s29, 0, v55
	s_delay_alu instid0(VALU_DEP_3) | instskip(SKIP_1) | instid1(VALU_DEP_4)
	v_xor_b32_e32 v55, s30, v41
	v_cmp_ne_u32_e64 s30, 0, v57
	v_and_b32_e32 v56, exec_lo, v56
	s_delay_alu instid0(VALU_DEP_4) | instskip(SKIP_2) | instid1(VALU_DEP_3)
	v_xor_b32_e32 v57, s29, v42
	s_waitcnt lgkmcnt(0)
	v_cndmask_b32_e32 v53, v53, v54, vcc_lo
	v_and_b32_e32 v55, v56, v55
	v_xor_b32_e32 v56, s30, v43
	ds_store_b32 v1, v53 offset:32
	v_and_b32_e32 v55, v55, v57
	s_waitcnt lgkmcnt(0)
	s_barrier
	buffer_gl0_inv
	ds_store_b32 v1, v2 offset:32
	v_and_b32_e32 v54, v55, v56
	s_waitcnt lgkmcnt(0)
	s_barrier
	buffer_gl0_inv
	v_mbcnt_lo_u32_b32 v53, v54, 0
	v_cmp_ne_u32_e64 s30, 0, v54
	; wave barrier
	s_delay_alu instid0(VALU_DEP_2) | instskip(NEXT) | instid1(VALU_DEP_1)
	v_cmp_eq_u32_e64 s29, 0, v53
	s_and_b32 s30, s30, s29
	s_delay_alu instid0(SALU_CYCLE_1)
	s_and_saveexec_b32 s29, s30
	s_cbranch_execz .LBB65_18
; %bb.17:                               ;   in Loop: Header=BB65_2 Depth=1
	v_bcnt_u32_b32 v54, v54, 0
	ds_store_b32 v27, v54 offset:32
.LBB65_18:                              ;   in Loop: Header=BB65_2 Depth=1
	s_or_b32 exec_lo, exec_lo, s29
	v_cndmask_b32_e64 v54, 0, 1, s37
	v_cndmask_b32_e64 v55, 0, 1, s21
	v_cndmask_b32_e64 v56, 0, 1, s23
	; wave barrier
	s_delay_alu instid0(VALU_DEP_3) | instskip(SKIP_1) | instid1(VALU_DEP_4)
	v_cmp_ne_u32_e64 s29, 0, v54
	v_cndmask_b32_e64 v54, 0, 1, s22
	v_cmp_ne_u32_e64 s30, 0, v55
	s_delay_alu instid0(VALU_DEP_3) | instskip(NEXT) | instid1(VALU_DEP_3)
	v_xor_b32_e32 v55, s29, v8
	v_cmp_ne_u32_e64 s29, 0, v54
	s_delay_alu instid0(VALU_DEP_3) | instskip(SKIP_1) | instid1(VALU_DEP_4)
	v_xor_b32_e32 v54, s30, v44
	v_cmp_ne_u32_e64 s30, 0, v56
	v_and_b32_e32 v55, exec_lo, v55
	s_delay_alu instid0(VALU_DEP_4) | instskip(NEXT) | instid1(VALU_DEP_2)
	v_xor_b32_e32 v56, s29, v45
	v_and_b32_e32 v54, v55, v54
	s_delay_alu instid0(VALU_DEP_4) | instskip(NEXT) | instid1(VALU_DEP_2)
	v_xor_b32_e32 v55, s30, v46
	v_and_b32_e32 v56, v54, v56
	ds_load_b32 v54, v28 offset:32
	; wave barrier
	v_and_b32_e32 v56, v56, v55
	s_delay_alu instid0(VALU_DEP_1) | instskip(SKIP_1) | instid1(VALU_DEP_2)
	v_mbcnt_lo_u32_b32 v55, v56, 0
	v_cmp_ne_u32_e64 s30, 0, v56
	v_cmp_eq_u32_e64 s29, 0, v55
	s_delay_alu instid0(VALU_DEP_1) | instskip(NEXT) | instid1(SALU_CYCLE_1)
	s_and_b32 s30, s30, s29
	s_and_saveexec_b32 s29, s30
	s_cbranch_execz .LBB65_20
; %bb.19:                               ;   in Loop: Header=BB65_2 Depth=1
	s_waitcnt lgkmcnt(0)
	v_bcnt_u32_b32 v56, v56, v54
	ds_store_b32 v28, v56 offset:32
.LBB65_20:                              ;   in Loop: Header=BB65_2 Depth=1
	s_or_b32 exec_lo, exec_lo, s29
	v_cndmask_b32_e64 v56, 0, 1, s40
	v_cndmask_b32_e64 v57, 0, 1, s24
	v_cndmask_b32_e64 v58, 0, 1, s26
	; wave barrier
	s_delay_alu instid0(VALU_DEP_3) | instskip(SKIP_1) | instid1(VALU_DEP_4)
	v_cmp_ne_u32_e64 s29, 0, v56
	v_cndmask_b32_e64 v56, 0, 1, s25
	v_cmp_ne_u32_e64 s30, 0, v57
	s_delay_alu instid0(VALU_DEP_3) | instskip(NEXT) | instid1(VALU_DEP_3)
	v_xor_b32_e32 v57, s29, v9
	v_cmp_ne_u32_e64 s29, 0, v56
	s_delay_alu instid0(VALU_DEP_3) | instskip(SKIP_1) | instid1(VALU_DEP_4)
	v_xor_b32_e32 v56, s30, v47
	v_cmp_ne_u32_e64 s30, 0, v58
	v_and_b32_e32 v57, exec_lo, v57
	s_delay_alu instid0(VALU_DEP_4) | instskip(NEXT) | instid1(VALU_DEP_2)
	v_xor_b32_e32 v58, s29, v48
	v_and_b32_e32 v56, v57, v56
	s_delay_alu instid0(VALU_DEP_4) | instskip(NEXT) | instid1(VALU_DEP_2)
	v_xor_b32_e32 v57, s30, v49
	v_and_b32_e32 v58, v56, v58
	ds_load_b32 v56, v29 offset:32
	; wave barrier
	v_and_b32_e32 v58, v58, v57
	s_delay_alu instid0(VALU_DEP_1) | instskip(SKIP_1) | instid1(VALU_DEP_2)
	v_mbcnt_lo_u32_b32 v57, v58, 0
	v_cmp_ne_u32_e64 s30, 0, v58
	v_cmp_eq_u32_e64 s29, 0, v57
	s_delay_alu instid0(VALU_DEP_1) | instskip(NEXT) | instid1(SALU_CYCLE_1)
	s_and_b32 s30, s30, s29
	s_and_saveexec_b32 s29, s30
	s_cbranch_execz .LBB65_22
; %bb.21:                               ;   in Loop: Header=BB65_2 Depth=1
	s_waitcnt lgkmcnt(0)
	v_bcnt_u32_b32 v58, v58, v56
	ds_store_b32 v29, v58 offset:32
.LBB65_22:                              ;   in Loop: Header=BB65_2 Depth=1
	;; [unrolled: 38-line block ×3, first 2 shown]
	s_or_b32 exec_lo, exec_lo, s29
	; wave barrier
	s_waitcnt lgkmcnt(0)
	s_barrier
	buffer_gl0_inv
	ds_load_b32 v60, v1 offset:32
	s_waitcnt lgkmcnt(0)
	v_mov_b32_dpp v61, v60 row_shr:1 row_mask:0xf bank_mask:0xf
	s_delay_alu instid0(VALU_DEP_1) | instskip(NEXT) | instid1(VALU_DEP_1)
	v_cndmask_b32_e64 v61, v61, 0, s0
	v_add_nc_u32_e32 v60, v61, v60
	s_delay_alu instid0(VALU_DEP_1) | instskip(NEXT) | instid1(VALU_DEP_1)
	v_mov_b32_dpp v61, v60 row_shr:2 row_mask:0xf bank_mask:0xf
	v_cndmask_b32_e64 v61, 0, v61, s1
	s_delay_alu instid0(VALU_DEP_1) | instskip(NEXT) | instid1(VALU_DEP_1)
	v_add_nc_u32_e32 v60, v60, v61
	v_mov_b32_dpp v61, v60 row_shr:4 row_mask:0xf bank_mask:0xf
	s_delay_alu instid0(VALU_DEP_1) | instskip(NEXT) | instid1(VALU_DEP_1)
	v_cndmask_b32_e64 v61, 0, v61, s2
	v_add_nc_u32_e32 v60, v60, v61
	s_delay_alu instid0(VALU_DEP_1) | instskip(NEXT) | instid1(VALU_DEP_1)
	v_mov_b32_dpp v61, v60 row_shr:8 row_mask:0xf bank_mask:0xf
	v_cndmask_b32_e64 v61, 0, v61, s3
	s_delay_alu instid0(VALU_DEP_1) | instskip(SKIP_3) | instid1(VALU_DEP_1)
	v_add_nc_u32_e32 v60, v60, v61
	ds_swizzle_b32 v61, v60 offset:swizzle(BROADCAST,32,15)
	s_waitcnt lgkmcnt(0)
	v_cndmask_b32_e64 v61, v61, 0, s4
	v_add_nc_u32_e32 v60, v60, v61
	s_and_saveexec_b32 s29, s10
	s_cbranch_execz .LBB65_26
; %bb.25:                               ;   in Loop: Header=BB65_2 Depth=1
	ds_store_b32 v0, v60
.LBB65_26:                              ;   in Loop: Header=BB65_2 Depth=1
	s_or_b32 exec_lo, exec_lo, s29
	s_waitcnt lgkmcnt(0)
	s_barrier
	buffer_gl0_inv
	s_and_saveexec_b32 s29, s5
	s_cbranch_execz .LBB65_28
; %bb.27:                               ;   in Loop: Header=BB65_2 Depth=1
	ds_load_b32 v61, v1
	s_waitcnt lgkmcnt(0)
	v_mov_b32_dpp v62, v61 row_shr:1 row_mask:0xf bank_mask:0xf
	s_delay_alu instid0(VALU_DEP_1) | instskip(NEXT) | instid1(VALU_DEP_1)
	v_cndmask_b32_e64 v62, v62, 0, s7
	v_add_nc_u32_e32 v61, v62, v61
	s_delay_alu instid0(VALU_DEP_1) | instskip(NEXT) | instid1(VALU_DEP_1)
	v_mov_b32_dpp v62, v61 row_shr:2 row_mask:0xf bank_mask:0xf
	v_cndmask_b32_e64 v62, 0, v62, s8
	s_delay_alu instid0(VALU_DEP_1) | instskip(NEXT) | instid1(VALU_DEP_1)
	v_add_nc_u32_e32 v61, v61, v62
	v_mov_b32_dpp v62, v61 row_shr:4 row_mask:0xf bank_mask:0xf
	s_delay_alu instid0(VALU_DEP_1) | instskip(NEXT) | instid1(VALU_DEP_1)
	v_cndmask_b32_e64 v62, 0, v62, s9
	v_add_nc_u32_e32 v61, v61, v62
	ds_store_b32 v1, v61
.LBB65_28:                              ;   in Loop: Header=BB65_2 Depth=1
	s_or_b32 exec_lo, exec_lo, s29
	v_mov_b32_e32 v61, 0
	s_waitcnt lgkmcnt(0)
	s_barrier
	buffer_gl0_inv
	s_and_saveexec_b32 s29, s6
	s_cbranch_execz .LBB65_1
; %bb.29:                               ;   in Loop: Header=BB65_2 Depth=1
	ds_load_b32 v61, v4
	s_branch .LBB65_1
.LBB65_30:
	ds_load_b32 v0, v27 offset:32
	ds_load_b32 v3, v28 offset:32
	;; [unrolled: 1-line block ×4, first 2 shown]
	s_lshl_b64 s[0:1], s[34:35], 2
	s_delay_alu instid0(SALU_CYCLE_1)
	s_add_u32 s0, s38, s0
	s_addc_u32 s1, s39, s1
	s_waitcnt lgkmcnt(3)
	v_add_nc_u32_e32 v2, v0, v53
	s_waitcnt lgkmcnt(2)
	v_add3_u32 v3, v55, v54, v3
	s_waitcnt lgkmcnt(1)
	v_add3_u32 v4, v57, v56, v4
	s_waitcnt lgkmcnt(0)
	v_add3_u32 v5, v59, v58, v5
	v_lshlrev_b32_e32 v0, 2, v1
	global_store_b128 v0, v[2:5], s[0:1]
	s_nop 0
	s_sendmsg sendmsg(MSG_DEALLOC_VGPRS)
	s_endpgm
	.section	.rodata,"a",@progbits
	.p2align	6, 0x0
	.amdhsa_kernel _Z11rank_kernelIhLj4ELb0EL18RadixRankAlgorithm2ELj256ELj4ELj10EEvPKT_Pi
		.amdhsa_group_segment_fixed_size 1056
		.amdhsa_private_segment_fixed_size 0
		.amdhsa_kernarg_size 272
		.amdhsa_user_sgpr_count 15
		.amdhsa_user_sgpr_dispatch_ptr 0
		.amdhsa_user_sgpr_queue_ptr 0
		.amdhsa_user_sgpr_kernarg_segment_ptr 1
		.amdhsa_user_sgpr_dispatch_id 0
		.amdhsa_user_sgpr_private_segment_size 0
		.amdhsa_wavefront_size32 1
		.amdhsa_uses_dynamic_stack 0
		.amdhsa_enable_private_segment 0
		.amdhsa_system_sgpr_workgroup_id_x 1
		.amdhsa_system_sgpr_workgroup_id_y 0
		.amdhsa_system_sgpr_workgroup_id_z 0
		.amdhsa_system_sgpr_workgroup_info 0
		.amdhsa_system_vgpr_workitem_id 2
		.amdhsa_next_free_vgpr 63
		.amdhsa_next_free_sgpr 43
		.amdhsa_reserve_vcc 1
		.amdhsa_float_round_mode_32 0
		.amdhsa_float_round_mode_16_64 0
		.amdhsa_float_denorm_mode_32 3
		.amdhsa_float_denorm_mode_16_64 3
		.amdhsa_dx10_clamp 1
		.amdhsa_ieee_mode 1
		.amdhsa_fp16_overflow 0
		.amdhsa_workgroup_processor_mode 1
		.amdhsa_memory_ordered 1
		.amdhsa_forward_progress 0
		.amdhsa_shared_vgpr_count 0
		.amdhsa_exception_fp_ieee_invalid_op 0
		.amdhsa_exception_fp_denorm_src 0
		.amdhsa_exception_fp_ieee_div_zero 0
		.amdhsa_exception_fp_ieee_overflow 0
		.amdhsa_exception_fp_ieee_underflow 0
		.amdhsa_exception_fp_ieee_inexact 0
		.amdhsa_exception_int_div_zero 0
	.end_amdhsa_kernel
	.section	.text._Z11rank_kernelIhLj4ELb0EL18RadixRankAlgorithm2ELj256ELj4ELj10EEvPKT_Pi,"axG",@progbits,_Z11rank_kernelIhLj4ELb0EL18RadixRankAlgorithm2ELj256ELj4ELj10EEvPKT_Pi,comdat
.Lfunc_end65:
	.size	_Z11rank_kernelIhLj4ELb0EL18RadixRankAlgorithm2ELj256ELj4ELj10EEvPKT_Pi, .Lfunc_end65-_Z11rank_kernelIhLj4ELb0EL18RadixRankAlgorithm2ELj256ELj4ELj10EEvPKT_Pi
                                        ; -- End function
	.section	.AMDGPU.csdata,"",@progbits
; Kernel info:
; codeLenInByte = 3532
; NumSgprs: 45
; NumVgprs: 63
; ScratchSize: 0
; MemoryBound: 0
; FloatMode: 240
; IeeeMode: 1
; LDSByteSize: 1056 bytes/workgroup (compile time only)
; SGPRBlocks: 5
; VGPRBlocks: 7
; NumSGPRsForWavesPerEU: 45
; NumVGPRsForWavesPerEU: 63
; Occupancy: 16
; WaveLimiterHint : 0
; COMPUTE_PGM_RSRC2:SCRATCH_EN: 0
; COMPUTE_PGM_RSRC2:USER_SGPR: 15
; COMPUTE_PGM_RSRC2:TRAP_HANDLER: 0
; COMPUTE_PGM_RSRC2:TGID_X_EN: 1
; COMPUTE_PGM_RSRC2:TGID_Y_EN: 0
; COMPUTE_PGM_RSRC2:TGID_Z_EN: 0
; COMPUTE_PGM_RSRC2:TIDIG_COMP_CNT: 2
	.section	.text._Z11rank_kernelIhLj4ELb0EL18RadixRankAlgorithm0ELj256ELj8ELj10EEvPKT_Pi,"axG",@progbits,_Z11rank_kernelIhLj4ELb0EL18RadixRankAlgorithm0ELj256ELj8ELj10EEvPKT_Pi,comdat
	.protected	_Z11rank_kernelIhLj4ELb0EL18RadixRankAlgorithm0ELj256ELj8ELj10EEvPKT_Pi ; -- Begin function _Z11rank_kernelIhLj4ELb0EL18RadixRankAlgorithm0ELj256ELj8ELj10EEvPKT_Pi
	.globl	_Z11rank_kernelIhLj4ELb0EL18RadixRankAlgorithm0ELj256ELj8ELj10EEvPKT_Pi
	.p2align	8
	.type	_Z11rank_kernelIhLj4ELb0EL18RadixRankAlgorithm0ELj256ELj8ELj10EEvPKT_Pi,@function
_Z11rank_kernelIhLj4ELb0EL18RadixRankAlgorithm0ELj256ELj8ELj10EEvPKT_Pi: ; @_Z11rank_kernelIhLj4ELb0EL18RadixRankAlgorithm0ELj256ELj8ELj10EEvPKT_Pi
; %bb.0:
	s_load_b128 s[16:19], s[0:1], 0x0
	s_lshl_b32 s12, s15, 11
	v_dual_mov_b32 v2, 0 :: v_dual_lshlrev_b32 v1, 3, v0
	v_mbcnt_lo_u32_b32 v5, -1, 0
	v_or_b32_e32 v8, 31, v0
	v_lshrrev_b32_e32 v12, 3, v0
	v_lshlrev_b32_e32 v3, 5, v0
	v_cmp_gt_u32_e32 vcc_lo, 8, v0
	v_add_nc_u32_e32 v9, -1, v5
	v_and_b32_e32 v6, 15, v5
	v_and_b32_e32 v13, 7, v5
	;; [unrolled: 1-line block ×3, first 2 shown]
	v_cmp_eq_u32_e64 s7, v8, v0
	v_cmp_gt_i32_e64 s8, 0, v9
	v_cmp_eq_u32_e64 s2, 0, v6
	v_cmp_lt_u32_e64 s3, 1, v6
	v_cmp_lt_u32_e64 s4, 3, v6
	v_cmp_lt_u32_e64 s5, 7, v6
	v_cndmask_b32_e64 v6, v9, v5, s8
	s_waitcnt lgkmcnt(0)
	s_add_u32 s0, s16, s12
	s_addc_u32 s1, s17, 0
	v_cmp_eq_u32_e64 s8, 0, v13
	global_load_b64 v[10:11], v1, s[0:1]
	v_cmp_lt_u32_e64 s9, 1, v13
	v_cmp_lt_u32_e64 s10, 3, v13
	v_cmp_eq_u32_e64 s1, 0, v5
	v_cmp_eq_u32_e64 s6, 0, v7
	v_and_b32_e32 v5, 28, v12
	v_cmp_lt_u32_e64 s0, 31, v0
	v_lshlrev_b32_e32 v4, 2, v0
	v_lshlrev_b32_e32 v6, 2, v6
	s_mov_b32 s13, 0
	s_delay_alu instid0(SALU_CYCLE_1)
	s_mov_b32 s14, s13
	s_waitcnt vmcnt(0)
	v_lshlrev_b32_e32 v13, 8, v10
	v_lshrrev_b32_e32 v14, 2, v10
	v_lshrrev_b32_e32 v18, 16, v10
	;; [unrolled: 1-line block ×3, first 2 shown]
	v_lshlrev_b32_e32 v20, 8, v11
	v_lshrrev_b32_e32 v21, 2, v11
	v_lshrrev_b32_e32 v23, 10, v11
	;; [unrolled: 1-line block ×6, first 2 shown]
	v_lshlrev_b32_e32 v9, 4, v10
	v_lshrrev_b32_e32 v12, 6, v10
	v_lshrrev_b32_e32 v15, 10, v10
	;; [unrolled: 1-line block ×3, first 2 shown]
	v_and_or_b32 v22, 0x700, v11, v0
	v_lshrrev_b32_e32 v24, 18, v11
	v_lshrrev_b32_e32 v25, 16, v11
	;; [unrolled: 1-line block ×7, first 2 shown]
	v_lshlrev_b32_e32 v32, 4, v11
	v_lshrrev_b32_e32 v33, 6, v11
	v_lshrrev_b32_e32 v34, 4, v11
	;; [unrolled: 1-line block ×5, first 2 shown]
	v_and_or_b32 v13, 0x700, v13, v0
	v_and_b32_e32 v14, 2, v14
	v_and_or_b32 v18, 0x700, v18, v0
	v_and_b32_e32 v19, 2, v19
	;; [unrolled: 2-line block ×3, first 2 shown]
	v_and_b32_e32 v23, 2, v23
	v_and_or_b32 v31, 0x700, v31, v0
	v_and_or_b32 v38, 0x700, v38, v0
	v_and_or_b32 v16, 0x700, v10, v0
	v_and_or_b32 v9, 0x700, v9, v0
	v_and_b32_e32 v12, 2, v12
	v_and_b32_e32 v39, 2, v15
	v_and_or_b32 v40, 0x700, v7, v0
	v_and_b32_e32 v17, 2, v17
	v_and_or_b32 v8, 0x700, v8, v0
	;; [unrolled: 2-line block ×8, first 2 shown]
	v_and_b32_e32 v37, 2, v37
	v_lshl_or_b32 v15, v13, 2, v14
	v_lshl_or_b32 v18, v18, 2, v19
	;; [unrolled: 1-line block ×4, first 2 shown]
	v_alignbit_b32 v13, v31, v10, 30
	v_alignbit_b32 v23, v38, v11, 30
	v_lshl_or_b32 v7, v9, 2, v12
	v_lshl_or_b32 v16, v16, 2, v39
	;; [unrolled: 1-line block ×10, first 2 shown]
	v_and_b32_e32 v14, 0x1ffe, v13
	v_and_b32_e32 v13, 0x1ffe, v23
	v_or_b32_e32 v0, 0xffffff00, v0
	s_branch .LBB66_2
.LBB66_1:                               ;   in Loop: Header=BB66_2 Depth=1
	s_or_b32 exec_lo, exec_lo, s11
	s_waitcnt lgkmcnt(0)
	v_add_nc_u32_e32 v31, v32, v31
	ds_load_b32 v35, v2 offset:8220
	ds_load_2addr_b32 v[33:34], v3 offset1:1
	s_add_i32 s14, s14, 1
	s_delay_alu instid0(SALU_CYCLE_1)
	s_cmp_eq_u32 s14, 10
	ds_bpermute_b32 v31, v6, v31
	s_waitcnt lgkmcnt(0)
	v_cndmask_b32_e64 v36, v31, v32, s1
	ds_load_2addr_b32 v[31:32], v3 offset0:2 offset1:3
	v_lshl_add_u32 v37, v35, 16, v36
	ds_load_2addr_b32 v[35:36], v3 offset0:4 offset1:5
	ds_load_b32 v38, v3 offset:24
	v_add_nc_u32_e32 v33, v37, v33
	s_delay_alu instid0(VALU_DEP_1) | instskip(SKIP_1) | instid1(VALU_DEP_1)
	v_add_nc_u32_e32 v34, v34, v33
	s_waitcnt lgkmcnt(2)
	v_add_nc_u32_e32 v31, v31, v34
	s_delay_alu instid0(VALU_DEP_1) | instskip(SKIP_1) | instid1(VALU_DEP_1)
	v_add_nc_u32_e32 v32, v32, v31
	s_waitcnt lgkmcnt(1)
	;; [unrolled: 4-line block ×3, first 2 shown]
	v_add_nc_u32_e32 v38, v38, v36
	ds_store_2addr_b32 v3, v37, v33 offset1:1
	ds_store_2addr_b32 v3, v34, v31 offset0:2 offset1:3
	ds_store_2addr_b32 v3, v32, v35 offset0:4 offset1:5
	;; [unrolled: 1-line block ×3, first 2 shown]
	s_waitcnt lgkmcnt(0)
	s_barrier
	buffer_gl0_inv
	s_cbranch_scc1 .LBB66_18
.LBB66_2:                               ; =>This Loop Header: Depth=1
                                        ;     Child Loop BB66_3 Depth 2
                                        ;     Child Loop BB66_11 Depth 2
	s_delay_alu instid0(VALU_DEP_1)
	v_mov_b32_e32 v23, v0
	v_mov_b32_e32 v24, v4
	s_mov_b32 s15, 0
.LBB66_3:                               ;   Parent Loop BB66_2 Depth=1
                                        ; =>  This Inner Loop Header: Depth=2
	s_delay_alu instid0(VALU_DEP_2) | instskip(SKIP_3) | instid1(VALU_DEP_1)
	v_add_nc_u32_e32 v23, 0x100, v23
	ds_store_b32 v24, v2
	v_add_nc_u32_e32 v24, 0x400, v24
	v_cmp_lt_u32_e64 s11, 0x6ff, v23
	s_or_b32 s15, s11, s15
	s_delay_alu instid0(SALU_CYCLE_1)
	s_and_not1_b32 exec_lo, exec_lo, s15
	s_cbranch_execnz .LBB66_3
; %bb.4:                                ;   in Loop: Header=BB66_2 Depth=1
	s_or_b32 exec_lo, exec_lo, s15
	ds_load_u16 v23, v15
	s_waitcnt lgkmcnt(0)
	v_add_nc_u16 v23, v23, 1
	ds_store_b16 v15, v23
	ds_load_u16 v23, v16
	s_waitcnt lgkmcnt(0)
	v_add_nc_u16 v23, v23, 1
	ds_store_b16 v16, v23
	ds_load_u16 v23, v17
	s_waitcnt lgkmcnt(0)
	v_add_nc_u16 v23, v23, 1
	ds_store_b16 v17, v23
	ds_load_u16 v23, v18
	s_waitcnt lgkmcnt(0)
	v_add_nc_u16 v23, v23, 1
	ds_store_b16 v18, v23
	ds_load_u16 v23, v19
	s_waitcnt lgkmcnt(0)
	v_add_nc_u16 v23, v23, 1
	ds_store_b16 v19, v23
	ds_load_u16 v23, v20
	s_waitcnt lgkmcnt(0)
	v_add_nc_u16 v23, v23, 1
	ds_store_b16 v20, v23
	ds_load_u16 v23, v21
	s_waitcnt lgkmcnt(0)
	v_add_nc_u16 v23, v23, 1
	ds_store_b16 v21, v23
	ds_load_u16 v23, v22
	s_waitcnt lgkmcnt(0)
	v_add_nc_u16 v23, v23, 1
	ds_store_b16 v22, v23
	s_waitcnt lgkmcnt(0)
	s_barrier
	buffer_gl0_inv
	ds_load_2addr_b32 v[23:24], v3 offset1:1
	ds_load_2addr_b32 v[25:26], v3 offset0:2 offset1:3
	ds_load_2addr_b32 v[27:28], v3 offset0:4 offset1:5
	;; [unrolled: 1-line block ×3, first 2 shown]
	s_waitcnt lgkmcnt(3)
	v_add_nc_u32_e32 v23, v24, v23
	s_waitcnt lgkmcnt(2)
	s_delay_alu instid0(VALU_DEP_1) | instskip(SKIP_1) | instid1(VALU_DEP_1)
	v_add3_u32 v23, v23, v25, v26
	s_waitcnt lgkmcnt(1)
	v_add3_u32 v23, v23, v27, v28
	s_waitcnt lgkmcnt(0)
	s_delay_alu instid0(VALU_DEP_1) | instskip(NEXT) | instid1(VALU_DEP_1)
	v_add3_u32 v23, v23, v29, v30
	v_mov_b32_dpp v24, v23 row_shr:1 row_mask:0xf bank_mask:0xf
	s_delay_alu instid0(VALU_DEP_1) | instskip(NEXT) | instid1(VALU_DEP_1)
	v_cndmask_b32_e64 v24, v24, 0, s2
	v_add_nc_u32_e32 v23, v24, v23
	s_delay_alu instid0(VALU_DEP_1) | instskip(NEXT) | instid1(VALU_DEP_1)
	v_mov_b32_dpp v24, v23 row_shr:2 row_mask:0xf bank_mask:0xf
	v_cndmask_b32_e64 v24, 0, v24, s3
	s_delay_alu instid0(VALU_DEP_1) | instskip(NEXT) | instid1(VALU_DEP_1)
	v_add_nc_u32_e32 v23, v23, v24
	v_mov_b32_dpp v24, v23 row_shr:4 row_mask:0xf bank_mask:0xf
	s_delay_alu instid0(VALU_DEP_1) | instskip(NEXT) | instid1(VALU_DEP_1)
	v_cndmask_b32_e64 v24, 0, v24, s4
	v_add_nc_u32_e32 v23, v23, v24
	s_delay_alu instid0(VALU_DEP_1) | instskip(NEXT) | instid1(VALU_DEP_1)
	v_mov_b32_dpp v24, v23 row_shr:8 row_mask:0xf bank_mask:0xf
	v_cndmask_b32_e64 v24, 0, v24, s5
	s_delay_alu instid0(VALU_DEP_1) | instskip(SKIP_3) | instid1(VALU_DEP_1)
	v_add_nc_u32_e32 v23, v23, v24
	ds_swizzle_b32 v24, v23 offset:swizzle(BROADCAST,32,15)
	s_waitcnt lgkmcnt(0)
	v_cndmask_b32_e64 v24, v24, 0, s6
	v_add_nc_u32_e32 v23, v23, v24
	s_and_saveexec_b32 s11, s7
	s_cbranch_execz .LBB66_6
; %bb.5:                                ;   in Loop: Header=BB66_2 Depth=1
	ds_store_b32 v5, v23 offset:8192
.LBB66_6:                               ;   in Loop: Header=BB66_2 Depth=1
	s_or_b32 exec_lo, exec_lo, s11
	s_waitcnt lgkmcnt(0)
	s_barrier
	buffer_gl0_inv
	s_and_saveexec_b32 s11, vcc_lo
	s_cbranch_execz .LBB66_8
; %bb.7:                                ;   in Loop: Header=BB66_2 Depth=1
	ds_load_b32 v24, v4 offset:8192
	s_waitcnt lgkmcnt(0)
	v_mov_b32_dpp v25, v24 row_shr:1 row_mask:0xf bank_mask:0xf
	s_delay_alu instid0(VALU_DEP_1) | instskip(NEXT) | instid1(VALU_DEP_1)
	v_cndmask_b32_e64 v25, v25, 0, s8
	v_add_nc_u32_e32 v24, v25, v24
	s_delay_alu instid0(VALU_DEP_1) | instskip(NEXT) | instid1(VALU_DEP_1)
	v_mov_b32_dpp v25, v24 row_shr:2 row_mask:0xf bank_mask:0xf
	v_cndmask_b32_e64 v25, 0, v25, s9
	s_delay_alu instid0(VALU_DEP_1) | instskip(NEXT) | instid1(VALU_DEP_1)
	v_add_nc_u32_e32 v24, v24, v25
	v_mov_b32_dpp v25, v24 row_shr:4 row_mask:0xf bank_mask:0xf
	s_delay_alu instid0(VALU_DEP_1) | instskip(NEXT) | instid1(VALU_DEP_1)
	v_cndmask_b32_e64 v25, 0, v25, s10
	v_add_nc_u32_e32 v24, v24, v25
	ds_store_b32 v4, v24 offset:8192
.LBB66_8:                               ;   in Loop: Header=BB66_2 Depth=1
	s_or_b32 exec_lo, exec_lo, s11
	v_mov_b32_e32 v24, 0
	s_waitcnt lgkmcnt(0)
	s_barrier
	buffer_gl0_inv
	s_and_saveexec_b32 s11, s0
	s_cbranch_execz .LBB66_10
; %bb.9:                                ;   in Loop: Header=BB66_2 Depth=1
	ds_load_b32 v24, v5 offset:8188
.LBB66_10:                              ;   in Loop: Header=BB66_2 Depth=1
	s_or_b32 exec_lo, exec_lo, s11
	s_waitcnt lgkmcnt(0)
	v_add_nc_u32_e32 v23, v24, v23
	ds_load_b32 v27, v2 offset:8220
	ds_load_2addr_b32 v[25:26], v3 offset1:1
	s_mov_b32 s15, 0
	ds_bpermute_b32 v23, v6, v23
	s_waitcnt lgkmcnt(0)
	v_cndmask_b32_e64 v28, v23, v24, s1
	ds_load_2addr_b32 v[23:24], v3 offset0:2 offset1:3
	v_lshl_add_u32 v29, v27, 16, v28
	ds_load_2addr_b32 v[27:28], v3 offset0:4 offset1:5
	ds_load_b32 v30, v3 offset:24
	v_add_nc_u32_e32 v25, v29, v25
	s_delay_alu instid0(VALU_DEP_1) | instskip(SKIP_1) | instid1(VALU_DEP_1)
	v_add_nc_u32_e32 v26, v26, v25
	s_waitcnt lgkmcnt(2)
	v_add_nc_u32_e32 v31, v23, v26
	v_mov_b32_e32 v23, v0
	s_delay_alu instid0(VALU_DEP_2) | instskip(SKIP_1) | instid1(VALU_DEP_1)
	v_add_nc_u32_e32 v32, v24, v31
	s_waitcnt lgkmcnt(1)
	v_dual_mov_b32 v24, v4 :: v_dual_add_nc_u32 v27, v27, v32
	s_delay_alu instid0(VALU_DEP_1) | instskip(SKIP_1) | instid1(VALU_DEP_1)
	v_add_nc_u32_e32 v28, v28, v27
	s_waitcnt lgkmcnt(0)
	v_add_nc_u32_e32 v30, v30, v28
	ds_store_2addr_b32 v3, v29, v25 offset1:1
	ds_store_2addr_b32 v3, v26, v31 offset0:2 offset1:3
	ds_store_2addr_b32 v3, v32, v27 offset0:4 offset1:5
	;; [unrolled: 1-line block ×3, first 2 shown]
	s_waitcnt lgkmcnt(0)
	s_barrier
	buffer_gl0_inv
.LBB66_11:                              ;   Parent Loop BB66_2 Depth=1
                                        ; =>  This Inner Loop Header: Depth=2
	v_add_nc_u32_e32 v23, 0x100, v23
	ds_store_b32 v24, v2
	v_add_nc_u32_e32 v24, 0x400, v24
	v_cmp_lt_u32_e64 s11, 0x6ff, v23
	s_delay_alu instid0(VALU_DEP_1) | instskip(NEXT) | instid1(SALU_CYCLE_1)
	s_or_b32 s15, s11, s15
	s_and_not1_b32 exec_lo, exec_lo, s15
	s_cbranch_execnz .LBB66_11
; %bb.12:                               ;   in Loop: Header=BB66_2 Depth=1
	s_or_b32 exec_lo, exec_lo, s15
	ds_load_u16 v23, v7
	s_waitcnt lgkmcnt(0)
	v_add_nc_u16 v24, v23, 1
	ds_store_b16 v7, v24
	ds_load_u16 v24, v8
	s_waitcnt lgkmcnt(0)
	v_add_nc_u16 v25, v24, 1
	ds_store_b16 v8, v25
	;; [unrolled: 4-line block ×8, first 2 shown]
	s_waitcnt lgkmcnt(0)
	s_barrier
	buffer_gl0_inv
	ds_load_2addr_b32 v[31:32], v3 offset1:1
	ds_load_2addr_b32 v[33:34], v3 offset0:2 offset1:3
	ds_load_2addr_b32 v[35:36], v3 offset0:4 offset1:5
	;; [unrolled: 1-line block ×3, first 2 shown]
	s_waitcnt lgkmcnt(3)
	v_add_nc_u32_e32 v31, v32, v31
	s_waitcnt lgkmcnt(2)
	s_delay_alu instid0(VALU_DEP_1) | instskip(SKIP_1) | instid1(VALU_DEP_1)
	v_add3_u32 v31, v31, v33, v34
	s_waitcnt lgkmcnt(1)
	v_add3_u32 v31, v31, v35, v36
	s_waitcnt lgkmcnt(0)
	s_delay_alu instid0(VALU_DEP_1) | instskip(NEXT) | instid1(VALU_DEP_1)
	v_add3_u32 v31, v31, v37, v38
	v_mov_b32_dpp v32, v31 row_shr:1 row_mask:0xf bank_mask:0xf
	s_delay_alu instid0(VALU_DEP_1) | instskip(NEXT) | instid1(VALU_DEP_1)
	v_cndmask_b32_e64 v32, v32, 0, s2
	v_add_nc_u32_e32 v31, v32, v31
	s_delay_alu instid0(VALU_DEP_1) | instskip(NEXT) | instid1(VALU_DEP_1)
	v_mov_b32_dpp v32, v31 row_shr:2 row_mask:0xf bank_mask:0xf
	v_cndmask_b32_e64 v32, 0, v32, s3
	s_delay_alu instid0(VALU_DEP_1) | instskip(NEXT) | instid1(VALU_DEP_1)
	v_add_nc_u32_e32 v31, v31, v32
	v_mov_b32_dpp v32, v31 row_shr:4 row_mask:0xf bank_mask:0xf
	s_delay_alu instid0(VALU_DEP_1) | instskip(NEXT) | instid1(VALU_DEP_1)
	v_cndmask_b32_e64 v32, 0, v32, s4
	v_add_nc_u32_e32 v31, v31, v32
	s_delay_alu instid0(VALU_DEP_1) | instskip(NEXT) | instid1(VALU_DEP_1)
	v_mov_b32_dpp v32, v31 row_shr:8 row_mask:0xf bank_mask:0xf
	v_cndmask_b32_e64 v32, 0, v32, s5
	s_delay_alu instid0(VALU_DEP_1) | instskip(SKIP_3) | instid1(VALU_DEP_1)
	v_add_nc_u32_e32 v31, v31, v32
	ds_swizzle_b32 v32, v31 offset:swizzle(BROADCAST,32,15)
	s_waitcnt lgkmcnt(0)
	v_cndmask_b32_e64 v32, v32, 0, s6
	v_add_nc_u32_e32 v31, v31, v32
	s_and_saveexec_b32 s11, s7
	s_cbranch_execz .LBB66_14
; %bb.13:                               ;   in Loop: Header=BB66_2 Depth=1
	ds_store_b32 v5, v31 offset:8192
.LBB66_14:                              ;   in Loop: Header=BB66_2 Depth=1
	s_or_b32 exec_lo, exec_lo, s11
	s_waitcnt lgkmcnt(0)
	s_barrier
	buffer_gl0_inv
	s_and_saveexec_b32 s11, vcc_lo
	s_cbranch_execz .LBB66_16
; %bb.15:                               ;   in Loop: Header=BB66_2 Depth=1
	ds_load_b32 v32, v4 offset:8192
	s_waitcnt lgkmcnt(0)
	v_mov_b32_dpp v33, v32 row_shr:1 row_mask:0xf bank_mask:0xf
	s_delay_alu instid0(VALU_DEP_1) | instskip(NEXT) | instid1(VALU_DEP_1)
	v_cndmask_b32_e64 v33, v33, 0, s8
	v_add_nc_u32_e32 v32, v33, v32
	s_delay_alu instid0(VALU_DEP_1) | instskip(NEXT) | instid1(VALU_DEP_1)
	v_mov_b32_dpp v33, v32 row_shr:2 row_mask:0xf bank_mask:0xf
	v_cndmask_b32_e64 v33, 0, v33, s9
	s_delay_alu instid0(VALU_DEP_1) | instskip(NEXT) | instid1(VALU_DEP_1)
	v_add_nc_u32_e32 v32, v32, v33
	v_mov_b32_dpp v33, v32 row_shr:4 row_mask:0xf bank_mask:0xf
	s_delay_alu instid0(VALU_DEP_1) | instskip(NEXT) | instid1(VALU_DEP_1)
	v_cndmask_b32_e64 v33, 0, v33, s10
	v_add_nc_u32_e32 v32, v32, v33
	ds_store_b32 v4, v32 offset:8192
.LBB66_16:                              ;   in Loop: Header=BB66_2 Depth=1
	s_or_b32 exec_lo, exec_lo, s11
	v_mov_b32_e32 v32, 0
	s_waitcnt lgkmcnt(0)
	s_barrier
	buffer_gl0_inv
	s_and_saveexec_b32 s11, s0
	s_cbranch_execz .LBB66_1
; %bb.17:                               ;   in Loop: Header=BB66_2 Depth=1
	ds_load_b32 v32, v5 offset:8188
	s_branch .LBB66_1
.LBB66_18:
	ds_load_u16 v0, v7
	ds_load_u16 v3, v8
	;; [unrolled: 1-line block ×8, first 2 shown]
	v_and_b32_e32 v2, 0xffff, v23
	v_and_b32_e32 v10, 0xffff, v24
	;; [unrolled: 1-line block ×8, first 2 shown]
	s_lshl_b64 s[0:1], s[12:13], 2
	s_delay_alu instid0(SALU_CYCLE_1)
	s_add_u32 s0, s18, s0
	s_addc_u32 s1, s19, s1
	s_waitcnt lgkmcnt(7)
	v_add_nc_u32_e32 v2, v0, v2
	s_waitcnt lgkmcnt(6)
	v_add_nc_u32_e32 v3, v3, v10
	;; [unrolled: 2-line block ×4, first 2 shown]
	v_lshlrev_b32_e32 v0, 2, v1
	s_waitcnt lgkmcnt(3)
	v_add_nc_u32_e32 v6, v6, v13
	s_waitcnt lgkmcnt(2)
	v_add_nc_u32_e32 v7, v7, v14
	;; [unrolled: 2-line block ×4, first 2 shown]
	s_clause 0x1
	global_store_b128 v0, v[2:5], s[0:1]
	global_store_b128 v0, v[6:9], s[0:1] offset:16
	s_nop 0
	s_sendmsg sendmsg(MSG_DEALLOC_VGPRS)
	s_endpgm
	.section	.rodata,"a",@progbits
	.p2align	6, 0x0
	.amdhsa_kernel _Z11rank_kernelIhLj4ELb0EL18RadixRankAlgorithm0ELj256ELj8ELj10EEvPKT_Pi
		.amdhsa_group_segment_fixed_size 8224
		.amdhsa_private_segment_fixed_size 0
		.amdhsa_kernarg_size 16
		.amdhsa_user_sgpr_count 15
		.amdhsa_user_sgpr_dispatch_ptr 0
		.amdhsa_user_sgpr_queue_ptr 0
		.amdhsa_user_sgpr_kernarg_segment_ptr 1
		.amdhsa_user_sgpr_dispatch_id 0
		.amdhsa_user_sgpr_private_segment_size 0
		.amdhsa_wavefront_size32 1
		.amdhsa_uses_dynamic_stack 0
		.amdhsa_enable_private_segment 0
		.amdhsa_system_sgpr_workgroup_id_x 1
		.amdhsa_system_sgpr_workgroup_id_y 0
		.amdhsa_system_sgpr_workgroup_id_z 0
		.amdhsa_system_sgpr_workgroup_info 0
		.amdhsa_system_vgpr_workitem_id 0
		.amdhsa_next_free_vgpr 41
		.amdhsa_next_free_sgpr 20
		.amdhsa_reserve_vcc 1
		.amdhsa_float_round_mode_32 0
		.amdhsa_float_round_mode_16_64 0
		.amdhsa_float_denorm_mode_32 3
		.amdhsa_float_denorm_mode_16_64 3
		.amdhsa_dx10_clamp 1
		.amdhsa_ieee_mode 1
		.amdhsa_fp16_overflow 0
		.amdhsa_workgroup_processor_mode 1
		.amdhsa_memory_ordered 1
		.amdhsa_forward_progress 0
		.amdhsa_shared_vgpr_count 0
		.amdhsa_exception_fp_ieee_invalid_op 0
		.amdhsa_exception_fp_denorm_src 0
		.amdhsa_exception_fp_ieee_div_zero 0
		.amdhsa_exception_fp_ieee_overflow 0
		.amdhsa_exception_fp_ieee_underflow 0
		.amdhsa_exception_fp_ieee_inexact 0
		.amdhsa_exception_int_div_zero 0
	.end_amdhsa_kernel
	.section	.text._Z11rank_kernelIhLj4ELb0EL18RadixRankAlgorithm0ELj256ELj8ELj10EEvPKT_Pi,"axG",@progbits,_Z11rank_kernelIhLj4ELb0EL18RadixRankAlgorithm0ELj256ELj8ELj10EEvPKT_Pi,comdat
.Lfunc_end66:
	.size	_Z11rank_kernelIhLj4ELb0EL18RadixRankAlgorithm0ELj256ELj8ELj10EEvPKT_Pi, .Lfunc_end66-_Z11rank_kernelIhLj4ELb0EL18RadixRankAlgorithm0ELj256ELj8ELj10EEvPKT_Pi
                                        ; -- End function
	.section	.AMDGPU.csdata,"",@progbits
; Kernel info:
; codeLenInByte = 2760
; NumSgprs: 22
; NumVgprs: 41
; ScratchSize: 0
; MemoryBound: 0
; FloatMode: 240
; IeeeMode: 1
; LDSByteSize: 8224 bytes/workgroup (compile time only)
; SGPRBlocks: 2
; VGPRBlocks: 5
; NumSGPRsForWavesPerEU: 22
; NumVGPRsForWavesPerEU: 41
; Occupancy: 16
; WaveLimiterHint : 0
; COMPUTE_PGM_RSRC2:SCRATCH_EN: 0
; COMPUTE_PGM_RSRC2:USER_SGPR: 15
; COMPUTE_PGM_RSRC2:TRAP_HANDLER: 0
; COMPUTE_PGM_RSRC2:TGID_X_EN: 1
; COMPUTE_PGM_RSRC2:TGID_Y_EN: 0
; COMPUTE_PGM_RSRC2:TGID_Z_EN: 0
; COMPUTE_PGM_RSRC2:TIDIG_COMP_CNT: 0
	.section	.text._Z11rank_kernelIhLj4ELb0EL18RadixRankAlgorithm1ELj256ELj8ELj10EEvPKT_Pi,"axG",@progbits,_Z11rank_kernelIhLj4ELb0EL18RadixRankAlgorithm1ELj256ELj8ELj10EEvPKT_Pi,comdat
	.protected	_Z11rank_kernelIhLj4ELb0EL18RadixRankAlgorithm1ELj256ELj8ELj10EEvPKT_Pi ; -- Begin function _Z11rank_kernelIhLj4ELb0EL18RadixRankAlgorithm1ELj256ELj8ELj10EEvPKT_Pi
	.globl	_Z11rank_kernelIhLj4ELb0EL18RadixRankAlgorithm1ELj256ELj8ELj10EEvPKT_Pi
	.p2align	8
	.type	_Z11rank_kernelIhLj4ELb0EL18RadixRankAlgorithm1ELj256ELj8ELj10EEvPKT_Pi,@function
_Z11rank_kernelIhLj4ELb0EL18RadixRankAlgorithm1ELj256ELj8ELj10EEvPKT_Pi: ; @_Z11rank_kernelIhLj4ELb0EL18RadixRankAlgorithm1ELj256ELj8ELj10EEvPKT_Pi
; %bb.0:
	s_load_b128 s[16:19], s[0:1], 0x0
	s_lshl_b32 s12, s15, 11
	v_dual_mov_b32 v9, 0 :: v_dual_lshlrev_b32 v8, 3, v0
	v_mbcnt_lo_u32_b32 v3, -1, 0
	v_or_b32_e32 v6, 31, v0
	v_lshrrev_b32_e32 v12, 3, v0
	v_lshlrev_b32_e32 v10, 5, v0
	v_cmp_gt_u32_e32 vcc_lo, 8, v0
	v_add_nc_u32_e32 v7, -1, v3
	v_and_b32_e32 v4, 15, v3
	v_and_b32_e32 v5, 16, v3
	;; [unrolled: 1-line block ×3, first 2 shown]
	v_cmp_eq_u32_e64 s7, v6, v0
	v_cmp_gt_i32_e64 s8, 0, v7
	v_cmp_eq_u32_e64 s2, 0, v4
	v_cmp_lt_u32_e64 s3, 1, v4
	v_cmp_lt_u32_e64 s4, 3, v4
	;; [unrolled: 1-line block ×3, first 2 shown]
	v_cmp_eq_u32_e64 s6, 0, v5
	s_waitcnt lgkmcnt(0)
	s_add_u32 s0, s16, s12
	s_addc_u32 s1, s17, 0
	v_cmp_lt_u32_e64 s9, 1, v13
	global_load_b64 v[1:2], v8, s[0:1]
	v_cmp_eq_u32_e64 s1, 0, v3
	v_cndmask_b32_e64 v3, v7, v3, s8
	v_cmp_eq_u32_e64 s8, 0, v13
	v_cmp_lt_u32_e64 s10, 3, v13
	v_cmp_lt_u32_e64 s0, 31, v0
	v_lshlrev_b32_e32 v11, 2, v0
	v_lshlrev_b32_e32 v13, 2, v3
	v_and_b32_e32 v12, 28, v12
	s_mov_b32 s13, 0
	s_delay_alu instid0(SALU_CYCLE_1)
	s_mov_b32 s14, s13
	s_waitcnt vmcnt(0)
	v_lshrrev_b32_e32 v31, 20, v1
	v_lshrrev_b32_e32 v38, 20, v2
	;; [unrolled: 1-line block ×4, first 2 shown]
	v_lshlrev_b32_e32 v5, 4, v1
	v_lshrrev_b32_e32 v6, 6, v1
	v_lshlrev_b32_e32 v7, 8, v1
	v_lshrrev_b32_e32 v14, 2, v1
	v_lshrrev_b32_e32 v16, 10, v1
	;; [unrolled: 1-line block ×5, first 2 shown]
	v_lshlrev_b32_e32 v20, 8, v2
	v_lshrrev_b32_e32 v21, 2, v2
	v_lshrrev_b32_e32 v22, 10, v2
	;; [unrolled: 1-line block ×9, first 2 shown]
	v_lshlrev_b32_e32 v32, 4, v2
	v_lshrrev_b32_e32 v33, 6, v2
	v_lshrrev_b32_e32 v34, 4, v2
	;; [unrolled: 1-line block ×5, first 2 shown]
	v_and_or_b32 v31, 0x700, v31, v0
	v_and_or_b32 v38, 0x700, v38, v0
	;; [unrolled: 1-line block ×5, first 2 shown]
	v_and_b32_e32 v6, 2, v6
	v_and_or_b32 v7, 0x700, v7, v0
	v_and_b32_e32 v39, 2, v14
	v_and_b32_e32 v16, 2, v16
	v_and_or_b32 v3, 0x700, v3, v0
	v_and_b32_e32 v17, 2, v17
	v_and_or_b32 v18, 0x700, v18, v0
	;; [unrolled: 2-line block ×3, first 2 shown]
	v_and_b32_e32 v21, 2, v21
	v_and_b32_e32 v40, 2, v22
	v_and_or_b32 v4, 0x700, v4, v0
	v_and_b32_e32 v41, 2, v23
	v_and_or_b32 v42, 0x700, v24, v0
	;; [unrolled: 2-line block ×7, first 2 shown]
	v_and_b32_e32 v37, 2, v37
	v_alignbit_b32 v1, v31, v1, 30
	v_alignbit_b32 v2, v38, v2, 30
	v_lshl_or_b32 v14, v5, 2, v6
	v_lshl_or_b32 v22, v7, 2, v39
	;; [unrolled: 1-line block ×14, first 2 shown]
	v_and_b32_e32 v21, 0x1ffe, v1
	v_and_b32_e32 v20, 0x1ffe, v2
	v_or_b32_e32 v30, 0xffffff00, v0
	s_branch .LBB67_2
.LBB67_1:                               ;   in Loop: Header=BB67_2 Depth=1
	s_or_b32 exec_lo, exec_lo, s11
	s_waitcnt lgkmcnt(0)
	v_add_nc_u32_e32 v1, v39, v1
	ds_load_b32 v40, v9 offset:8220
	s_add_i32 s14, s14, 1
	s_delay_alu instid0(SALU_CYCLE_1) | instskip(SKIP_3) | instid1(VALU_DEP_1)
	s_cmp_eq_u32 s14, 10
	ds_bpermute_b32 v1, v13, v1
	s_waitcnt lgkmcnt(0)
	v_cndmask_b32_e64 v1, v1, v39, s1
	v_lshl_add_u32 v1, v40, 16, v1
	s_delay_alu instid0(VALU_DEP_1) | instskip(NEXT) | instid1(VALU_DEP_1)
	v_add_nc_u32_e32 v6, v1, v6
	v_add_nc_u32_e32 v7, v6, v7
	s_delay_alu instid0(VALU_DEP_1) | instskip(NEXT) | instid1(VALU_DEP_1)
	v_add_nc_u32_e32 v4, v7, v4
	v_add_nc_u32_e32 v5, v4, v5
	;; [unrolled: 3-line block ×3, first 2 shown]
	s_delay_alu instid0(VALU_DEP_1)
	v_add_nc_u32_e32 v0, v3, v0
	ds_store_2addr_b32 v10, v1, v6 offset1:1
	ds_store_2addr_b32 v10, v7, v4 offset0:2 offset1:3
	ds_store_2addr_b32 v10, v5, v2 offset0:4 offset1:5
	;; [unrolled: 1-line block ×3, first 2 shown]
	s_waitcnt lgkmcnt(0)
	s_barrier
	buffer_gl0_inv
	s_cbranch_scc1 .LBB67_18
.LBB67_2:                               ; =>This Loop Header: Depth=1
                                        ;     Child Loop BB67_3 Depth 2
                                        ;     Child Loop BB67_11 Depth 2
	s_delay_alu instid0(VALU_DEP_1)
	v_dual_mov_b32 v0, v30 :: v_dual_mov_b32 v1, v11
	s_mov_b32 s15, 0
.LBB67_3:                               ;   Parent Loop BB67_2 Depth=1
                                        ; =>  This Inner Loop Header: Depth=2
	s_delay_alu instid0(VALU_DEP_1) | instskip(SKIP_3) | instid1(VALU_DEP_1)
	v_add_nc_u32_e32 v0, 0x100, v0
	ds_store_b32 v1, v9
	v_add_nc_u32_e32 v1, 0x400, v1
	v_cmp_lt_u32_e64 s11, 0x6ff, v0
	s_or_b32 s15, s11, s15
	s_delay_alu instid0(SALU_CYCLE_1)
	s_and_not1_b32 exec_lo, exec_lo, s15
	s_cbranch_execnz .LBB67_3
; %bb.4:                                ;   in Loop: Header=BB67_2 Depth=1
	s_or_b32 exec_lo, exec_lo, s15
	ds_load_u16 v0, v22
	s_waitcnt lgkmcnt(0)
	v_add_nc_u16 v0, v0, 1
	ds_store_b16 v22, v0
	ds_load_u16 v0, v23
	s_waitcnt lgkmcnt(0)
	v_add_nc_u16 v0, v0, 1
	ds_store_b16 v23, v0
	;; [unrolled: 4-line block ×8, first 2 shown]
	s_waitcnt lgkmcnt(0)
	s_barrier
	buffer_gl0_inv
	ds_load_2addr_b32 v[6:7], v10 offset1:1
	ds_load_2addr_b32 v[4:5], v10 offset0:2 offset1:3
	ds_load_2addr_b32 v[2:3], v10 offset0:4 offset1:5
	;; [unrolled: 1-line block ×3, first 2 shown]
	s_waitcnt lgkmcnt(3)
	v_add_nc_u32_e32 v31, v7, v6
	s_waitcnt lgkmcnt(2)
	s_delay_alu instid0(VALU_DEP_1) | instskip(SKIP_1) | instid1(VALU_DEP_1)
	v_add3_u32 v31, v31, v4, v5
	s_waitcnt lgkmcnt(1)
	v_add3_u32 v31, v31, v2, v3
	s_waitcnt lgkmcnt(0)
	s_delay_alu instid0(VALU_DEP_1) | instskip(NEXT) | instid1(VALU_DEP_1)
	v_add3_u32 v1, v31, v0, v1
	v_mov_b32_dpp v31, v1 row_shr:1 row_mask:0xf bank_mask:0xf
	s_delay_alu instid0(VALU_DEP_1) | instskip(NEXT) | instid1(VALU_DEP_1)
	v_cndmask_b32_e64 v31, v31, 0, s2
	v_add_nc_u32_e32 v1, v31, v1
	s_delay_alu instid0(VALU_DEP_1) | instskip(NEXT) | instid1(VALU_DEP_1)
	v_mov_b32_dpp v31, v1 row_shr:2 row_mask:0xf bank_mask:0xf
	v_cndmask_b32_e64 v31, 0, v31, s3
	s_delay_alu instid0(VALU_DEP_1) | instskip(NEXT) | instid1(VALU_DEP_1)
	v_add_nc_u32_e32 v1, v1, v31
	v_mov_b32_dpp v31, v1 row_shr:4 row_mask:0xf bank_mask:0xf
	s_delay_alu instid0(VALU_DEP_1) | instskip(NEXT) | instid1(VALU_DEP_1)
	v_cndmask_b32_e64 v31, 0, v31, s4
	v_add_nc_u32_e32 v1, v1, v31
	s_delay_alu instid0(VALU_DEP_1) | instskip(NEXT) | instid1(VALU_DEP_1)
	v_mov_b32_dpp v31, v1 row_shr:8 row_mask:0xf bank_mask:0xf
	v_cndmask_b32_e64 v31, 0, v31, s5
	s_delay_alu instid0(VALU_DEP_1) | instskip(SKIP_3) | instid1(VALU_DEP_1)
	v_add_nc_u32_e32 v1, v1, v31
	ds_swizzle_b32 v31, v1 offset:swizzle(BROADCAST,32,15)
	s_waitcnt lgkmcnt(0)
	v_cndmask_b32_e64 v31, v31, 0, s6
	v_add_nc_u32_e32 v1, v1, v31
	s_and_saveexec_b32 s11, s7
	s_cbranch_execz .LBB67_6
; %bb.5:                                ;   in Loop: Header=BB67_2 Depth=1
	ds_store_b32 v12, v1 offset:8192
.LBB67_6:                               ;   in Loop: Header=BB67_2 Depth=1
	s_or_b32 exec_lo, exec_lo, s11
	s_waitcnt lgkmcnt(0)
	s_barrier
	buffer_gl0_inv
	s_and_saveexec_b32 s11, vcc_lo
	s_cbranch_execz .LBB67_8
; %bb.7:                                ;   in Loop: Header=BB67_2 Depth=1
	ds_load_b32 v31, v11 offset:8192
	s_waitcnt lgkmcnt(0)
	v_mov_b32_dpp v32, v31 row_shr:1 row_mask:0xf bank_mask:0xf
	s_delay_alu instid0(VALU_DEP_1) | instskip(NEXT) | instid1(VALU_DEP_1)
	v_cndmask_b32_e64 v32, v32, 0, s8
	v_add_nc_u32_e32 v31, v32, v31
	s_delay_alu instid0(VALU_DEP_1) | instskip(NEXT) | instid1(VALU_DEP_1)
	v_mov_b32_dpp v32, v31 row_shr:2 row_mask:0xf bank_mask:0xf
	v_cndmask_b32_e64 v32, 0, v32, s9
	s_delay_alu instid0(VALU_DEP_1) | instskip(NEXT) | instid1(VALU_DEP_1)
	v_add_nc_u32_e32 v31, v31, v32
	v_mov_b32_dpp v32, v31 row_shr:4 row_mask:0xf bank_mask:0xf
	s_delay_alu instid0(VALU_DEP_1) | instskip(NEXT) | instid1(VALU_DEP_1)
	v_cndmask_b32_e64 v32, 0, v32, s10
	v_add_nc_u32_e32 v31, v31, v32
	ds_store_b32 v11, v31 offset:8192
.LBB67_8:                               ;   in Loop: Header=BB67_2 Depth=1
	s_or_b32 exec_lo, exec_lo, s11
	v_mov_b32_e32 v31, 0
	s_waitcnt lgkmcnt(0)
	s_barrier
	buffer_gl0_inv
	s_and_saveexec_b32 s11, s0
	s_cbranch_execz .LBB67_10
; %bb.9:                                ;   in Loop: Header=BB67_2 Depth=1
	ds_load_b32 v31, v12 offset:8188
.LBB67_10:                              ;   in Loop: Header=BB67_2 Depth=1
	s_or_b32 exec_lo, exec_lo, s11
	s_waitcnt lgkmcnt(0)
	v_add_nc_u32_e32 v1, v31, v1
	ds_load_b32 v32, v9 offset:8220
	s_mov_b32 s15, 0
	ds_bpermute_b32 v1, v13, v1
	s_waitcnt lgkmcnt(0)
	v_cndmask_b32_e64 v1, v1, v31, s1
	s_delay_alu instid0(VALU_DEP_1) | instskip(NEXT) | instid1(VALU_DEP_1)
	v_lshl_add_u32 v31, v32, 16, v1
	v_dual_mov_b32 v1, v30 :: v_dual_add_nc_u32 v6, v31, v6
	s_delay_alu instid0(VALU_DEP_1) | instskip(NEXT) | instid1(VALU_DEP_1)
	v_add_nc_u32_e32 v7, v6, v7
	v_add_nc_u32_e32 v4, v7, v4
	s_delay_alu instid0(VALU_DEP_1) | instskip(NEXT) | instid1(VALU_DEP_1)
	v_add_nc_u32_e32 v5, v4, v5
	v_add_nc_u32_e32 v2, v5, v2
	;; [unrolled: 3-line block ×3, first 2 shown]
	v_mov_b32_e32 v0, v11
	ds_store_2addr_b32 v10, v31, v6 offset1:1
	ds_store_2addr_b32 v10, v7, v4 offset0:2 offset1:3
	ds_store_2addr_b32 v10, v5, v2 offset0:4 offset1:5
	ds_store_2addr_b32 v10, v3, v32 offset0:6 offset1:7
	s_waitcnt lgkmcnt(0)
	s_barrier
	buffer_gl0_inv
.LBB67_11:                              ;   Parent Loop BB67_2 Depth=1
                                        ; =>  This Inner Loop Header: Depth=2
	v_add_nc_u32_e32 v1, 0x100, v1
	ds_store_b32 v0, v9
	v_add_nc_u32_e32 v0, 0x400, v0
	v_cmp_lt_u32_e64 s11, 0x6ff, v1
	s_delay_alu instid0(VALU_DEP_1) | instskip(NEXT) | instid1(SALU_CYCLE_1)
	s_or_b32 s15, s11, s15
	s_and_not1_b32 exec_lo, exec_lo, s15
	s_cbranch_execnz .LBB67_11
; %bb.12:                               ;   in Loop: Header=BB67_2 Depth=1
	s_or_b32 exec_lo, exec_lo, s15
	ds_load_u16 v31, v14
	s_waitcnt lgkmcnt(0)
	v_add_nc_u16 v0, v31, 1
	ds_store_b16 v14, v0
	ds_load_u16 v32, v15
	s_waitcnt lgkmcnt(0)
	v_add_nc_u16 v0, v32, 1
	ds_store_b16 v15, v0
	;; [unrolled: 4-line block ×8, first 2 shown]
	s_waitcnt lgkmcnt(0)
	s_barrier
	buffer_gl0_inv
	ds_load_2addr_b32 v[6:7], v10 offset1:1
	ds_load_2addr_b32 v[4:5], v10 offset0:2 offset1:3
	ds_load_2addr_b32 v[2:3], v10 offset0:4 offset1:5
	;; [unrolled: 1-line block ×3, first 2 shown]
	s_waitcnt lgkmcnt(3)
	v_add_nc_u32_e32 v39, v7, v6
	s_waitcnt lgkmcnt(2)
	s_delay_alu instid0(VALU_DEP_1) | instskip(SKIP_1) | instid1(VALU_DEP_1)
	v_add3_u32 v39, v39, v4, v5
	s_waitcnt lgkmcnt(1)
	v_add3_u32 v39, v39, v2, v3
	s_waitcnt lgkmcnt(0)
	s_delay_alu instid0(VALU_DEP_1) | instskip(NEXT) | instid1(VALU_DEP_1)
	v_add3_u32 v1, v39, v0, v1
	v_mov_b32_dpp v39, v1 row_shr:1 row_mask:0xf bank_mask:0xf
	s_delay_alu instid0(VALU_DEP_1) | instskip(NEXT) | instid1(VALU_DEP_1)
	v_cndmask_b32_e64 v39, v39, 0, s2
	v_add_nc_u32_e32 v1, v39, v1
	s_delay_alu instid0(VALU_DEP_1) | instskip(NEXT) | instid1(VALU_DEP_1)
	v_mov_b32_dpp v39, v1 row_shr:2 row_mask:0xf bank_mask:0xf
	v_cndmask_b32_e64 v39, 0, v39, s3
	s_delay_alu instid0(VALU_DEP_1) | instskip(NEXT) | instid1(VALU_DEP_1)
	v_add_nc_u32_e32 v1, v1, v39
	v_mov_b32_dpp v39, v1 row_shr:4 row_mask:0xf bank_mask:0xf
	s_delay_alu instid0(VALU_DEP_1) | instskip(NEXT) | instid1(VALU_DEP_1)
	v_cndmask_b32_e64 v39, 0, v39, s4
	v_add_nc_u32_e32 v1, v1, v39
	s_delay_alu instid0(VALU_DEP_1) | instskip(NEXT) | instid1(VALU_DEP_1)
	v_mov_b32_dpp v39, v1 row_shr:8 row_mask:0xf bank_mask:0xf
	v_cndmask_b32_e64 v39, 0, v39, s5
	s_delay_alu instid0(VALU_DEP_1) | instskip(SKIP_3) | instid1(VALU_DEP_1)
	v_add_nc_u32_e32 v1, v1, v39
	ds_swizzle_b32 v39, v1 offset:swizzle(BROADCAST,32,15)
	s_waitcnt lgkmcnt(0)
	v_cndmask_b32_e64 v39, v39, 0, s6
	v_add_nc_u32_e32 v1, v1, v39
	s_and_saveexec_b32 s11, s7
	s_cbranch_execz .LBB67_14
; %bb.13:                               ;   in Loop: Header=BB67_2 Depth=1
	ds_store_b32 v12, v1 offset:8192
.LBB67_14:                              ;   in Loop: Header=BB67_2 Depth=1
	s_or_b32 exec_lo, exec_lo, s11
	s_waitcnt lgkmcnt(0)
	s_barrier
	buffer_gl0_inv
	s_and_saveexec_b32 s11, vcc_lo
	s_cbranch_execz .LBB67_16
; %bb.15:                               ;   in Loop: Header=BB67_2 Depth=1
	ds_load_b32 v39, v11 offset:8192
	s_waitcnt lgkmcnt(0)
	v_mov_b32_dpp v40, v39 row_shr:1 row_mask:0xf bank_mask:0xf
	s_delay_alu instid0(VALU_DEP_1) | instskip(NEXT) | instid1(VALU_DEP_1)
	v_cndmask_b32_e64 v40, v40, 0, s8
	v_add_nc_u32_e32 v39, v40, v39
	s_delay_alu instid0(VALU_DEP_1) | instskip(NEXT) | instid1(VALU_DEP_1)
	v_mov_b32_dpp v40, v39 row_shr:2 row_mask:0xf bank_mask:0xf
	v_cndmask_b32_e64 v40, 0, v40, s9
	s_delay_alu instid0(VALU_DEP_1) | instskip(NEXT) | instid1(VALU_DEP_1)
	v_add_nc_u32_e32 v39, v39, v40
	v_mov_b32_dpp v40, v39 row_shr:4 row_mask:0xf bank_mask:0xf
	s_delay_alu instid0(VALU_DEP_1) | instskip(NEXT) | instid1(VALU_DEP_1)
	v_cndmask_b32_e64 v40, 0, v40, s10
	v_add_nc_u32_e32 v39, v39, v40
	ds_store_b32 v11, v39 offset:8192
.LBB67_16:                              ;   in Loop: Header=BB67_2 Depth=1
	s_or_b32 exec_lo, exec_lo, s11
	v_mov_b32_e32 v39, 0
	s_waitcnt lgkmcnt(0)
	s_barrier
	buffer_gl0_inv
	s_and_saveexec_b32 s11, s0
	s_cbranch_execz .LBB67_1
; %bb.17:                               ;   in Loop: Header=BB67_2 Depth=1
	ds_load_b32 v39, v12 offset:8188
	s_branch .LBB67_1
.LBB67_18:
	ds_load_u16 v0, v14
	ds_load_u16 v1, v15
	;; [unrolled: 1-line block ×8, first 2 shown]
	v_and_b32_e32 v9, 0xffff, v31
	v_and_b32_e32 v10, 0xffff, v32
	;; [unrolled: 1-line block ×8, first 2 shown]
	s_lshl_b64 s[0:1], s[12:13], 2
	v_lshlrev_b32_e32 v8, 2, v8
	s_add_u32 s0, s18, s0
	s_addc_u32 s1, s19, s1
	s_waitcnt lgkmcnt(7)
	v_add_nc_u32_e32 v0, v0, v9
	s_waitcnt lgkmcnt(6)
	v_add_nc_u32_e32 v1, v1, v10
	;; [unrolled: 2-line block ×8, first 2 shown]
	s_clause 0x1
	global_store_b128 v8, v[0:3], s[0:1]
	global_store_b128 v8, v[4:7], s[0:1] offset:16
	s_nop 0
	s_sendmsg sendmsg(MSG_DEALLOC_VGPRS)
	s_endpgm
	.section	.rodata,"a",@progbits
	.p2align	6, 0x0
	.amdhsa_kernel _Z11rank_kernelIhLj4ELb0EL18RadixRankAlgorithm1ELj256ELj8ELj10EEvPKT_Pi
		.amdhsa_group_segment_fixed_size 8224
		.amdhsa_private_segment_fixed_size 0
		.amdhsa_kernarg_size 16
		.amdhsa_user_sgpr_count 15
		.amdhsa_user_sgpr_dispatch_ptr 0
		.amdhsa_user_sgpr_queue_ptr 0
		.amdhsa_user_sgpr_kernarg_segment_ptr 1
		.amdhsa_user_sgpr_dispatch_id 0
		.amdhsa_user_sgpr_private_segment_size 0
		.amdhsa_wavefront_size32 1
		.amdhsa_uses_dynamic_stack 0
		.amdhsa_enable_private_segment 0
		.amdhsa_system_sgpr_workgroup_id_x 1
		.amdhsa_system_sgpr_workgroup_id_y 0
		.amdhsa_system_sgpr_workgroup_id_z 0
		.amdhsa_system_sgpr_workgroup_info 0
		.amdhsa_system_vgpr_workitem_id 0
		.amdhsa_next_free_vgpr 47
		.amdhsa_next_free_sgpr 20
		.amdhsa_reserve_vcc 1
		.amdhsa_float_round_mode_32 0
		.amdhsa_float_round_mode_16_64 0
		.amdhsa_float_denorm_mode_32 3
		.amdhsa_float_denorm_mode_16_64 3
		.amdhsa_dx10_clamp 1
		.amdhsa_ieee_mode 1
		.amdhsa_fp16_overflow 0
		.amdhsa_workgroup_processor_mode 1
		.amdhsa_memory_ordered 1
		.amdhsa_forward_progress 0
		.amdhsa_shared_vgpr_count 0
		.amdhsa_exception_fp_ieee_invalid_op 0
		.amdhsa_exception_fp_denorm_src 0
		.amdhsa_exception_fp_ieee_div_zero 0
		.amdhsa_exception_fp_ieee_overflow 0
		.amdhsa_exception_fp_ieee_underflow 0
		.amdhsa_exception_fp_ieee_inexact 0
		.amdhsa_exception_int_div_zero 0
	.end_amdhsa_kernel
	.section	.text._Z11rank_kernelIhLj4ELb0EL18RadixRankAlgorithm1ELj256ELj8ELj10EEvPKT_Pi,"axG",@progbits,_Z11rank_kernelIhLj4ELb0EL18RadixRankAlgorithm1ELj256ELj8ELj10EEvPKT_Pi,comdat
.Lfunc_end67:
	.size	_Z11rank_kernelIhLj4ELb0EL18RadixRankAlgorithm1ELj256ELj8ELj10EEvPKT_Pi, .Lfunc_end67-_Z11rank_kernelIhLj4ELb0EL18RadixRankAlgorithm1ELj256ELj8ELj10EEvPKT_Pi
                                        ; -- End function
	.section	.AMDGPU.csdata,"",@progbits
; Kernel info:
; codeLenInByte = 2676
; NumSgprs: 22
; NumVgprs: 47
; ScratchSize: 0
; MemoryBound: 0
; FloatMode: 240
; IeeeMode: 1
; LDSByteSize: 8224 bytes/workgroup (compile time only)
; SGPRBlocks: 2
; VGPRBlocks: 5
; NumSGPRsForWavesPerEU: 22
; NumVGPRsForWavesPerEU: 47
; Occupancy: 16
; WaveLimiterHint : 0
; COMPUTE_PGM_RSRC2:SCRATCH_EN: 0
; COMPUTE_PGM_RSRC2:USER_SGPR: 15
; COMPUTE_PGM_RSRC2:TRAP_HANDLER: 0
; COMPUTE_PGM_RSRC2:TGID_X_EN: 1
; COMPUTE_PGM_RSRC2:TGID_Y_EN: 0
; COMPUTE_PGM_RSRC2:TGID_Z_EN: 0
; COMPUTE_PGM_RSRC2:TIDIG_COMP_CNT: 0
	.section	.text._Z11rank_kernelIhLj4ELb0EL18RadixRankAlgorithm2ELj256ELj8ELj10EEvPKT_Pi,"axG",@progbits,_Z11rank_kernelIhLj4ELb0EL18RadixRankAlgorithm2ELj256ELj8ELj10EEvPKT_Pi,comdat
	.protected	_Z11rank_kernelIhLj4ELb0EL18RadixRankAlgorithm2ELj256ELj8ELj10EEvPKT_Pi ; -- Begin function _Z11rank_kernelIhLj4ELb0EL18RadixRankAlgorithm2ELj256ELj8ELj10EEvPKT_Pi
	.globl	_Z11rank_kernelIhLj4ELb0EL18RadixRankAlgorithm2ELj256ELj8ELj10EEvPKT_Pi
	.p2align	8
	.type	_Z11rank_kernelIhLj4ELb0EL18RadixRankAlgorithm2ELj256ELj8ELj10EEvPKT_Pi,@function
_Z11rank_kernelIhLj4ELb0EL18RadixRankAlgorithm2ELj256ELj8ELj10EEvPKT_Pi: ; @_Z11rank_kernelIhLj4ELb0EL18RadixRankAlgorithm2ELj256ELj8ELj10EEvPKT_Pi
; %bb.0:
	s_clause 0x1
	s_load_b128 s[60:63], s[0:1], 0x0
	s_load_b32 s8, s[0:1], 0x1c
	v_and_b32_e32 v4, 0x3ff, v0
	s_lshl_b32 s64, s15, 11
	v_mbcnt_lo_u32_b32 v3, -1, 0
	v_mov_b32_e32 v2, 0
	v_bfe_u32 v5, v0, 10, 10
	v_lshlrev_b32_e32 v1, 3, v4
	v_bfe_u32 v8, v0, 20, 10
	v_add_nc_u32_e32 v11, -1, v3
	v_and_b32_e32 v9, 15, v3
	v_and_b32_e32 v10, 16, v3
	;; [unrolled: 1-line block ×3, first 2 shown]
	v_cmp_eq_u32_e32 vcc_lo, 0, v3
	v_lshlrev_b32_e32 v0, 2, v4
	v_cmp_lt_u32_e64 s2, 3, v9
	v_cmp_lt_u32_e64 s3, 7, v9
	v_cmp_eq_u32_e64 s4, 0, v10
	v_or_b32_e32 v10, 31, v4
	v_cmp_gt_u32_e64 s5, 8, v4
	s_waitcnt lgkmcnt(0)
	s_add_u32 s0, s60, s64
	s_addc_u32 s1, s61, 0
	s_lshr_b32 s7, s8, 16
	global_load_b64 v[6:7], v1, s[0:1]
	v_mad_u32_u24 v5, v8, s7, v5
	v_cmp_gt_i32_e64 s7, 0, v11
	v_cmp_eq_u32_e64 s0, 0, v9
	v_cmp_lt_u32_e64 s1, 1, v9
	v_cmp_lt_u32_e64 s6, 31, v4
	;; [unrolled: 1-line block ×3, first 2 shown]
	v_cndmask_b32_e64 v11, v11, v3, s7
	s_and_b32 s7, s8, 0xffff
	v_lshrrev_b32_e32 v3, 3, v4
	v_mad_u64_u32 v[8:9], null, v5, s7, v[4:5]
	v_cmp_eq_u32_e64 s7, 0, v12
	v_cmp_lt_u32_e64 s8, 1, v12
	v_cmp_eq_u32_e64 s10, v10, v4
	v_lshlrev_b32_e32 v4, 2, v11
	v_and_b32_e32 v3, 28, v3
	s_mov_b32 s65, 0
	v_lshrrev_b32_e32 v44, 5, v8
	s_mov_b32 s82, 10
	s_delay_alu instid0(VALU_DEP_2)
	v_add_nc_u32_e32 v5, -4, v3
	s_waitcnt vmcnt(0)
	v_lshrrev_b32_e32 v8, 8, v6
	v_lshrrev_b32_e32 v9, 16, v6
	;; [unrolled: 1-line block ×7, first 2 shown]
	v_and_b32_e32 v11, 15, v6
	v_and_b32_e32 v15, 1, v6
	v_lshlrev_b32_e32 v16, 30, v6
	v_lshlrev_b32_e32 v17, 29, v6
	;; [unrolled: 1-line block ×3, first 2 shown]
	v_bfe_u32 v19, v6, 8, 4
	v_bfe_u32 v21, v6, 8, 1
	;; [unrolled: 1-line block ×5, first 2 shown]
	v_and_b32_e32 v26, 15, v7
	v_lshlrev_b32_e32 v28, 30, v7
	v_lshlrev_b32_e32 v29, 29, v7
	;; [unrolled: 1-line block ×3, first 2 shown]
	v_bfe_u32 v31, v7, 8, 4
	v_bfe_u32 v33, v7, 16, 4
	;; [unrolled: 1-line block ×3, first 2 shown]
	v_lshrrev_b32_e32 v37, 4, v6
	v_bfe_u32 v38, v6, 4, 4
	v_bfe_u32 v39, v6, 4, 1
	v_lshrrev_b32_e32 v40, 12, v6
	v_bfe_u32 v41, v6, 12, 4
	v_bfe_u32 v42, v6, 12, 1
	v_lshrrev_b32_e32 v43, 20, v6
	v_bfe_u32 v46, v6, 20, 1
	v_lshrrev_b32_e32 v47, 28, v6
	v_bfe_u32 v48, v6, 28, 1
	v_and_b32_e32 v49, 0xf0000000, v6
	v_not_b32_e32 v50, v6
	v_lshrrev_b32_e32 v51, 4, v7
	v_bfe_u32 v52, v7, 4, 4
	v_bfe_u32 v53, v7, 4, 1
	v_lshrrev_b32_e32 v54, 12, v7
	v_bfe_u32 v55, v7, 12, 4
	v_bfe_u32 v56, v7, 12, 1
	;; [unrolled: 3-line block ×3, first 2 shown]
	v_bfe_u32 v25, v6, 24, 1
	v_and_b32_e32 v27, 1, v7
	v_bfe_u32 v32, v7, 8, 1
	v_bfe_u32 v34, v7, 16, 1
	v_bfe_u32 v36, v7, 24, 1
	v_bfe_u32 v45, v6, 20, 4
	v_bfe_u32 v58, v7, 20, 4
	v_and_b32_e32 v61, 0xf0000000, v7
	v_not_b32_e32 v85, v7
	v_mul_u32_u24_e32 v62, 9, v20
	v_add_co_u32 v6, s66, v15, -1
	v_cmp_gt_i32_e64 s11, 0, v16
	v_not_b32_e32 v63, v16
	v_cmp_gt_i32_e64 s12, 0, v17
	v_not_b32_e32 v64, v17
	v_cmp_gt_i32_e64 s13, 0, v18
	v_not_b32_e32 v65, v18
	v_mul_u32_u24_e32 v66, 9, v11
	v_mul_u32_u24_e32 v67, 9, v19
	v_add_co_u32 v7, s67, v21, -1
	v_lshlrev_b32_e32 v68, 30, v8
	v_lshlrev_b32_e32 v69, 29, v8
	;; [unrolled: 1-line block ×3, first 2 shown]
	v_mul_u32_u24_e32 v71, 9, v22
	v_add_co_u32 v8, s68, v23, -1
	v_lshlrev_b32_e32 v72, 30, v9
	v_lshlrev_b32_e32 v73, 29, v9
	;; [unrolled: 1-line block ×3, first 2 shown]
	v_mul_u32_u24_e32 v75, 9, v24
	v_lshlrev_b32_e32 v76, 30, v10
	v_lshlrev_b32_e32 v77, 29, v10
	;; [unrolled: 1-line block ×3, first 2 shown]
	v_mul_u32_u24_e32 v79, 9, v26
	v_not_b32_e32 v80, v28
	v_not_b32_e32 v81, v29
	;; [unrolled: 1-line block ×3, first 2 shown]
	v_mul_u32_u24_e32 v83, 9, v31
	v_lshlrev_b32_e32 v84, 30, v12
	v_lshlrev_b32_e32 v86, 29, v12
	v_lshlrev_b32_e32 v87, 28, v12
	v_mul_u32_u24_e32 v88, 9, v33
	v_lshlrev_b32_e32 v89, 30, v13
	v_lshlrev_b32_e32 v90, 29, v13
	v_lshlrev_b32_e32 v91, 28, v13
	;; [unrolled: 4-line block ×3, first 2 shown]
	v_mul_u32_u24_e32 v96, 9, v38
	v_add_co_u32 v14, s74, v39, -1
	v_lshlrev_b32_e32 v39, 30, v37
	v_lshlrev_b32_e32 v97, 29, v37
	;; [unrolled: 1-line block ×3, first 2 shown]
	v_mul_u32_u24_e32 v41, 9, v41
	v_add_co_u32 v15, s75, v42, -1
	v_lshlrev_b32_e32 v42, 30, v40
	v_lshlrev_b32_e32 v99, 29, v40
	v_lshlrev_b32_e32 v40, 28, v40
	v_add_co_u32 v16, s76, v46, -1
	v_lshlrev_b32_e32 v46, 30, v43
	v_lshlrev_b32_e32 v100, 29, v43
	;; [unrolled: 1-line block ×3, first 2 shown]
	v_mul_u32_u24_e32 v101, 9, v47
	v_add_co_u32 v17, s77, v48, -1
	v_lshlrev_b32_e32 v48, 30, v47
	v_lshlrev_b32_e32 v47, 29, v47
	v_cmp_gt_i32_e64 s17, 0, v49
	v_ashrrev_i32_e32 v18, 31, v50
	v_mul_u32_u24_e32 v49, 9, v52
	v_add_co_u32 v19, s78, v53, -1
	v_lshlrev_b32_e32 v50, 30, v51
	v_lshlrev_b32_e32 v52, 29, v51
	;; [unrolled: 1-line block ×3, first 2 shown]
	v_mul_u32_u24_e32 v53, 9, v55
	v_add_co_u32 v21, s79, v56, -1
	v_lshlrev_b32_e32 v55, 30, v54
	v_lshlrev_b32_e32 v56, 29, v54
	v_lshlrev_b32_e32 v54, 28, v54
	v_add_co_u32 v22, s80, v59, -1
	v_lshlrev_b32_e32 v59, 30, v57
	v_lshlrev_b32_e32 v102, 29, v57
	;; [unrolled: 1-line block ×3, first 2 shown]
	v_add_co_u32 v23, s81, v60, -1
	v_lshlrev_b32_e32 v60, 30, v20
	v_lshlrev_b32_e32 v103, 29, v20
	v_add_co_u32 v9, s69, v25, -1
	v_add_co_u32 v10, s70, v27, -1
	v_cmp_gt_i32_e64 s14, 0, v28
	v_cmp_gt_i32_e64 s15, 0, v29
	;; [unrolled: 1-line block ×3, first 2 shown]
	v_add_co_u32 v11, s71, v32, -1
	v_add_co_u32 v12, s72, v34, -1
	;; [unrolled: 1-line block ×3, first 2 shown]
	v_mul_u32_u24_e32 v45, 9, v45
	v_mul_u32_u24_e32 v58, 9, v58
	v_cmp_gt_i32_e64 s18, 0, v61
	v_add_lshl_u32 v20, v44, v62, 2
	v_ashrrev_i32_e32 v24, 31, v63
	v_ashrrev_i32_e32 v25, 31, v64
	;; [unrolled: 1-line block ×3, first 2 shown]
	v_add_lshl_u32 v27, v44, v66, 2
	v_add_lshl_u32 v28, v44, v67, 2
	v_cmp_gt_i32_e64 s19, 0, v68
	v_not_b32_e32 v61, v68
	v_cmp_gt_i32_e64 s20, 0, v69
	v_not_b32_e32 v62, v69
	v_cmp_gt_i32_e64 s21, 0, v70
	v_not_b32_e32 v63, v70
	v_add_lshl_u32 v29, v44, v71, 2
	v_cmp_gt_i32_e64 s22, 0, v72
	v_not_b32_e32 v64, v72
	v_cmp_gt_i32_e64 s23, 0, v73
	v_not_b32_e32 v65, v73
	v_cmp_gt_i32_e64 s24, 0, v74
	v_not_b32_e32 v66, v74
	;; [unrolled: 7-line block ×3, first 2 shown]
	v_add_lshl_u32 v31, v44, v79, 2
	v_ashrrev_i32_e32 v32, 31, v80
	v_ashrrev_i32_e32 v33, 31, v81
	;; [unrolled: 1-line block ×3, first 2 shown]
	v_add_lshl_u32 v35, v44, v83, 2
	v_cmp_gt_i32_e64 s28, 0, v84
	v_not_b32_e32 v70, v84
	v_cmp_gt_i32_e64 s29, 0, v86
	v_not_b32_e32 v71, v86
	v_cmp_gt_i32_e64 s30, 0, v87
	v_not_b32_e32 v72, v87
	v_add_lshl_u32 v36, v44, v88, 2
	v_cmp_gt_i32_e64 s31, 0, v89
	v_not_b32_e32 v73, v89
	v_cmp_gt_i32_e64 s33, 0, v90
	v_not_b32_e32 v74, v90
	v_cmp_gt_i32_e64 s34, 0, v91
	v_not_b32_e32 v75, v91
	;; [unrolled: 7-line block ×4, first 2 shown]
	v_add_lshl_u32 v39, v44, v41, 2
	v_not_b32_e32 v82, v42
	v_cmp_gt_i32_e64 s42, 0, v99
	v_not_b32_e32 v83, v99
	v_not_b32_e32 v84, v40
	;; [unrolled: 1-line block ×3, first 2 shown]
	v_cmp_gt_i32_e64 s45, 0, v100
	v_not_b32_e32 v87, v100
	v_not_b32_e32 v88, v43
	v_add_lshl_u32 v41, v44, v101, 2
	v_not_b32_e32 v89, v48
	v_not_b32_e32 v90, v47
	;; [unrolled: 1-line block ×13, first 2 shown]
	v_cmp_gt_i32_e64 s41, 0, v42
	v_cmp_gt_i32_e64 s43, 0, v40
	v_add_lshl_u32 v40, v44, v45, 2
	v_cmp_gt_i32_e64 s44, 0, v46
	v_cmp_gt_i32_e64 s46, 0, v43
	;; [unrolled: 1-line block ×4, first 2 shown]
	v_add_lshl_u32 v42, v44, v49, 2
	v_cmp_gt_i32_e64 s49, 0, v50
	v_cmp_gt_i32_e64 s50, 0, v52
	v_cmp_gt_i32_e64 s51, 0, v51
	v_add_lshl_u32 v43, v44, v53, 2
	v_cmp_gt_i32_e64 s52, 0, v55
	v_cmp_gt_i32_e64 s53, 0, v56
	v_cmp_gt_i32_e64 s54, 0, v54
	;; [unrolled: 4-line block ×3, first 2 shown]
	v_cmp_gt_i32_e64 s58, 0, v60
	v_cmp_gt_i32_e64 s59, 0, v103
	v_ashrrev_i32_e32 v45, 31, v61
	v_ashrrev_i32_e32 v46, 31, v62
	;; [unrolled: 1-line block ×41, first 2 shown]
	s_branch .LBB68_2
.LBB68_1:                               ;   in Loop: Header=BB68_2 Depth=1
	s_or_b32 exec_lo, exec_lo, s60
	s_waitcnt lgkmcnt(0)
	v_add_nc_u32_e32 v101, v102, v101
	s_add_i32 s82, s82, -1
	s_delay_alu instid0(SALU_CYCLE_1)
	s_cmp_eq_u32 s82, 0
	ds_bpermute_b32 v101, v4, v101
	s_waitcnt lgkmcnt(0)
	v_cndmask_b32_e32 v101, v101, v102, vcc_lo
	ds_store_b32 v0, v101 offset:32
	s_waitcnt lgkmcnt(0)
	s_barrier
	buffer_gl0_inv
	s_cbranch_scc1 .LBB68_46
.LBB68_2:                               ; =>This Inner Loop Header: Depth=1
	v_cndmask_b32_e64 v86, 0, 1, s66
	v_cndmask_b32_e64 v87, 0, 1, s11
	;; [unrolled: 1-line block ×3, first 2 shown]
	ds_store_b32 v0, v2 offset:32
	s_waitcnt lgkmcnt(0)
	v_cmp_ne_u32_e64 s60, 0, v86
	v_cndmask_b32_e64 v86, 0, 1, s12
	v_cmp_ne_u32_e64 s61, 0, v87
	s_barrier
	buffer_gl0_inv
	v_xor_b32_e32 v87, s60, v6
	v_cmp_ne_u32_e64 s60, 0, v86
	v_xor_b32_e32 v86, s61, v24
	v_cmp_ne_u32_e64 s61, 0, v88
	s_delay_alu instid0(VALU_DEP_4) | instskip(NEXT) | instid1(VALU_DEP_4)
	v_and_b32_e32 v87, exec_lo, v87
	v_xor_b32_e32 v88, s60, v25
	; wave barrier
	s_delay_alu instid0(VALU_DEP_2) | instskip(NEXT) | instid1(VALU_DEP_4)
	v_and_b32_e32 v86, v87, v86
	v_xor_b32_e32 v87, s61, v26
	s_delay_alu instid0(VALU_DEP_2) | instskip(NEXT) | instid1(VALU_DEP_1)
	v_and_b32_e32 v86, v86, v88
	v_and_b32_e32 v86, v86, v87
	s_delay_alu instid0(VALU_DEP_1) | instskip(SKIP_1) | instid1(VALU_DEP_2)
	v_mbcnt_lo_u32_b32 v87, v86, 0
	v_cmp_ne_u32_e64 s61, 0, v86
	v_cmp_eq_u32_e64 s60, 0, v87
	s_delay_alu instid0(VALU_DEP_1) | instskip(NEXT) | instid1(SALU_CYCLE_1)
	s_and_b32 s61, s61, s60
	s_and_saveexec_b32 s60, s61
	s_cbranch_execz .LBB68_4
; %bb.3:                                ;   in Loop: Header=BB68_2 Depth=1
	v_bcnt_u32_b32 v86, v86, 0
	ds_store_b32 v27, v86 offset:32
.LBB68_4:                               ;   in Loop: Header=BB68_2 Depth=1
	s_or_b32 exec_lo, exec_lo, s60
	v_cndmask_b32_e64 v86, 0, 1, s67
	v_cndmask_b32_e64 v87, 0, 1, s19
	;; [unrolled: 1-line block ×3, first 2 shown]
	; wave barrier
	s_delay_alu instid0(VALU_DEP_3) | instskip(SKIP_1) | instid1(VALU_DEP_4)
	v_cmp_ne_u32_e64 s60, 0, v86
	v_cndmask_b32_e64 v86, 0, 1, s20
	v_cmp_ne_u32_e64 s61, 0, v87
	s_delay_alu instid0(VALU_DEP_3) | instskip(NEXT) | instid1(VALU_DEP_3)
	v_xor_b32_e32 v87, s60, v7
	v_cmp_ne_u32_e64 s60, 0, v86
	s_delay_alu instid0(VALU_DEP_3) | instskip(SKIP_1) | instid1(VALU_DEP_4)
	v_xor_b32_e32 v86, s61, v45
	v_cmp_ne_u32_e64 s61, 0, v88
	v_and_b32_e32 v87, exec_lo, v87
	s_delay_alu instid0(VALU_DEP_4) | instskip(NEXT) | instid1(VALU_DEP_2)
	v_xor_b32_e32 v88, s60, v46
	v_and_b32_e32 v86, v87, v86
	s_delay_alu instid0(VALU_DEP_4) | instskip(NEXT) | instid1(VALU_DEP_2)
	v_xor_b32_e32 v87, s61, v47
	v_and_b32_e32 v88, v86, v88
	ds_load_b32 v86, v28 offset:32
	; wave barrier
	v_and_b32_e32 v87, v88, v87
	s_delay_alu instid0(VALU_DEP_1) | instskip(SKIP_1) | instid1(VALU_DEP_2)
	v_mbcnt_lo_u32_b32 v88, v87, 0
	v_cmp_ne_u32_e64 s61, 0, v87
	v_cmp_eq_u32_e64 s60, 0, v88
	s_delay_alu instid0(VALU_DEP_1) | instskip(NEXT) | instid1(SALU_CYCLE_1)
	s_and_b32 s61, s61, s60
	s_and_saveexec_b32 s60, s61
	s_cbranch_execz .LBB68_6
; %bb.5:                                ;   in Loop: Header=BB68_2 Depth=1
	s_waitcnt lgkmcnt(0)
	v_bcnt_u32_b32 v86, v87, v86
	ds_store_b32 v28, v86 offset:32
.LBB68_6:                               ;   in Loop: Header=BB68_2 Depth=1
	s_or_b32 exec_lo, exec_lo, s60
	s_waitcnt lgkmcnt(0)
	v_cndmask_b32_e64 v86, 0, 1, s68
	v_cndmask_b32_e64 v87, 0, 1, s22
	;; [unrolled: 1-line block ×3, first 2 shown]
	; wave barrier
	s_delay_alu instid0(VALU_DEP_3) | instskip(SKIP_1) | instid1(VALU_DEP_4)
	v_cmp_ne_u32_e64 s60, 0, v86
	v_cndmask_b32_e64 v86, 0, 1, s23
	v_cmp_ne_u32_e64 s61, 0, v87
	s_delay_alu instid0(VALU_DEP_3) | instskip(NEXT) | instid1(VALU_DEP_3)
	v_xor_b32_e32 v87, s60, v8
	v_cmp_ne_u32_e64 s60, 0, v86
	s_delay_alu instid0(VALU_DEP_3) | instskip(SKIP_1) | instid1(VALU_DEP_4)
	v_xor_b32_e32 v86, s61, v48
	v_cmp_ne_u32_e64 s61, 0, v88
	v_and_b32_e32 v87, exec_lo, v87
	s_delay_alu instid0(VALU_DEP_4) | instskip(NEXT) | instid1(VALU_DEP_2)
	v_xor_b32_e32 v88, s60, v49
	v_and_b32_e32 v86, v87, v86
	s_delay_alu instid0(VALU_DEP_4) | instskip(NEXT) | instid1(VALU_DEP_2)
	v_xor_b32_e32 v87, s61, v50
	v_and_b32_e32 v88, v86, v88
	ds_load_b32 v86, v29 offset:32
	; wave barrier
	v_and_b32_e32 v87, v88, v87
	s_delay_alu instid0(VALU_DEP_1) | instskip(SKIP_1) | instid1(VALU_DEP_2)
	v_mbcnt_lo_u32_b32 v88, v87, 0
	v_cmp_ne_u32_e64 s61, 0, v87
	v_cmp_eq_u32_e64 s60, 0, v88
	s_delay_alu instid0(VALU_DEP_1) | instskip(NEXT) | instid1(SALU_CYCLE_1)
	s_and_b32 s61, s61, s60
	s_and_saveexec_b32 s60, s61
	s_cbranch_execz .LBB68_8
; %bb.7:                                ;   in Loop: Header=BB68_2 Depth=1
	s_waitcnt lgkmcnt(0)
	v_bcnt_u32_b32 v86, v87, v86
	ds_store_b32 v29, v86 offset:32
.LBB68_8:                               ;   in Loop: Header=BB68_2 Depth=1
	s_or_b32 exec_lo, exec_lo, s60
	s_waitcnt lgkmcnt(0)
	v_cndmask_b32_e64 v86, 0, 1, s69
	v_cndmask_b32_e64 v87, 0, 1, s25
	v_cndmask_b32_e64 v88, 0, 1, s27
	; wave barrier
	s_delay_alu instid0(VALU_DEP_3) | instskip(SKIP_1) | instid1(VALU_DEP_4)
	v_cmp_ne_u32_e64 s60, 0, v86
	v_cndmask_b32_e64 v86, 0, 1, s26
	v_cmp_ne_u32_e64 s61, 0, v87
	s_delay_alu instid0(VALU_DEP_3) | instskip(NEXT) | instid1(VALU_DEP_3)
	v_xor_b32_e32 v87, s60, v9
	v_cmp_ne_u32_e64 s60, 0, v86
	s_delay_alu instid0(VALU_DEP_3) | instskip(SKIP_1) | instid1(VALU_DEP_4)
	v_xor_b32_e32 v86, s61, v51
	v_cmp_ne_u32_e64 s61, 0, v88
	v_and_b32_e32 v87, exec_lo, v87
	s_delay_alu instid0(VALU_DEP_4) | instskip(NEXT) | instid1(VALU_DEP_2)
	v_xor_b32_e32 v88, s60, v52
	v_and_b32_e32 v86, v87, v86
	s_delay_alu instid0(VALU_DEP_4) | instskip(NEXT) | instid1(VALU_DEP_2)
	v_xor_b32_e32 v87, s61, v53
	v_and_b32_e32 v88, v86, v88
	ds_load_b32 v86, v30 offset:32
	; wave barrier
	v_and_b32_e32 v87, v88, v87
	s_delay_alu instid0(VALU_DEP_1) | instskip(SKIP_1) | instid1(VALU_DEP_2)
	v_mbcnt_lo_u32_b32 v88, v87, 0
	v_cmp_ne_u32_e64 s61, 0, v87
	v_cmp_eq_u32_e64 s60, 0, v88
	s_delay_alu instid0(VALU_DEP_1) | instskip(NEXT) | instid1(SALU_CYCLE_1)
	s_and_b32 s61, s61, s60
	s_and_saveexec_b32 s60, s61
	s_cbranch_execz .LBB68_10
; %bb.9:                                ;   in Loop: Header=BB68_2 Depth=1
	s_waitcnt lgkmcnt(0)
	v_bcnt_u32_b32 v86, v87, v86
	ds_store_b32 v30, v86 offset:32
.LBB68_10:                              ;   in Loop: Header=BB68_2 Depth=1
	s_or_b32 exec_lo, exec_lo, s60
	s_waitcnt lgkmcnt(0)
	v_cndmask_b32_e64 v86, 0, 1, s70
	v_cndmask_b32_e64 v87, 0, 1, s14
	v_cndmask_b32_e64 v88, 0, 1, s16
	; wave barrier
	s_delay_alu instid0(VALU_DEP_3) | instskip(SKIP_1) | instid1(VALU_DEP_4)
	v_cmp_ne_u32_e64 s60, 0, v86
	v_cndmask_b32_e64 v86, 0, 1, s15
	v_cmp_ne_u32_e64 s61, 0, v87
	s_delay_alu instid0(VALU_DEP_3) | instskip(NEXT) | instid1(VALU_DEP_3)
	v_xor_b32_e32 v87, s60, v10
	v_cmp_ne_u32_e64 s60, 0, v86
	s_delay_alu instid0(VALU_DEP_3) | instskip(SKIP_1) | instid1(VALU_DEP_4)
	v_xor_b32_e32 v86, s61, v32
	v_cmp_ne_u32_e64 s61, 0, v88
	v_and_b32_e32 v87, exec_lo, v87
	s_delay_alu instid0(VALU_DEP_4) | instskip(NEXT) | instid1(VALU_DEP_2)
	v_xor_b32_e32 v88, s60, v33
	v_and_b32_e32 v86, v87, v86
	s_delay_alu instid0(VALU_DEP_4) | instskip(NEXT) | instid1(VALU_DEP_2)
	v_xor_b32_e32 v87, s61, v34
	v_and_b32_e32 v88, v86, v88
	ds_load_b32 v86, v31 offset:32
	; wave barrier
	v_and_b32_e32 v87, v88, v87
	s_delay_alu instid0(VALU_DEP_1) | instskip(SKIP_1) | instid1(VALU_DEP_2)
	v_mbcnt_lo_u32_b32 v88, v87, 0
	v_cmp_ne_u32_e64 s61, 0, v87
	v_cmp_eq_u32_e64 s60, 0, v88
	s_delay_alu instid0(VALU_DEP_1) | instskip(NEXT) | instid1(SALU_CYCLE_1)
	s_and_b32 s61, s61, s60
	s_and_saveexec_b32 s60, s61
	s_cbranch_execz .LBB68_12
; %bb.11:                               ;   in Loop: Header=BB68_2 Depth=1
	s_waitcnt lgkmcnt(0)
	v_bcnt_u32_b32 v86, v87, v86
	ds_store_b32 v31, v86 offset:32
.LBB68_12:                              ;   in Loop: Header=BB68_2 Depth=1
	s_or_b32 exec_lo, exec_lo, s60
	s_waitcnt lgkmcnt(0)
	v_cndmask_b32_e64 v86, 0, 1, s71
	v_cndmask_b32_e64 v87, 0, 1, s28
	v_cndmask_b32_e64 v88, 0, 1, s30
	; wave barrier
	s_delay_alu instid0(VALU_DEP_3) | instskip(SKIP_1) | instid1(VALU_DEP_4)
	v_cmp_ne_u32_e64 s60, 0, v86
	v_cndmask_b32_e64 v86, 0, 1, s29
	v_cmp_ne_u32_e64 s61, 0, v87
	s_delay_alu instid0(VALU_DEP_3) | instskip(NEXT) | instid1(VALU_DEP_3)
	v_xor_b32_e32 v87, s60, v11
	v_cmp_ne_u32_e64 s60, 0, v86
	s_delay_alu instid0(VALU_DEP_3) | instskip(SKIP_1) | instid1(VALU_DEP_4)
	v_xor_b32_e32 v86, s61, v54
	v_cmp_ne_u32_e64 s61, 0, v88
	v_and_b32_e32 v87, exec_lo, v87
	s_delay_alu instid0(VALU_DEP_4) | instskip(NEXT) | instid1(VALU_DEP_2)
	v_xor_b32_e32 v88, s60, v55
	v_and_b32_e32 v86, v87, v86
	s_delay_alu instid0(VALU_DEP_4) | instskip(NEXT) | instid1(VALU_DEP_2)
	v_xor_b32_e32 v87, s61, v56
	v_and_b32_e32 v88, v86, v88
	ds_load_b32 v86, v35 offset:32
	; wave barrier
	v_and_b32_e32 v87, v88, v87
	s_delay_alu instid0(VALU_DEP_1) | instskip(SKIP_1) | instid1(VALU_DEP_2)
	v_mbcnt_lo_u32_b32 v88, v87, 0
	v_cmp_ne_u32_e64 s61, 0, v87
	v_cmp_eq_u32_e64 s60, 0, v88
	s_delay_alu instid0(VALU_DEP_1) | instskip(NEXT) | instid1(SALU_CYCLE_1)
	s_and_b32 s61, s61, s60
	s_and_saveexec_b32 s60, s61
	s_cbranch_execz .LBB68_14
; %bb.13:                               ;   in Loop: Header=BB68_2 Depth=1
	s_waitcnt lgkmcnt(0)
	v_bcnt_u32_b32 v86, v87, v86
	ds_store_b32 v35, v86 offset:32
.LBB68_14:                              ;   in Loop: Header=BB68_2 Depth=1
	;; [unrolled: 39-line block ×4, first 2 shown]
	s_or_b32 exec_lo, exec_lo, s60
	; wave barrier
	s_waitcnt lgkmcnt(0)
	s_barrier
	buffer_gl0_inv
	ds_load_b32 v86, v0 offset:32
	s_waitcnt lgkmcnt(0)
	v_mov_b32_dpp v87, v86 row_shr:1 row_mask:0xf bank_mask:0xf
	s_delay_alu instid0(VALU_DEP_1) | instskip(NEXT) | instid1(VALU_DEP_1)
	v_cndmask_b32_e64 v87, v87, 0, s0
	v_add_nc_u32_e32 v86, v87, v86
	s_delay_alu instid0(VALU_DEP_1) | instskip(NEXT) | instid1(VALU_DEP_1)
	v_mov_b32_dpp v87, v86 row_shr:2 row_mask:0xf bank_mask:0xf
	v_cndmask_b32_e64 v87, 0, v87, s1
	s_delay_alu instid0(VALU_DEP_1) | instskip(NEXT) | instid1(VALU_DEP_1)
	v_add_nc_u32_e32 v86, v86, v87
	v_mov_b32_dpp v87, v86 row_shr:4 row_mask:0xf bank_mask:0xf
	s_delay_alu instid0(VALU_DEP_1) | instskip(NEXT) | instid1(VALU_DEP_1)
	v_cndmask_b32_e64 v87, 0, v87, s2
	v_add_nc_u32_e32 v86, v86, v87
	s_delay_alu instid0(VALU_DEP_1) | instskip(NEXT) | instid1(VALU_DEP_1)
	v_mov_b32_dpp v87, v86 row_shr:8 row_mask:0xf bank_mask:0xf
	v_cndmask_b32_e64 v87, 0, v87, s3
	s_delay_alu instid0(VALU_DEP_1) | instskip(SKIP_3) | instid1(VALU_DEP_1)
	v_add_nc_u32_e32 v86, v86, v87
	ds_swizzle_b32 v87, v86 offset:swizzle(BROADCAST,32,15)
	s_waitcnt lgkmcnt(0)
	v_cndmask_b32_e64 v87, v87, 0, s4
	v_add_nc_u32_e32 v86, v86, v87
	s_and_saveexec_b32 s60, s10
	s_delay_alu instid0(SALU_CYCLE_1)
	s_xor_b32 s60, exec_lo, s60
	s_cbranch_execz .LBB68_20
; %bb.19:                               ;   in Loop: Header=BB68_2 Depth=1
	ds_store_b32 v3, v86
.LBB68_20:                              ;   in Loop: Header=BB68_2 Depth=1
	s_or_b32 exec_lo, exec_lo, s60
	s_waitcnt lgkmcnt(0)
	s_barrier
	buffer_gl0_inv
	s_and_saveexec_b32 s60, s5
	s_cbranch_execz .LBB68_22
; %bb.21:                               ;   in Loop: Header=BB68_2 Depth=1
	ds_load_b32 v87, v0
	s_waitcnt lgkmcnt(0)
	v_mov_b32_dpp v88, v87 row_shr:1 row_mask:0xf bank_mask:0xf
	s_delay_alu instid0(VALU_DEP_1) | instskip(NEXT) | instid1(VALU_DEP_1)
	v_cndmask_b32_e64 v88, v88, 0, s7
	v_add_nc_u32_e32 v87, v88, v87
	s_delay_alu instid0(VALU_DEP_1) | instskip(NEXT) | instid1(VALU_DEP_1)
	v_mov_b32_dpp v88, v87 row_shr:2 row_mask:0xf bank_mask:0xf
	v_cndmask_b32_e64 v88, 0, v88, s8
	s_delay_alu instid0(VALU_DEP_1) | instskip(NEXT) | instid1(VALU_DEP_1)
	v_add_nc_u32_e32 v87, v87, v88
	v_mov_b32_dpp v88, v87 row_shr:4 row_mask:0xf bank_mask:0xf
	s_delay_alu instid0(VALU_DEP_1) | instskip(NEXT) | instid1(VALU_DEP_1)
	v_cndmask_b32_e64 v88, 0, v88, s9
	v_add_nc_u32_e32 v87, v87, v88
	ds_store_b32 v0, v87
.LBB68_22:                              ;   in Loop: Header=BB68_2 Depth=1
	s_or_b32 exec_lo, exec_lo, s60
	v_mov_b32_e32 v87, 0
	s_waitcnt lgkmcnt(0)
	s_barrier
	buffer_gl0_inv
	s_and_saveexec_b32 s60, s6
	s_cbranch_execz .LBB68_24
; %bb.23:                               ;   in Loop: Header=BB68_2 Depth=1
	ds_load_b32 v87, v5
.LBB68_24:                              ;   in Loop: Header=BB68_2 Depth=1
	s_or_b32 exec_lo, exec_lo, s60
	s_waitcnt lgkmcnt(0)
	v_add_nc_u32_e32 v86, v87, v86
	v_cndmask_b32_e64 v88, 0, 1, s74
	v_cndmask_b32_e64 v89, 0, 1, s38
	;; [unrolled: 1-line block ×3, first 2 shown]
	ds_bpermute_b32 v86, v4, v86
	v_cmp_ne_u32_e64 s60, 0, v88
	v_cndmask_b32_e64 v88, 0, 1, s39
	v_cmp_ne_u32_e64 s61, 0, v89
	s_delay_alu instid0(VALU_DEP_3) | instskip(NEXT) | instid1(VALU_DEP_3)
	v_xor_b32_e32 v89, s60, v14
	v_cmp_ne_u32_e64 s60, 0, v88
	s_delay_alu instid0(VALU_DEP_3) | instskip(SKIP_1) | instid1(VALU_DEP_4)
	v_xor_b32_e32 v88, s61, v63
	v_cmp_ne_u32_e64 s61, 0, v90
	v_and_b32_e32 v89, exec_lo, v89
	s_delay_alu instid0(VALU_DEP_4) | instskip(SKIP_2) | instid1(VALU_DEP_3)
	v_xor_b32_e32 v90, s60, v64
	s_waitcnt lgkmcnt(0)
	v_cndmask_b32_e32 v86, v86, v87, vcc_lo
	v_and_b32_e32 v88, v89, v88
	v_xor_b32_e32 v89, s61, v65
	ds_store_b32 v0, v86 offset:32
	v_and_b32_e32 v88, v88, v90
	s_waitcnt lgkmcnt(0)
	s_barrier
	buffer_gl0_inv
	ds_store_b32 v0, v2 offset:32
	v_and_b32_e32 v87, v88, v89
	s_waitcnt lgkmcnt(0)
	s_barrier
	buffer_gl0_inv
	v_mbcnt_lo_u32_b32 v86, v87, 0
	v_cmp_ne_u32_e64 s61, 0, v87
	; wave barrier
	s_delay_alu instid0(VALU_DEP_2) | instskip(NEXT) | instid1(VALU_DEP_1)
	v_cmp_eq_u32_e64 s60, 0, v86
	s_and_b32 s61, s61, s60
	s_delay_alu instid0(SALU_CYCLE_1)
	s_and_saveexec_b32 s60, s61
	s_cbranch_execz .LBB68_26
; %bb.25:                               ;   in Loop: Header=BB68_2 Depth=1
	v_bcnt_u32_b32 v87, v87, 0
	ds_store_b32 v37, v87 offset:32
.LBB68_26:                              ;   in Loop: Header=BB68_2 Depth=1
	s_or_b32 exec_lo, exec_lo, s60
	v_cndmask_b32_e64 v87, 0, 1, s75
	v_cndmask_b32_e64 v88, 0, 1, s41
	v_cndmask_b32_e64 v89, 0, 1, s43
	; wave barrier
	s_delay_alu instid0(VALU_DEP_3) | instskip(SKIP_1) | instid1(VALU_DEP_4)
	v_cmp_ne_u32_e64 s60, 0, v87
	v_cndmask_b32_e64 v87, 0, 1, s42
	v_cmp_ne_u32_e64 s61, 0, v88
	s_delay_alu instid0(VALU_DEP_3) | instskip(NEXT) | instid1(VALU_DEP_3)
	v_xor_b32_e32 v88, s60, v15
	v_cmp_ne_u32_e64 s60, 0, v87
	s_delay_alu instid0(VALU_DEP_3) | instskip(SKIP_1) | instid1(VALU_DEP_4)
	v_xor_b32_e32 v87, s61, v66
	v_cmp_ne_u32_e64 s61, 0, v89
	v_and_b32_e32 v88, exec_lo, v88
	s_delay_alu instid0(VALU_DEP_4) | instskip(NEXT) | instid1(VALU_DEP_2)
	v_xor_b32_e32 v89, s60, v67
	v_and_b32_e32 v87, v88, v87
	s_delay_alu instid0(VALU_DEP_4) | instskip(NEXT) | instid1(VALU_DEP_2)
	v_xor_b32_e32 v88, s61, v68
	v_and_b32_e32 v89, v87, v89
	ds_load_b32 v87, v39 offset:32
	; wave barrier
	v_and_b32_e32 v89, v89, v88
	s_delay_alu instid0(VALU_DEP_1) | instskip(SKIP_1) | instid1(VALU_DEP_2)
	v_mbcnt_lo_u32_b32 v88, v89, 0
	v_cmp_ne_u32_e64 s61, 0, v89
	v_cmp_eq_u32_e64 s60, 0, v88
	s_delay_alu instid0(VALU_DEP_1) | instskip(NEXT) | instid1(SALU_CYCLE_1)
	s_and_b32 s61, s61, s60
	s_and_saveexec_b32 s60, s61
	s_cbranch_execz .LBB68_28
; %bb.27:                               ;   in Loop: Header=BB68_2 Depth=1
	s_waitcnt lgkmcnt(0)
	v_bcnt_u32_b32 v89, v89, v87
	ds_store_b32 v39, v89 offset:32
.LBB68_28:                              ;   in Loop: Header=BB68_2 Depth=1
	s_or_b32 exec_lo, exec_lo, s60
	v_cndmask_b32_e64 v89, 0, 1, s76
	v_cndmask_b32_e64 v90, 0, 1, s44
	v_cndmask_b32_e64 v91, 0, 1, s46
	; wave barrier
	s_delay_alu instid0(VALU_DEP_3) | instskip(SKIP_1) | instid1(VALU_DEP_4)
	v_cmp_ne_u32_e64 s60, 0, v89
	v_cndmask_b32_e64 v89, 0, 1, s45
	v_cmp_ne_u32_e64 s61, 0, v90
	s_delay_alu instid0(VALU_DEP_3) | instskip(NEXT) | instid1(VALU_DEP_3)
	v_xor_b32_e32 v90, s60, v16
	v_cmp_ne_u32_e64 s60, 0, v89
	s_delay_alu instid0(VALU_DEP_3) | instskip(SKIP_1) | instid1(VALU_DEP_4)
	v_xor_b32_e32 v89, s61, v69
	v_cmp_ne_u32_e64 s61, 0, v91
	v_and_b32_e32 v90, exec_lo, v90
	s_delay_alu instid0(VALU_DEP_4) | instskip(NEXT) | instid1(VALU_DEP_2)
	v_xor_b32_e32 v91, s60, v70
	v_and_b32_e32 v89, v90, v89
	s_delay_alu instid0(VALU_DEP_4) | instskip(NEXT) | instid1(VALU_DEP_2)
	v_xor_b32_e32 v90, s61, v71
	v_and_b32_e32 v91, v89, v91
	ds_load_b32 v89, v40 offset:32
	; wave barrier
	v_and_b32_e32 v91, v91, v90
	s_delay_alu instid0(VALU_DEP_1) | instskip(SKIP_1) | instid1(VALU_DEP_2)
	v_mbcnt_lo_u32_b32 v90, v91, 0
	v_cmp_ne_u32_e64 s61, 0, v91
	v_cmp_eq_u32_e64 s60, 0, v90
	s_delay_alu instid0(VALU_DEP_1) | instskip(NEXT) | instid1(SALU_CYCLE_1)
	s_and_b32 s61, s61, s60
	s_and_saveexec_b32 s60, s61
	s_cbranch_execz .LBB68_30
; %bb.29:                               ;   in Loop: Header=BB68_2 Depth=1
	s_waitcnt lgkmcnt(0)
	v_bcnt_u32_b32 v91, v91, v89
	ds_store_b32 v40, v91 offset:32
.LBB68_30:                              ;   in Loop: Header=BB68_2 Depth=1
	;; [unrolled: 38-line block ×7, first 2 shown]
	s_or_b32 exec_lo, exec_lo, s60
	; wave barrier
	s_waitcnt lgkmcnt(0)
	s_barrier
	buffer_gl0_inv
	ds_load_b32 v101, v0 offset:32
	s_waitcnt lgkmcnt(0)
	v_mov_b32_dpp v102, v101 row_shr:1 row_mask:0xf bank_mask:0xf
	s_delay_alu instid0(VALU_DEP_1) | instskip(NEXT) | instid1(VALU_DEP_1)
	v_cndmask_b32_e64 v102, v102, 0, s0
	v_add_nc_u32_e32 v101, v102, v101
	s_delay_alu instid0(VALU_DEP_1) | instskip(NEXT) | instid1(VALU_DEP_1)
	v_mov_b32_dpp v102, v101 row_shr:2 row_mask:0xf bank_mask:0xf
	v_cndmask_b32_e64 v102, 0, v102, s1
	s_delay_alu instid0(VALU_DEP_1) | instskip(NEXT) | instid1(VALU_DEP_1)
	v_add_nc_u32_e32 v101, v101, v102
	v_mov_b32_dpp v102, v101 row_shr:4 row_mask:0xf bank_mask:0xf
	s_delay_alu instid0(VALU_DEP_1) | instskip(NEXT) | instid1(VALU_DEP_1)
	v_cndmask_b32_e64 v102, 0, v102, s2
	v_add_nc_u32_e32 v101, v101, v102
	s_delay_alu instid0(VALU_DEP_1) | instskip(NEXT) | instid1(VALU_DEP_1)
	v_mov_b32_dpp v102, v101 row_shr:8 row_mask:0xf bank_mask:0xf
	v_cndmask_b32_e64 v102, 0, v102, s3
	s_delay_alu instid0(VALU_DEP_1) | instskip(SKIP_3) | instid1(VALU_DEP_1)
	v_add_nc_u32_e32 v101, v101, v102
	ds_swizzle_b32 v102, v101 offset:swizzle(BROADCAST,32,15)
	s_waitcnt lgkmcnt(0)
	v_cndmask_b32_e64 v102, v102, 0, s4
	v_add_nc_u32_e32 v101, v101, v102
	s_and_saveexec_b32 s60, s10
	s_cbranch_execz .LBB68_42
; %bb.41:                               ;   in Loop: Header=BB68_2 Depth=1
	ds_store_b32 v3, v101
.LBB68_42:                              ;   in Loop: Header=BB68_2 Depth=1
	s_or_b32 exec_lo, exec_lo, s60
	s_waitcnt lgkmcnt(0)
	s_barrier
	buffer_gl0_inv
	s_and_saveexec_b32 s60, s5
	s_cbranch_execz .LBB68_44
; %bb.43:                               ;   in Loop: Header=BB68_2 Depth=1
	ds_load_b32 v102, v0
	s_waitcnt lgkmcnt(0)
	v_mov_b32_dpp v103, v102 row_shr:1 row_mask:0xf bank_mask:0xf
	s_delay_alu instid0(VALU_DEP_1) | instskip(NEXT) | instid1(VALU_DEP_1)
	v_cndmask_b32_e64 v103, v103, 0, s7
	v_add_nc_u32_e32 v102, v103, v102
	s_delay_alu instid0(VALU_DEP_1) | instskip(NEXT) | instid1(VALU_DEP_1)
	v_mov_b32_dpp v103, v102 row_shr:2 row_mask:0xf bank_mask:0xf
	v_cndmask_b32_e64 v103, 0, v103, s8
	s_delay_alu instid0(VALU_DEP_1) | instskip(NEXT) | instid1(VALU_DEP_1)
	v_add_nc_u32_e32 v102, v102, v103
	v_mov_b32_dpp v103, v102 row_shr:4 row_mask:0xf bank_mask:0xf
	s_delay_alu instid0(VALU_DEP_1) | instskip(NEXT) | instid1(VALU_DEP_1)
	v_cndmask_b32_e64 v103, 0, v103, s9
	v_add_nc_u32_e32 v102, v102, v103
	ds_store_b32 v0, v102
.LBB68_44:                              ;   in Loop: Header=BB68_2 Depth=1
	s_or_b32 exec_lo, exec_lo, s60
	v_mov_b32_e32 v102, 0
	s_waitcnt lgkmcnt(0)
	s_barrier
	buffer_gl0_inv
	s_and_saveexec_b32 s60, s6
	s_cbranch_execz .LBB68_1
; %bb.45:                               ;   in Loop: Header=BB68_2 Depth=1
	ds_load_b32 v102, v5
	s_branch .LBB68_1
.LBB68_46:
	ds_load_b32 v0, v37 offset:32
	ds_load_b32 v2, v39 offset:32
	;; [unrolled: 1-line block ×8, first 2 shown]
	s_lshl_b64 s[0:1], s[64:65], 2
	v_lshlrev_b32_e32 v9, 2, v1
	s_add_u32 s0, s62, s0
	s_addc_u32 s1, s63, s1
	s_waitcnt lgkmcnt(7)
	v_add_nc_u32_e32 v0, v0, v86
	s_waitcnt lgkmcnt(6)
	v_add3_u32 v1, v88, v87, v2
	s_waitcnt lgkmcnt(5)
	v_add3_u32 v2, v90, v89, v3
	;; [unrolled: 2-line block ×7, first 2 shown]
	s_clause 0x1
	global_store_b128 v9, v[0:3], s[0:1]
	global_store_b128 v9, v[4:7], s[0:1] offset:16
	s_nop 0
	s_sendmsg sendmsg(MSG_DEALLOC_VGPRS)
	s_endpgm
	.section	.rodata,"a",@progbits
	.p2align	6, 0x0
	.amdhsa_kernel _Z11rank_kernelIhLj4ELb0EL18RadixRankAlgorithm2ELj256ELj8ELj10EEvPKT_Pi
		.amdhsa_group_segment_fixed_size 1056
		.amdhsa_private_segment_fixed_size 0
		.amdhsa_kernarg_size 272
		.amdhsa_user_sgpr_count 15
		.amdhsa_user_sgpr_dispatch_ptr 0
		.amdhsa_user_sgpr_queue_ptr 0
		.amdhsa_user_sgpr_kernarg_segment_ptr 1
		.amdhsa_user_sgpr_dispatch_id 0
		.amdhsa_user_sgpr_private_segment_size 0
		.amdhsa_wavefront_size32 1
		.amdhsa_uses_dynamic_stack 0
		.amdhsa_enable_private_segment 0
		.amdhsa_system_sgpr_workgroup_id_x 1
		.amdhsa_system_sgpr_workgroup_id_y 0
		.amdhsa_system_sgpr_workgroup_id_z 0
		.amdhsa_system_sgpr_workgroup_info 0
		.amdhsa_system_vgpr_workitem_id 2
		.amdhsa_next_free_vgpr 104
		.amdhsa_next_free_sgpr 83
		.amdhsa_reserve_vcc 1
		.amdhsa_float_round_mode_32 0
		.amdhsa_float_round_mode_16_64 0
		.amdhsa_float_denorm_mode_32 3
		.amdhsa_float_denorm_mode_16_64 3
		.amdhsa_dx10_clamp 1
		.amdhsa_ieee_mode 1
		.amdhsa_fp16_overflow 0
		.amdhsa_workgroup_processor_mode 1
		.amdhsa_memory_ordered 1
		.amdhsa_forward_progress 0
		.amdhsa_shared_vgpr_count 0
		.amdhsa_exception_fp_ieee_invalid_op 0
		.amdhsa_exception_fp_denorm_src 0
		.amdhsa_exception_fp_ieee_div_zero 0
		.amdhsa_exception_fp_ieee_overflow 0
		.amdhsa_exception_fp_ieee_underflow 0
		.amdhsa_exception_fp_ieee_inexact 0
		.amdhsa_exception_int_div_zero 0
	.end_amdhsa_kernel
	.section	.text._Z11rank_kernelIhLj4ELb0EL18RadixRankAlgorithm2ELj256ELj8ELj10EEvPKT_Pi,"axG",@progbits,_Z11rank_kernelIhLj4ELb0EL18RadixRankAlgorithm2ELj256ELj8ELj10EEvPKT_Pi,comdat
.Lfunc_end68:
	.size	_Z11rank_kernelIhLj4ELb0EL18RadixRankAlgorithm2ELj256ELj8ELj10EEvPKT_Pi, .Lfunc_end68-_Z11rank_kernelIhLj4ELb0EL18RadixRankAlgorithm2ELj256ELj8ELj10EEvPKT_Pi
                                        ; -- End function
	.section	.AMDGPU.csdata,"",@progbits
; Kernel info:
; codeLenInByte = 5964
; NumSgprs: 85
; NumVgprs: 104
; ScratchSize: 0
; MemoryBound: 0
; FloatMode: 240
; IeeeMode: 1
; LDSByteSize: 1056 bytes/workgroup (compile time only)
; SGPRBlocks: 10
; VGPRBlocks: 12
; NumSGPRsForWavesPerEU: 85
; NumVGPRsForWavesPerEU: 104
; Occupancy: 12
; WaveLimiterHint : 0
; COMPUTE_PGM_RSRC2:SCRATCH_EN: 0
; COMPUTE_PGM_RSRC2:USER_SGPR: 15
; COMPUTE_PGM_RSRC2:TRAP_HANDLER: 0
; COMPUTE_PGM_RSRC2:TGID_X_EN: 1
; COMPUTE_PGM_RSRC2:TGID_Y_EN: 0
; COMPUTE_PGM_RSRC2:TGID_Z_EN: 0
; COMPUTE_PGM_RSRC2:TIDIG_COMP_CNT: 2
	.section	.text._Z11rank_kernelIhLj4ELb0EL18RadixRankAlgorithm0ELj256ELj16ELj10EEvPKT_Pi,"axG",@progbits,_Z11rank_kernelIhLj4ELb0EL18RadixRankAlgorithm0ELj256ELj16ELj10EEvPKT_Pi,comdat
	.protected	_Z11rank_kernelIhLj4ELb0EL18RadixRankAlgorithm0ELj256ELj16ELj10EEvPKT_Pi ; -- Begin function _Z11rank_kernelIhLj4ELb0EL18RadixRankAlgorithm0ELj256ELj16ELj10EEvPKT_Pi
	.globl	_Z11rank_kernelIhLj4ELb0EL18RadixRankAlgorithm0ELj256ELj16ELj10EEvPKT_Pi
	.p2align	8
	.type	_Z11rank_kernelIhLj4ELb0EL18RadixRankAlgorithm0ELj256ELj16ELj10EEvPKT_Pi,@function
_Z11rank_kernelIhLj4ELb0EL18RadixRankAlgorithm0ELj256ELj16ELj10EEvPKT_Pi: ; @_Z11rank_kernelIhLj4ELb0EL18RadixRankAlgorithm0ELj256ELj16ELj10EEvPKT_Pi
; %bb.0:
	s_load_b128 s[16:19], s[0:1], 0x0
	s_lshl_b32 s12, s15, 12
	v_dual_mov_b32 v2, 0 :: v_dual_lshlrev_b32 v1, 4, v0
	v_mbcnt_lo_u32_b32 v5, -1, 0
	v_or_b32_e32 v8, 31, v0
	v_lshrrev_b32_e32 v10, 3, v0
	v_lshlrev_b32_e32 v4, 2, v0
	v_or_b32_e32 v23, 0xffffff00, v0
	v_add_nc_u32_e32 v9, -1, v5
	v_and_b32_e32 v6, 15, v5
	v_and_b32_e32 v7, 16, v5
	;; [unrolled: 1-line block ×3, first 2 shown]
	v_cmp_eq_u32_e64 s2, 0, v5
	v_cmp_gt_i32_e32 vcc_lo, 0, v9
	v_lshlrev_b32_e32 v3, 5, v0
	v_cmp_eq_u32_e64 s3, 0, v6
	v_cmp_lt_u32_e64 s4, 1, v6
	v_cmp_lt_u32_e64 s5, 3, v6
	;; [unrolled: 1-line block ×3, first 2 shown]
	v_cndmask_b32_e32 v6, v9, v5, vcc_lo
	s_waitcnt lgkmcnt(0)
	s_add_u32 s0, s16, s12
	s_addc_u32 s1, s17, 0
	v_cmp_eq_u32_e64 s7, 0, v7
	global_load_b128 v[19:22], v1, s[0:1]
	v_cmp_gt_u32_e64 s0, 8, v0
	v_cmp_lt_u32_e64 s1, 31, v0
	v_cmp_eq_u32_e64 s8, v8, v0
	v_and_b32_e32 v5, 28, v10
	v_cmp_eq_u32_e64 s9, 0, v11
	v_cmp_lt_u32_e64 s10, 1, v11
	v_cmp_lt_u32_e64 s11, 3, v11
	v_lshlrev_b32_e32 v6, 2, v6
	s_mov_b32 s13, 0
	s_delay_alu instid0(SALU_CYCLE_1)
	s_mov_b32 s14, s13
	s_waitcnt vmcnt(0)
	v_lshrrev_b32_e32 v7, 24, v19
	v_lshrrev_b32_e32 v8, 24, v20
	;; [unrolled: 1-line block ×4, first 2 shown]
	v_and_b32_e32 v11, 0xff, v19
	v_bfe_u32 v12, v19, 8, 8
	v_bfe_u32 v13, v19, 16, 8
	v_and_b32_e32 v14, 0xff, v20
	v_bfe_u32 v15, v20, 8, 8
	v_bfe_u32 v16, v20, 16, 8
	;; [unrolled: 3-line block ×4, first 2 shown]
	s_branch .LBB69_2
.LBB69_1:                               ;   in Loop: Header=BB69_2 Depth=1
	s_add_i32 s14, s14, 1
	s_delay_alu instid0(SALU_CYCLE_1)
	s_cmp_eq_u32 s14, 10
	s_cbranch_scc1 .LBB69_12
.LBB69_2:                               ; =>This Loop Header: Depth=1
                                        ;     Child Loop BB69_4 Depth 2
                                        ;       Child Loop BB69_5 Depth 3
	s_mov_b32 s17, -1
	s_mov_b32 s16, 28
	s_branch .LBB69_4
.LBB69_3:                               ;   in Loop: Header=BB69_4 Depth=2
	s_or_b32 exec_lo, exec_lo, s16
	s_waitcnt lgkmcnt(0)
	v_add_nc_u32_e32 v56, v57, v56
	ds_load_b32 v60, v2 offset:8220
	ds_load_2addr_b32 v[58:59], v3 offset1:1
	s_mov_b32 s16, 24
	s_mov_b32 s17, 0
	s_and_not1_b32 vcc_lo, exec_lo, s15
	ds_bpermute_b32 v56, v6, v56
	s_waitcnt lgkmcnt(0)
	v_cndmask_b32_e64 v61, v56, v57, s2
	ds_load_2addr_b32 v[56:57], v3 offset0:2 offset1:3
	v_lshl_add_u32 v62, v60, 16, v61
	ds_load_2addr_b32 v[60:61], v3 offset0:4 offset1:5
	ds_load_b32 v63, v3 offset:24
	v_add_nc_u32_e32 v58, v62, v58
	s_delay_alu instid0(VALU_DEP_1) | instskip(SKIP_1) | instid1(VALU_DEP_1)
	v_add_nc_u32_e32 v59, v59, v58
	s_waitcnt lgkmcnt(2)
	v_add_nc_u32_e32 v56, v56, v59
	s_delay_alu instid0(VALU_DEP_1) | instskip(SKIP_1) | instid1(VALU_DEP_1)
	v_add_nc_u32_e32 v57, v57, v56
	s_waitcnt lgkmcnt(1)
	;; [unrolled: 4-line block ×3, first 2 shown]
	v_add_nc_u32_e32 v63, v63, v61
	ds_store_2addr_b32 v3, v62, v58 offset1:1
	ds_store_2addr_b32 v3, v59, v56 offset0:2 offset1:3
	ds_store_2addr_b32 v3, v57, v60 offset0:4 offset1:5
	;; [unrolled: 1-line block ×3, first 2 shown]
	s_waitcnt lgkmcnt(0)
	s_barrier
	buffer_gl0_inv
	s_cbranch_vccz .LBB69_1
.LBB69_4:                               ;   Parent Loop BB69_2 Depth=1
                                        ; =>  This Loop Header: Depth=2
                                        ;       Child Loop BB69_5 Depth 3
	v_dual_mov_b32 v24, v23 :: v_dual_mov_b32 v25, v4
	s_xor_b32 s15, s17, -1
	s_mov_b32 s17, 0
.LBB69_5:                               ;   Parent Loop BB69_2 Depth=1
                                        ;     Parent Loop BB69_4 Depth=2
                                        ; =>    This Inner Loop Header: Depth=3
	s_delay_alu instid0(VALU_DEP_1) | instskip(SKIP_4) | instid1(SALU_CYCLE_1)
	v_add_nc_u32_e32 v24, 0x100, v24
	ds_store_b32 v25, v2
	v_add_nc_u32_e32 v25, 0x400, v25
	v_cmp_lt_u32_e32 vcc_lo, 0x6ff, v24
	s_or_b32 s17, vcc_lo, s17
	s_and_not1_b32 exec_lo, exec_lo, s17
	s_cbranch_execnz .LBB69_5
; %bb.6:                                ;   in Loop: Header=BB69_4 Depth=2
	s_or_b32 exec_lo, exec_lo, s17
	v_lshlrev_b32_e32 v24, s16, v11
	s_delay_alu instid0(VALU_DEP_1) | instskip(NEXT) | instid1(VALU_DEP_1)
	v_lshrrev_b32_e32 v25, 20, v24
	v_and_or_b32 v25, 0x700, v25, v0
	s_delay_alu instid0(VALU_DEP_1) | instskip(SKIP_1) | instid1(VALU_DEP_2)
	v_alignbit_b32 v24, v25, v24, 31
	v_lshlrev_b32_e32 v25, s16, v12
	v_lshlrev_b32_e32 v24, 1, v24
	s_delay_alu instid0(VALU_DEP_2) | instskip(SKIP_2) | instid1(VALU_DEP_1)
	v_lshrrev_b32_e32 v26, 20, v25
	ds_load_u16 v27, v24
	v_and_or_b32 v26, 0x700, v26, v0
	v_alignbit_b32 v25, v26, v25, 31
	s_delay_alu instid0(VALU_DEP_1)
	v_lshlrev_b32_e32 v25, 1, v25
	s_waitcnt lgkmcnt(0)
	v_add_nc_u16 v26, v27, 1
	ds_store_b16 v24, v26
	ds_load_u16 v29, v25
	v_lshlrev_b32_e32 v26, s16, v13
	s_delay_alu instid0(VALU_DEP_1) | instskip(NEXT) | instid1(VALU_DEP_1)
	v_lshrrev_b32_e32 v28, 20, v26
	v_and_or_b32 v28, 0x700, v28, v0
	s_delay_alu instid0(VALU_DEP_1) | instskip(SKIP_2) | instid1(VALU_DEP_2)
	v_alignbit_b32 v26, v28, v26, 31
	s_waitcnt lgkmcnt(0)
	v_add_nc_u16 v28, v29, 1
	v_lshlrev_b32_e32 v26, 1, v26
	ds_store_b16 v25, v28
	ds_load_u16 v31, v26
	v_lshlrev_b32_e32 v28, s16, v7
	s_delay_alu instid0(VALU_DEP_1) | instskip(NEXT) | instid1(VALU_DEP_1)
	v_lshrrev_b32_e32 v30, 20, v28
	v_and_or_b32 v30, 0x700, v30, v0
	s_delay_alu instid0(VALU_DEP_1) | instskip(SKIP_2) | instid1(VALU_DEP_2)
	v_alignbit_b32 v28, v30, v28, 31
	s_waitcnt lgkmcnt(0)
	v_add_nc_u16 v30, v31, 1
	v_lshlrev_b32_e32 v28, 1, v28
	;; [unrolled: 11-line block ×9, first 2 shown]
	v_lshlrev_b32_e32 v43, s16, v9
	ds_store_b16 v41, v46
	ds_load_u16 v48, v44
	v_lshrrev_b32_e32 v46, 20, v43
	s_delay_alu instid0(VALU_DEP_1) | instskip(NEXT) | instid1(VALU_DEP_1)
	v_and_or_b32 v46, 0x700, v46, v0
	v_alignbit_b32 v43, v46, v43, 31
	s_delay_alu instid0(VALU_DEP_1)
	v_lshlrev_b32_e32 v47, 1, v43
	s_waitcnt lgkmcnt(0)
	v_add_nc_u16 v46, v48, 1
	ds_store_b16 v44, v46
	ds_load_u16 v43, v47
	v_lshlrev_b32_e32 v46, s16, v20
	s_delay_alu instid0(VALU_DEP_1) | instskip(NEXT) | instid1(VALU_DEP_1)
	v_lshrrev_b32_e32 v49, 20, v46
	v_and_or_b32 v49, 0x700, v49, v0
	s_delay_alu instid0(VALU_DEP_1) | instskip(SKIP_2) | instid1(VALU_DEP_2)
	v_alignbit_b32 v46, v49, v46, 31
	s_waitcnt lgkmcnt(0)
	v_add_nc_u16 v49, v43, 1
	v_lshlrev_b32_e32 v50, 1, v46
	ds_store_b16 v47, v49
	ds_load_u16 v46, v50
	v_lshlrev_b32_e32 v49, s16, v21
	s_delay_alu instid0(VALU_DEP_1) | instskip(NEXT) | instid1(VALU_DEP_1)
	v_lshrrev_b32_e32 v51, 20, v49
	v_and_or_b32 v51, 0x700, v51, v0
	s_delay_alu instid0(VALU_DEP_1) | instskip(SKIP_2) | instid1(VALU_DEP_2)
	v_alignbit_b32 v49, v51, v49, 31
	s_waitcnt lgkmcnt(0)
	v_add_nc_u16 v51, v46, 1
	v_lshlrev_b32_e32 v52, 1, v49
	;; [unrolled: 11-line block ×4, first 2 shown]
	ds_store_b16 v54, v56
	ds_load_u16 v53, v55
	s_waitcnt lgkmcnt(0)
	v_add_nc_u16 v56, v53, 1
	ds_store_b16 v55, v56
	s_waitcnt lgkmcnt(0)
	s_barrier
	buffer_gl0_inv
	ds_load_2addr_b32 v[56:57], v3 offset1:1
	ds_load_2addr_b32 v[58:59], v3 offset0:2 offset1:3
	ds_load_2addr_b32 v[60:61], v3 offset0:4 offset1:5
	;; [unrolled: 1-line block ×3, first 2 shown]
	s_waitcnt lgkmcnt(3)
	v_add_nc_u32_e32 v56, v57, v56
	s_waitcnt lgkmcnt(2)
	s_delay_alu instid0(VALU_DEP_1) | instskip(SKIP_1) | instid1(VALU_DEP_1)
	v_add3_u32 v56, v56, v58, v59
	s_waitcnt lgkmcnt(1)
	v_add3_u32 v56, v56, v60, v61
	s_waitcnt lgkmcnt(0)
	s_delay_alu instid0(VALU_DEP_1) | instskip(NEXT) | instid1(VALU_DEP_1)
	v_add3_u32 v56, v56, v62, v63
	v_mov_b32_dpp v57, v56 row_shr:1 row_mask:0xf bank_mask:0xf
	s_delay_alu instid0(VALU_DEP_1) | instskip(NEXT) | instid1(VALU_DEP_1)
	v_cndmask_b32_e64 v57, v57, 0, s3
	v_add_nc_u32_e32 v56, v57, v56
	s_delay_alu instid0(VALU_DEP_1) | instskip(NEXT) | instid1(VALU_DEP_1)
	v_mov_b32_dpp v57, v56 row_shr:2 row_mask:0xf bank_mask:0xf
	v_cndmask_b32_e64 v57, 0, v57, s4
	s_delay_alu instid0(VALU_DEP_1) | instskip(NEXT) | instid1(VALU_DEP_1)
	v_add_nc_u32_e32 v56, v56, v57
	v_mov_b32_dpp v57, v56 row_shr:4 row_mask:0xf bank_mask:0xf
	s_delay_alu instid0(VALU_DEP_1) | instskip(NEXT) | instid1(VALU_DEP_1)
	v_cndmask_b32_e64 v57, 0, v57, s5
	v_add_nc_u32_e32 v56, v56, v57
	s_delay_alu instid0(VALU_DEP_1) | instskip(NEXT) | instid1(VALU_DEP_1)
	v_mov_b32_dpp v57, v56 row_shr:8 row_mask:0xf bank_mask:0xf
	v_cndmask_b32_e64 v57, 0, v57, s6
	s_delay_alu instid0(VALU_DEP_1) | instskip(SKIP_3) | instid1(VALU_DEP_1)
	v_add_nc_u32_e32 v56, v56, v57
	ds_swizzle_b32 v57, v56 offset:swizzle(BROADCAST,32,15)
	s_waitcnt lgkmcnt(0)
	v_cndmask_b32_e64 v57, v57, 0, s7
	v_add_nc_u32_e32 v56, v56, v57
	s_and_saveexec_b32 s16, s8
	s_cbranch_execz .LBB69_8
; %bb.7:                                ;   in Loop: Header=BB69_4 Depth=2
	ds_store_b32 v5, v56 offset:8192
.LBB69_8:                               ;   in Loop: Header=BB69_4 Depth=2
	s_or_b32 exec_lo, exec_lo, s16
	s_waitcnt lgkmcnt(0)
	s_barrier
	buffer_gl0_inv
	s_and_saveexec_b32 s16, s0
	s_cbranch_execz .LBB69_10
; %bb.9:                                ;   in Loop: Header=BB69_4 Depth=2
	ds_load_b32 v57, v4 offset:8192
	s_waitcnt lgkmcnt(0)
	v_mov_b32_dpp v58, v57 row_shr:1 row_mask:0xf bank_mask:0xf
	s_delay_alu instid0(VALU_DEP_1) | instskip(NEXT) | instid1(VALU_DEP_1)
	v_cndmask_b32_e64 v58, v58, 0, s9
	v_add_nc_u32_e32 v57, v58, v57
	s_delay_alu instid0(VALU_DEP_1) | instskip(NEXT) | instid1(VALU_DEP_1)
	v_mov_b32_dpp v58, v57 row_shr:2 row_mask:0xf bank_mask:0xf
	v_cndmask_b32_e64 v58, 0, v58, s10
	s_delay_alu instid0(VALU_DEP_1) | instskip(NEXT) | instid1(VALU_DEP_1)
	v_add_nc_u32_e32 v57, v57, v58
	v_mov_b32_dpp v58, v57 row_shr:4 row_mask:0xf bank_mask:0xf
	s_delay_alu instid0(VALU_DEP_1) | instskip(NEXT) | instid1(VALU_DEP_1)
	v_cndmask_b32_e64 v58, 0, v58, s11
	v_add_nc_u32_e32 v57, v57, v58
	ds_store_b32 v4, v57 offset:8192
.LBB69_10:                              ;   in Loop: Header=BB69_4 Depth=2
	s_or_b32 exec_lo, exec_lo, s16
	v_mov_b32_e32 v57, 0
	s_waitcnt lgkmcnt(0)
	s_barrier
	buffer_gl0_inv
	s_and_saveexec_b32 s16, s1
	s_cbranch_execz .LBB69_3
; %bb.11:                               ;   in Loop: Header=BB69_4 Depth=2
	ds_load_b32 v57, v5 offset:8188
	s_branch .LBB69_3
.LBB69_12:
	v_and_b32_e32 v0, 0xffff, v27
	v_and_b32_e32 v10, 0xffff, v29
	ds_load_u16 v2, v55
	ds_load_u16 v3, v54
	;; [unrolled: 1-line block ×16, first 2 shown]
	v_and_b32_e32 v14, 0xffff, v31
	v_and_b32_e32 v15, 0xffff, v33
	;; [unrolled: 1-line block ×14, first 2 shown]
	s_waitcnt lgkmcnt(15)
	v_add_nc_u32_e32 v5, v2, v4
	s_waitcnt lgkmcnt(14)
	v_add_nc_u32_e32 v4, v3, v30
	;; [unrolled: 2-line block ×9, first 2 shown]
	s_lshl_b64 s[0:1], s[12:13], 2
	v_lshlrev_b32_e32 v0, 2, v1
	v_add_nc_u32_e32 v13, v22, v13
	v_add_nc_u32_e32 v12, v23, v12
	;; [unrolled: 1-line block ×7, first 2 shown]
	s_add_u32 s0, s18, s0
	s_addc_u32 s1, s19, s1
	s_clause 0x3
	global_store_b128 v0, v[14:17], s[0:1]
	global_store_b128 v0, v[10:13], s[0:1] offset:16
	global_store_b128 v0, v[6:9], s[0:1] offset:32
	;; [unrolled: 1-line block ×3, first 2 shown]
	s_nop 0
	s_sendmsg sendmsg(MSG_DEALLOC_VGPRS)
	s_endpgm
	.section	.rodata,"a",@progbits
	.p2align	6, 0x0
	.amdhsa_kernel _Z11rank_kernelIhLj4ELb0EL18RadixRankAlgorithm0ELj256ELj16ELj10EEvPKT_Pi
		.amdhsa_group_segment_fixed_size 8224
		.amdhsa_private_segment_fixed_size 0
		.amdhsa_kernarg_size 16
		.amdhsa_user_sgpr_count 15
		.amdhsa_user_sgpr_dispatch_ptr 0
		.amdhsa_user_sgpr_queue_ptr 0
		.amdhsa_user_sgpr_kernarg_segment_ptr 1
		.amdhsa_user_sgpr_dispatch_id 0
		.amdhsa_user_sgpr_private_segment_size 0
		.amdhsa_wavefront_size32 1
		.amdhsa_uses_dynamic_stack 0
		.amdhsa_enable_private_segment 0
		.amdhsa_system_sgpr_workgroup_id_x 1
		.amdhsa_system_sgpr_workgroup_id_y 0
		.amdhsa_system_sgpr_workgroup_id_z 0
		.amdhsa_system_sgpr_workgroup_info 0
		.amdhsa_system_vgpr_workitem_id 0
		.amdhsa_next_free_vgpr 64
		.amdhsa_next_free_sgpr 20
		.amdhsa_reserve_vcc 1
		.amdhsa_float_round_mode_32 0
		.amdhsa_float_round_mode_16_64 0
		.amdhsa_float_denorm_mode_32 3
		.amdhsa_float_denorm_mode_16_64 3
		.amdhsa_dx10_clamp 1
		.amdhsa_ieee_mode 1
		.amdhsa_fp16_overflow 0
		.amdhsa_workgroup_processor_mode 1
		.amdhsa_memory_ordered 1
		.amdhsa_forward_progress 0
		.amdhsa_shared_vgpr_count 0
		.amdhsa_exception_fp_ieee_invalid_op 0
		.amdhsa_exception_fp_denorm_src 0
		.amdhsa_exception_fp_ieee_div_zero 0
		.amdhsa_exception_fp_ieee_overflow 0
		.amdhsa_exception_fp_ieee_underflow 0
		.amdhsa_exception_fp_ieee_inexact 0
		.amdhsa_exception_int_div_zero 0
	.end_amdhsa_kernel
	.section	.text._Z11rank_kernelIhLj4ELb0EL18RadixRankAlgorithm0ELj256ELj16ELj10EEvPKT_Pi,"axG",@progbits,_Z11rank_kernelIhLj4ELb0EL18RadixRankAlgorithm0ELj256ELj16ELj10EEvPKT_Pi,comdat
.Lfunc_end69:
	.size	_Z11rank_kernelIhLj4ELb0EL18RadixRankAlgorithm0ELj256ELj16ELj10EEvPKT_Pi, .Lfunc_end69-_Z11rank_kernelIhLj4ELb0EL18RadixRankAlgorithm0ELj256ELj16ELj10EEvPKT_Pi
                                        ; -- End function
	.section	.AMDGPU.csdata,"",@progbits
; Kernel info:
; codeLenInByte = 2544
; NumSgprs: 22
; NumVgprs: 64
; ScratchSize: 0
; MemoryBound: 0
; FloatMode: 240
; IeeeMode: 1
; LDSByteSize: 8224 bytes/workgroup (compile time only)
; SGPRBlocks: 2
; VGPRBlocks: 7
; NumSGPRsForWavesPerEU: 22
; NumVGPRsForWavesPerEU: 64
; Occupancy: 16
; WaveLimiterHint : 0
; COMPUTE_PGM_RSRC2:SCRATCH_EN: 0
; COMPUTE_PGM_RSRC2:USER_SGPR: 15
; COMPUTE_PGM_RSRC2:TRAP_HANDLER: 0
; COMPUTE_PGM_RSRC2:TGID_X_EN: 1
; COMPUTE_PGM_RSRC2:TGID_Y_EN: 0
; COMPUTE_PGM_RSRC2:TGID_Z_EN: 0
; COMPUTE_PGM_RSRC2:TIDIG_COMP_CNT: 0
	.section	.text._Z11rank_kernelIhLj4ELb0EL18RadixRankAlgorithm1ELj256ELj16ELj10EEvPKT_Pi,"axG",@progbits,_Z11rank_kernelIhLj4ELb0EL18RadixRankAlgorithm1ELj256ELj16ELj10EEvPKT_Pi,comdat
	.protected	_Z11rank_kernelIhLj4ELb0EL18RadixRankAlgorithm1ELj256ELj16ELj10EEvPKT_Pi ; -- Begin function _Z11rank_kernelIhLj4ELb0EL18RadixRankAlgorithm1ELj256ELj16ELj10EEvPKT_Pi
	.globl	_Z11rank_kernelIhLj4ELb0EL18RadixRankAlgorithm1ELj256ELj16ELj10EEvPKT_Pi
	.p2align	8
	.type	_Z11rank_kernelIhLj4ELb0EL18RadixRankAlgorithm1ELj256ELj16ELj10EEvPKT_Pi,@function
_Z11rank_kernelIhLj4ELb0EL18RadixRankAlgorithm1ELj256ELj16ELj10EEvPKT_Pi: ; @_Z11rank_kernelIhLj4ELb0EL18RadixRankAlgorithm1ELj256ELj16ELj10EEvPKT_Pi
; %bb.0:
	s_load_b128 s[16:19], s[0:1], 0x0
	s_lshl_b32 s12, s15, 12
	v_dual_mov_b32 v10, 0 :: v_dual_lshlrev_b32 v9, 4, v0
	v_mbcnt_lo_u32_b32 v5, -1, 0
	v_or_b32_e32 v8, 31, v0
	v_lshrrev_b32_e32 v14, 3, v0
	v_lshlrev_b32_e32 v11, 5, v0
	v_or_b32_e32 v31, 0xffffff00, v0
	v_add_nc_u32_e32 v13, -1, v5
	v_and_b32_e32 v6, 15, v5
	v_and_b32_e32 v7, 16, v5
	v_cmp_eq_u32_e64 s2, 0, v5
	v_and_b32_e32 v15, 7, v5
	v_cmp_gt_i32_e32 vcc_lo, 0, v13
	v_lshlrev_b32_e32 v12, 2, v0
	v_cmp_eq_u32_e64 s3, 0, v6
	v_cmp_lt_u32_e64 s4, 1, v6
	v_cmp_lt_u32_e64 s5, 3, v6
	v_cndmask_b32_e32 v5, v13, v5, vcc_lo
	s_waitcnt lgkmcnt(0)
	s_add_u32 s0, s16, s12
	s_addc_u32 s1, s17, 0
	v_cmp_lt_u32_e64 s6, 7, v6
	global_load_b128 v[1:4], v9, s[0:1]
	v_cmp_gt_u32_e64 s0, 8, v0
	v_cmp_lt_u32_e64 s1, 31, v0
	v_cmp_eq_u32_e64 s7, 0, v7
	v_cmp_eq_u32_e64 s8, v8, v0
	v_and_b32_e32 v13, 28, v14
	v_cmp_eq_u32_e64 s9, 0, v15
	v_cmp_lt_u32_e64 s10, 1, v15
	v_cmp_lt_u32_e64 s11, 3, v15
	v_lshlrev_b32_e32 v14, 2, v5
	s_mov_b32 s13, 0
	s_delay_alu instid0(SALU_CYCLE_1)
	s_mov_b32 s14, s13
	s_waitcnt vmcnt(0)
	v_lshrrev_b32_e32 v15, 24, v1
	v_lshrrev_b32_e32 v16, 24, v2
	;; [unrolled: 1-line block ×4, first 2 shown]
	v_and_b32_e32 v19, 0xff, v1
	v_bfe_u32 v20, v1, 8, 8
	v_bfe_u32 v21, v1, 16, 8
	v_and_b32_e32 v22, 0xff, v2
	v_bfe_u32 v23, v2, 8, 8
	v_bfe_u32 v24, v2, 16, 8
	;; [unrolled: 3-line block ×4, first 2 shown]
	s_branch .LBB70_2
.LBB70_1:                               ;   in Loop: Header=BB70_2 Depth=1
	s_add_i32 s14, s14, 1
	s_delay_alu instid0(SALU_CYCLE_1)
	s_cmp_eq_u32 s14, 10
	s_cbranch_scc1 .LBB70_12
.LBB70_2:                               ; =>This Loop Header: Depth=1
                                        ;     Child Loop BB70_4 Depth 2
                                        ;       Child Loop BB70_5 Depth 3
	s_mov_b32 s17, -1
	s_mov_b32 s16, 28
	s_branch .LBB70_4
.LBB70_3:                               ;   in Loop: Header=BB70_4 Depth=2
	s_or_b32 exec_lo, exec_lo, s16
	s_waitcnt lgkmcnt(0)
	v_add_nc_u32_e32 v2, v64, v2
	ds_load_b32 v65, v10 offset:8220
	s_mov_b32 s16, 24
	s_mov_b32 s17, 0
	s_and_not1_b32 vcc_lo, exec_lo, s15
	ds_bpermute_b32 v2, v14, v2
	s_waitcnt lgkmcnt(0)
	v_cndmask_b32_e64 v2, v2, v64, s2
	s_delay_alu instid0(VALU_DEP_1) | instskip(NEXT) | instid1(VALU_DEP_1)
	v_lshl_add_u32 v2, v65, 16, v2
	v_add_nc_u32_e32 v7, v2, v7
	s_delay_alu instid0(VALU_DEP_1) | instskip(NEXT) | instid1(VALU_DEP_1)
	v_add_nc_u32_e32 v8, v7, v8
	v_add_nc_u32_e32 v5, v8, v5
	s_delay_alu instid0(VALU_DEP_1) | instskip(NEXT) | instid1(VALU_DEP_1)
	v_add_nc_u32_e32 v6, v5, v6
	;; [unrolled: 3-line block ×3, first 2 shown]
	v_add_nc_u32_e32 v1, v4, v1
	ds_store_2addr_b32 v11, v2, v7 offset1:1
	ds_store_2addr_b32 v11, v8, v5 offset0:2 offset1:3
	ds_store_2addr_b32 v11, v6, v3 offset0:4 offset1:5
	;; [unrolled: 1-line block ×3, first 2 shown]
	s_waitcnt lgkmcnt(0)
	s_barrier
	buffer_gl0_inv
	s_cbranch_vccz .LBB70_1
.LBB70_4:                               ;   Parent Loop BB70_2 Depth=1
                                        ; =>  This Loop Header: Depth=2
                                        ;       Child Loop BB70_5 Depth 3
	v_dual_mov_b32 v1, v31 :: v_dual_mov_b32 v2, v12
	s_xor_b32 s15, s17, -1
	s_mov_b32 s17, 0
.LBB70_5:                               ;   Parent Loop BB70_2 Depth=1
                                        ;     Parent Loop BB70_4 Depth=2
                                        ; =>    This Inner Loop Header: Depth=3
	s_delay_alu instid0(VALU_DEP_1) | instskip(SKIP_4) | instid1(SALU_CYCLE_1)
	v_add_nc_u32_e32 v1, 0x100, v1
	ds_store_b32 v2, v10
	v_add_nc_u32_e32 v2, 0x400, v2
	v_cmp_lt_u32_e32 vcc_lo, 0x6ff, v1
	s_or_b32 s17, vcc_lo, s17
	s_and_not1_b32 exec_lo, exec_lo, s17
	s_cbranch_execnz .LBB70_5
; %bb.6:                                ;   in Loop: Header=BB70_4 Depth=2
	s_or_b32 exec_lo, exec_lo, s17
	v_lshlrev_b32_e32 v1, s16, v19
	s_delay_alu instid0(VALU_DEP_1) | instskip(NEXT) | instid1(VALU_DEP_1)
	v_lshrrev_b32_e32 v2, 20, v1
	v_and_or_b32 v2, 0x700, v2, v0
	s_delay_alu instid0(VALU_DEP_1) | instskip(NEXT) | instid1(VALU_DEP_1)
	v_alignbit_b32 v1, v2, v1, 31
	v_lshlrev_b32_e32 v32, 1, v1
	v_lshlrev_b32_e32 v1, s16, v20
	ds_load_u16 v35, v32
	v_lshrrev_b32_e32 v2, 20, v1
	s_delay_alu instid0(VALU_DEP_1) | instskip(NEXT) | instid1(VALU_DEP_1)
	v_and_or_b32 v2, 0x700, v2, v0
	v_alignbit_b32 v1, v2, v1, 31
	s_delay_alu instid0(VALU_DEP_1)
	v_lshlrev_b32_e32 v33, 1, v1
	v_lshlrev_b32_e32 v1, s16, v21
	s_waitcnt lgkmcnt(0)
	v_add_nc_u16 v2, v35, 1
	ds_store_b16 v32, v2
	ds_load_u16 v37, v33
	v_lshrrev_b32_e32 v2, 20, v1
	s_delay_alu instid0(VALU_DEP_1) | instskip(NEXT) | instid1(VALU_DEP_1)
	v_and_or_b32 v2, 0x700, v2, v0
	v_alignbit_b32 v1, v2, v1, 31
	s_delay_alu instid0(VALU_DEP_1)
	v_lshlrev_b32_e32 v34, 1, v1
	v_lshlrev_b32_e32 v1, s16, v15
	s_waitcnt lgkmcnt(0)
	v_add_nc_u16 v2, v37, 1
	ds_store_b16 v33, v2
	;; [unrolled: 11-line block ×14, first 2 shown]
	ds_load_u16 v59, v62
	v_lshrrev_b32_e32 v2, 20, v1
	s_delay_alu instid0(VALU_DEP_1) | instskip(NEXT) | instid1(VALU_DEP_1)
	v_and_or_b32 v2, 0x700, v2, v0
	v_alignbit_b32 v1, v2, v1, 31
	s_delay_alu instid0(VALU_DEP_1)
	v_lshlrev_b32_e32 v63, 1, v1
	s_waitcnt lgkmcnt(0)
	v_add_nc_u16 v2, v59, 1
	ds_store_b16 v62, v2
	ds_load_u16 v61, v63
	s_waitcnt lgkmcnt(0)
	v_add_nc_u16 v1, v61, 1
	ds_store_b16 v63, v1
	s_waitcnt lgkmcnt(0)
	s_barrier
	buffer_gl0_inv
	ds_load_2addr_b32 v[7:8], v11 offset1:1
	ds_load_2addr_b32 v[5:6], v11 offset0:2 offset1:3
	ds_load_2addr_b32 v[3:4], v11 offset0:4 offset1:5
	;; [unrolled: 1-line block ×3, first 2 shown]
	s_waitcnt lgkmcnt(3)
	v_add_nc_u32_e32 v64, v8, v7
	s_waitcnt lgkmcnt(2)
	s_delay_alu instid0(VALU_DEP_1) | instskip(SKIP_1) | instid1(VALU_DEP_1)
	v_add3_u32 v64, v64, v5, v6
	s_waitcnt lgkmcnt(1)
	v_add3_u32 v64, v64, v3, v4
	s_waitcnt lgkmcnt(0)
	s_delay_alu instid0(VALU_DEP_1) | instskip(NEXT) | instid1(VALU_DEP_1)
	v_add3_u32 v2, v64, v1, v2
	v_mov_b32_dpp v64, v2 row_shr:1 row_mask:0xf bank_mask:0xf
	s_delay_alu instid0(VALU_DEP_1) | instskip(NEXT) | instid1(VALU_DEP_1)
	v_cndmask_b32_e64 v64, v64, 0, s3
	v_add_nc_u32_e32 v2, v64, v2
	s_delay_alu instid0(VALU_DEP_1) | instskip(NEXT) | instid1(VALU_DEP_1)
	v_mov_b32_dpp v64, v2 row_shr:2 row_mask:0xf bank_mask:0xf
	v_cndmask_b32_e64 v64, 0, v64, s4
	s_delay_alu instid0(VALU_DEP_1) | instskip(NEXT) | instid1(VALU_DEP_1)
	v_add_nc_u32_e32 v2, v2, v64
	v_mov_b32_dpp v64, v2 row_shr:4 row_mask:0xf bank_mask:0xf
	s_delay_alu instid0(VALU_DEP_1) | instskip(NEXT) | instid1(VALU_DEP_1)
	v_cndmask_b32_e64 v64, 0, v64, s5
	v_add_nc_u32_e32 v2, v2, v64
	s_delay_alu instid0(VALU_DEP_1) | instskip(NEXT) | instid1(VALU_DEP_1)
	v_mov_b32_dpp v64, v2 row_shr:8 row_mask:0xf bank_mask:0xf
	v_cndmask_b32_e64 v64, 0, v64, s6
	s_delay_alu instid0(VALU_DEP_1) | instskip(SKIP_3) | instid1(VALU_DEP_1)
	v_add_nc_u32_e32 v2, v2, v64
	ds_swizzle_b32 v64, v2 offset:swizzle(BROADCAST,32,15)
	s_waitcnt lgkmcnt(0)
	v_cndmask_b32_e64 v64, v64, 0, s7
	v_add_nc_u32_e32 v2, v2, v64
	s_and_saveexec_b32 s16, s8
	s_cbranch_execz .LBB70_8
; %bb.7:                                ;   in Loop: Header=BB70_4 Depth=2
	ds_store_b32 v13, v2 offset:8192
.LBB70_8:                               ;   in Loop: Header=BB70_4 Depth=2
	s_or_b32 exec_lo, exec_lo, s16
	s_waitcnt lgkmcnt(0)
	s_barrier
	buffer_gl0_inv
	s_and_saveexec_b32 s16, s0
	s_cbranch_execz .LBB70_10
; %bb.9:                                ;   in Loop: Header=BB70_4 Depth=2
	ds_load_b32 v64, v12 offset:8192
	s_waitcnt lgkmcnt(0)
	v_mov_b32_dpp v65, v64 row_shr:1 row_mask:0xf bank_mask:0xf
	s_delay_alu instid0(VALU_DEP_1) | instskip(NEXT) | instid1(VALU_DEP_1)
	v_cndmask_b32_e64 v65, v65, 0, s9
	v_add_nc_u32_e32 v64, v65, v64
	s_delay_alu instid0(VALU_DEP_1) | instskip(NEXT) | instid1(VALU_DEP_1)
	v_mov_b32_dpp v65, v64 row_shr:2 row_mask:0xf bank_mask:0xf
	v_cndmask_b32_e64 v65, 0, v65, s10
	s_delay_alu instid0(VALU_DEP_1) | instskip(NEXT) | instid1(VALU_DEP_1)
	v_add_nc_u32_e32 v64, v64, v65
	v_mov_b32_dpp v65, v64 row_shr:4 row_mask:0xf bank_mask:0xf
	s_delay_alu instid0(VALU_DEP_1) | instskip(NEXT) | instid1(VALU_DEP_1)
	v_cndmask_b32_e64 v65, 0, v65, s11
	v_add_nc_u32_e32 v64, v64, v65
	ds_store_b32 v12, v64 offset:8192
.LBB70_10:                              ;   in Loop: Header=BB70_4 Depth=2
	s_or_b32 exec_lo, exec_lo, s16
	v_mov_b32_e32 v64, 0
	s_waitcnt lgkmcnt(0)
	s_barrier
	buffer_gl0_inv
	s_and_saveexec_b32 s16, s1
	s_cbranch_execz .LBB70_3
; %bb.11:                               ;   in Loop: Header=BB70_4 Depth=2
	ds_load_b32 v64, v13 offset:8188
	s_branch .LBB70_3
.LBB70_12:
	ds_load_u16 v0, v63
	ds_load_u16 v1, v62
	;; [unrolled: 1-line block ×16, first 2 shown]
	v_and_b32_e32 v8, 0xffff, v35
	v_and_b32_e32 v13, 0xffff, v37
	;; [unrolled: 1-line block ×16, first 2 shown]
	s_waitcnt lgkmcnt(15)
	v_add_nc_u32_e32 v3, v0, v2
	s_waitcnt lgkmcnt(12)
	v_add_nc_u32_e32 v0, v16, v32
	;; [unrolled: 2-line block ×6, first 2 shown]
	s_lshl_b64 s[0:1], s[12:13], 2
	v_lshlrev_b32_e32 v8, 2, v9
	v_add_nc_u32_e32 v12, v22, v12
	v_add_nc_u32_e32 v11, v23, v11
	;; [unrolled: 1-line block ×10, first 2 shown]
	s_add_u32 s0, s18, s0
	s_addc_u32 s1, s19, s1
	s_clause 0x3
	global_store_b128 v8, v[13:16], s[0:1]
	global_store_b128 v8, v[9:12], s[0:1] offset:16
	global_store_b128 v8, v[4:7], s[0:1] offset:32
	global_store_b128 v8, v[0:3], s[0:1] offset:48
	s_nop 0
	s_sendmsg sendmsg(MSG_DEALLOC_VGPRS)
	s_endpgm
	.section	.rodata,"a",@progbits
	.p2align	6, 0x0
	.amdhsa_kernel _Z11rank_kernelIhLj4ELb0EL18RadixRankAlgorithm1ELj256ELj16ELj10EEvPKT_Pi
		.amdhsa_group_segment_fixed_size 8224
		.amdhsa_private_segment_fixed_size 0
		.amdhsa_kernarg_size 16
		.amdhsa_user_sgpr_count 15
		.amdhsa_user_sgpr_dispatch_ptr 0
		.amdhsa_user_sgpr_queue_ptr 0
		.amdhsa_user_sgpr_kernarg_segment_ptr 1
		.amdhsa_user_sgpr_dispatch_id 0
		.amdhsa_user_sgpr_private_segment_size 0
		.amdhsa_wavefront_size32 1
		.amdhsa_uses_dynamic_stack 0
		.amdhsa_enable_private_segment 0
		.amdhsa_system_sgpr_workgroup_id_x 1
		.amdhsa_system_sgpr_workgroup_id_y 0
		.amdhsa_system_sgpr_workgroup_id_z 0
		.amdhsa_system_sgpr_workgroup_info 0
		.amdhsa_system_vgpr_workitem_id 0
		.amdhsa_next_free_vgpr 66
		.amdhsa_next_free_sgpr 20
		.amdhsa_reserve_vcc 1
		.amdhsa_float_round_mode_32 0
		.amdhsa_float_round_mode_16_64 0
		.amdhsa_float_denorm_mode_32 3
		.amdhsa_float_denorm_mode_16_64 3
		.amdhsa_dx10_clamp 1
		.amdhsa_ieee_mode 1
		.amdhsa_fp16_overflow 0
		.amdhsa_workgroup_processor_mode 1
		.amdhsa_memory_ordered 1
		.amdhsa_forward_progress 0
		.amdhsa_shared_vgpr_count 0
		.amdhsa_exception_fp_ieee_invalid_op 0
		.amdhsa_exception_fp_denorm_src 0
		.amdhsa_exception_fp_ieee_div_zero 0
		.amdhsa_exception_fp_ieee_overflow 0
		.amdhsa_exception_fp_ieee_underflow 0
		.amdhsa_exception_fp_ieee_inexact 0
		.amdhsa_exception_int_div_zero 0
	.end_amdhsa_kernel
	.section	.text._Z11rank_kernelIhLj4ELb0EL18RadixRankAlgorithm1ELj256ELj16ELj10EEvPKT_Pi,"axG",@progbits,_Z11rank_kernelIhLj4ELb0EL18RadixRankAlgorithm1ELj256ELj16ELj10EEvPKT_Pi,comdat
.Lfunc_end70:
	.size	_Z11rank_kernelIhLj4ELb0EL18RadixRankAlgorithm1ELj256ELj16ELj10EEvPKT_Pi, .Lfunc_end70-_Z11rank_kernelIhLj4ELb0EL18RadixRankAlgorithm1ELj256ELj16ELj10EEvPKT_Pi
                                        ; -- End function
	.section	.AMDGPU.csdata,"",@progbits
; Kernel info:
; codeLenInByte = 2492
; NumSgprs: 22
; NumVgprs: 66
; ScratchSize: 0
; MemoryBound: 0
; FloatMode: 240
; IeeeMode: 1
; LDSByteSize: 8224 bytes/workgroup (compile time only)
; SGPRBlocks: 2
; VGPRBlocks: 8
; NumSGPRsForWavesPerEU: 22
; NumVGPRsForWavesPerEU: 66
; Occupancy: 16
; WaveLimiterHint : 0
; COMPUTE_PGM_RSRC2:SCRATCH_EN: 0
; COMPUTE_PGM_RSRC2:USER_SGPR: 15
; COMPUTE_PGM_RSRC2:TRAP_HANDLER: 0
; COMPUTE_PGM_RSRC2:TGID_X_EN: 1
; COMPUTE_PGM_RSRC2:TGID_Y_EN: 0
; COMPUTE_PGM_RSRC2:TGID_Z_EN: 0
; COMPUTE_PGM_RSRC2:TIDIG_COMP_CNT: 0
	.section	.text._Z11rank_kernelIhLj4ELb0EL18RadixRankAlgorithm2ELj256ELj16ELj10EEvPKT_Pi,"axG",@progbits,_Z11rank_kernelIhLj4ELb0EL18RadixRankAlgorithm2ELj256ELj16ELj10EEvPKT_Pi,comdat
	.protected	_Z11rank_kernelIhLj4ELb0EL18RadixRankAlgorithm2ELj256ELj16ELj10EEvPKT_Pi ; -- Begin function _Z11rank_kernelIhLj4ELb0EL18RadixRankAlgorithm2ELj256ELj16ELj10EEvPKT_Pi
	.globl	_Z11rank_kernelIhLj4ELb0EL18RadixRankAlgorithm2ELj256ELj16ELj10EEvPKT_Pi
	.p2align	8
	.type	_Z11rank_kernelIhLj4ELb0EL18RadixRankAlgorithm2ELj256ELj16ELj10EEvPKT_Pi,@function
_Z11rank_kernelIhLj4ELb0EL18RadixRankAlgorithm2ELj256ELj16ELj10EEvPKT_Pi: ; @_Z11rank_kernelIhLj4ELb0EL18RadixRankAlgorithm2ELj256ELj16ELj10EEvPKT_Pi
; %bb.0:
	s_clause 0x1
	s_load_b128 s[8:11], s[0:1], 0x0
	s_load_b32 s4, s[0:1], 0x1c
	v_dual_mov_b32 v132, 0 :: v_dual_and_b32 v1, 0x3ff, v0
	s_lshl_b32 s12, s15, 12
                                        ; implicit-def: $vgpr201 : SGPR spill to VGPR lane
	s_mov_b32 s13, 0
                                        ; implicit-def: $vgpr200 : SGPR spill to VGPR lane
	s_mov_b32 s45, 10
	s_delay_alu instid0(VALU_DEP_1)
	v_lshlrev_b32_e32 v2, 4, v1
	v_lshrrev_b32_e32 v58, 3, v1
	s_waitcnt lgkmcnt(0)
	s_add_u32 s0, s8, s12
	v_writelane_b32 v201, s8, 0
	s_addc_u32 s1, s9, 0
	global_load_b128 v[3:6], v2, s[0:1]
	v_writelane_b32 v201, s9, 1
	v_writelane_b32 v201, s10, 2
	v_writelane_b32 v201, s11, 3
	v_cmp_gt_u32_e64 s8, 8, v1
	v_cmp_lt_u32_e64 s9, 31, v1
	s_waitcnt vmcnt(0)
	v_lshrrev_b32_e32 v42, 8, v5
	v_lshrrev_b32_e32 v43, 16, v5
	;; [unrolled: 1-line block ×6, first 2 shown]
	v_and_b32_e32 v15, 15, v5
	v_and_b32_e32 v142, 1, v5
	v_lshlrev_b32_e32 v51, 30, v5
	v_lshlrev_b32_e32 v52, 29, v5
	;; [unrolled: 1-line block ×3, first 2 shown]
	v_bfe_u32 v16, v5, 8, 4
	v_bfe_u32 v143, v5, 8, 1
	;; [unrolled: 1-line block ×6, first 2 shown]
	v_and_b32_e32 v19, 15, v6
	v_and_b32_e32 v146, 1, v6
	v_lshlrev_b32_e32 v54, 30, v6
	v_lshlrev_b32_e32 v55, 29, v6
	;; [unrolled: 1-line block ×3, first 2 shown]
	v_bfe_u32 v20, v6, 8, 4
	v_bfe_u32 v147, v6, 8, 1
	;; [unrolled: 1-line block ×6, first 2 shown]
	v_lshrrev_b32_e32 v106, 4, v5
	v_bfe_u32 v31, v5, 4, 4
	v_bfe_u32 v158, v5, 4, 1
	v_lshrrev_b32_e32 v111, 12, v5
	v_bfe_u32 v32, v5, 12, 4
	v_bfe_u32 v159, v5, 12, 1
	v_lshrrev_b32_e32 v115, 20, v5
	v_bfe_u32 v33, v5, 20, 4
	v_bfe_u32 v160, v5, 20, 1
	v_lshrrev_b32_e32 v114, 28, v5
	v_bfe_u32 v161, v5, 28, 1
	v_and_b32_e32 v166, 0xf0000000, v5
	v_not_b32_e32 v119, v5
	v_lshrrev_b32_e32 v121, 4, v6
	v_bfe_u32 v5, v6, 4, 4
	v_bfe_u32 v162, v6, 4, 1
	v_lshrrev_b32_e32 v124, 12, v6
	v_bfe_u32 v34, v6, 12, 4
	v_bfe_u32 v163, v6, 12, 1
	;; [unrolled: 3-line block ×3, first 2 shown]
	v_lshrrev_b32_e32 v129, 28, v6
	v_bfe_u32 v165, v6, 28, 1
	v_and_b32_e32 v167, 0xf0000000, v6
	v_not_b32_e32 v131, v6
	v_mbcnt_lo_u32_b32 v6, -1, 0
	v_lshrrev_b32_e32 v36, 8, v3
	v_lshrrev_b32_e32 v37, 16, v3
	v_lshrrev_b32_e32 v38, 24, v3
	v_and_b32_e32 v7, 15, v3
	v_and_b32_e32 v134, 1, v3
	v_lshlrev_b32_e32 v45, 30, v3
	v_lshlrev_b32_e32 v46, 29, v3
	;; [unrolled: 1-line block ×3, first 2 shown]
	v_bfe_u32 v8, v3, 8, 4
	v_bfe_u32 v135, v3, 8, 1
	;; [unrolled: 1-line block ×6, first 2 shown]
	v_lshrrev_b32_e32 v83, 4, v3
	v_bfe_u32 v23, v3, 4, 4
	v_bfe_u32 v150, v3, 4, 1
	v_lshrrev_b32_e32 v85, 12, v3
	v_bfe_u32 v24, v3, 12, 4
	v_bfe_u32 v151, v3, 12, 1
	;; [unrolled: 3-line block ×3, first 2 shown]
	v_lshrrev_b32_e32 v91, 28, v3
	v_bfe_u32 v153, v3, 28, 1
	v_and_b32_e32 v26, 0xf0000000, v3
	v_not_b32_e32 v95, v3
	v_and_b32_e32 v3, 15, v6
	v_lshrrev_b32_e32 v39, 8, v4
	v_lshrrev_b32_e32 v40, 16, v4
	;; [unrolled: 1-line block ×3, first 2 shown]
	v_and_b32_e32 v11, 15, v4
	v_cmp_eq_u32_e64 s6, 0, v3
	v_cmp_lt_u32_e64 s0, 1, v3
	v_cmp_lt_u32_e64 s1, 3, v3
	v_cmp_lt_u32_e64 s2, 7, v3
	v_and_b32_e32 v3, 16, v6
	v_and_b32_e32 v138, 1, v4
	v_lshlrev_b32_e32 v48, 30, v4
	v_lshlrev_b32_e32 v49, 29, v4
	;; [unrolled: 1-line block ×3, first 2 shown]
	v_cmp_eq_u32_e64 s3, 0, v3
	v_and_b32_e32 v3, 7, v6
	v_bfe_u32 v12, v4, 8, 4
	v_bfe_u32 v139, v4, 8, 1
	;; [unrolled: 1-line block ×4, first 2 shown]
	v_cmp_eq_u32_e64 s5, 0, v3
	v_bfe_u32 v14, v4, 24, 4
	v_bfe_u32 v141, v4, 24, 1
	v_lshrrev_b32_e32 v96, 4, v4
	v_bfe_u32 v27, v4, 4, 4
	v_writelane_b32 v201, s5, 4
	v_cmp_lt_u32_e64 s5, 1, v3
	v_bfe_u32 v154, v4, 4, 1
	v_lshrrev_b32_e32 v97, 12, v4
	v_bfe_u32 v28, v4, 12, 4
	v_bfe_u32 v155, v4, 12, 1
	v_writelane_b32 v201, s5, 5
	v_cmp_lt_u32_e64 s5, 3, v3
	v_or_b32_e32 v3, 31, v1
	v_lshrrev_b32_e32 v102, 20, v4
	v_bfe_u32 v29, v4, 20, 4
	v_bfe_u32 v156, v4, 20, 1
	v_writelane_b32 v201, s5, 6
	v_cmp_eq_u32_e64 s7, v3, v1
	v_bfe_u32 v3, v0, 10, 10
	v_bfe_u32 v0, v0, 20, 10
	s_lshr_b32 s5, s4, 16
	s_and_b32 s4, s4, 0xffff
	v_lshrrev_b32_e32 v103, 28, v4
	v_bfe_u32 v157, v4, 28, 1
	v_mad_u32_u24 v57, v0, s5, v3
	v_and_b32_e32 v30, 0xf0000000, v4
	v_not_b32_e32 v107, v4
	v_lshlrev_b32_e32 v0, 2, v1
	v_mul_u32_u24_e32 v25, 9, v25
	v_mad_u64_u32 v[3:4], null, v57, s4, v[1:2]
	v_add_nc_u32_e32 v1, -1, v6
	v_mul_u32_u24_e32 v32, 9, v32
	v_mul_u32_u24_e32 v35, 9, v35
	v_mul_u32_u24_e32 v4, 9, v9
	v_mul_u32_u24_e32 v12, 9, v12
	v_cmp_gt_i32_e64 s4, 0, v1
	v_lshrrev_b32_e32 v59, 5, v3
	v_mul_u32_u24_e32 v3, 9, v8
	v_mul_u32_u24_e32 v8, 9, v11
	;; [unrolled: 1-line block ×3, first 2 shown]
	v_cndmask_b32_e64 v57, v1, v6, s4
	v_cmp_gt_i32_e64 s4, 0, v26
	v_mul_u32_u24_e32 v26, 9, v13
	v_mul_u32_u24_e32 v21, 9, v21
	;; [unrolled: 1-line block ×4, first 2 shown]
	v_writelane_b32 v201, s4, 7
	v_cmp_gt_i32_e64 s4, 0, v30
	v_mul_u32_u24_e32 v31, 9, v31
	v_mul_u32_u24_e32 v33, 9, v33
	;; [unrolled: 1-line block ×4, first 2 shown]
	v_writelane_b32 v201, s4, 8
	v_cmp_gt_i32_e64 s4, 0, v45
	v_add_lshl_u32 v5, v59, v25, 2
	v_add_lshl_u32 v25, v59, v32, 2
	;; [unrolled: 1-line block ×3, first 2 shown]
	v_writelane_b32 v201, s12, 9
	v_lshlrev_b32_e32 v35, 2, v57
	v_lshlrev_b32_e32 v57, 30, v36
	v_cmp_eq_u32_e64 s10, 0, v6
	v_mul_u32_u24_e32 v1, 9, v7
	v_writelane_b32 v201, s13, 10
	v_mul_u32_u24_e32 v6, 9, v10
	v_mul_u32_u24_e32 v30, 9, v14
	v_mul_u32_u24_e32 v60, 9, v15
	v_mul_u32_u24_e32 v61, 9, v16
	v_writelane_b32 v201, s4, 11
	v_cmp_gt_i32_e64 s4, 0, v46
	v_mul_u32_u24_e32 v62, 9, v18
	v_mul_u32_u24_e32 v63, 9, v19
	;; [unrolled: 1-line block ×4, first 2 shown]
	v_writelane_b32 v201, s4, 12
	v_cmp_gt_i32_e64 s4, 0, v47
	v_mul_u32_u24_e32 v66, 9, v23
	v_mul_u32_u24_e32 v67, 9, v24
	;; [unrolled: 1-line block ×3, first 2 shown]
	v_add_lshl_u32 v10, v59, v4, 2
	v_writelane_b32 v201, s4, 13
	v_cmp_gt_i32_e64 s4, 0, v48
	v_add_lshl_u32 v13, v59, v8, 2
	v_add_lshl_u32 v14, v59, v12, 2
	;; [unrolled: 1-line block ×4, first 2 shown]
	v_writelane_b32 v201, s4, 14
	v_cmp_gt_i32_e64 s4, 0, v49
	v_add_lshl_u32 v26, v59, v21, 2
	v_mul_u32_u24_e32 v4, 9, v91
	v_add_lshl_u32 v8, v59, v28, 2
	v_add_lshl_u32 v12, v59, v29, 2
	v_writelane_b32 v201, s4, 15
	v_cmp_gt_i32_e64 s4, 0, v50
	v_mul_u32_u24_e32 v17, 9, v103
	v_add_lshl_u32 v21, v59, v31, 2
	v_add_lshl_u32 v28, v59, v33, 2
	v_mul_u32_u24_e32 v29, 9, v114
	v_writelane_b32 v201, s4, 16
	v_cmp_gt_i32_e64 s4, 0, v51
	v_add_lshl_u32 v31, v59, v34, 2
	v_mul_u32_u24_e32 v33, 9, v129
	v_and_b32_e32 v34, 28, v58
	v_lshlrev_b32_e32 v58, 29, v36
	v_writelane_b32 v201, s4, 17
	v_cmp_gt_i32_e64 s4, 0, v52
	v_add_lshl_u32 v7, v59, v1, 2
	v_add_lshl_u32 v9, v59, v3, 2
	v_add_lshl_u32 v11, v59, v6, 2
	v_add_lshl_u32 v16, v59, v30, 2
	v_writelane_b32 v201, s4, 18
	v_cmp_gt_i32_e64 s4, 0, v53
	v_add_lshl_u32 v18, v59, v60, 2
	v_add_lshl_u32 v19, v59, v61, 2
	v_add_lshl_u32 v22, v59, v62, 2
	v_add_lshl_u32 v23, v59, v63, 2
	;; [unrolled: 6-line block ×4, first 2 shown]
	v_writelane_b32 v201, s4, 21
	v_cmp_gt_i32_e64 s4, 0, v56
	v_add_lshl_u32 v30, v59, v69, 2
	v_add_lshl_u32 v33, v59, v33, 2
	v_lshlrev_b32_e32 v59, 28, v36
	v_lshlrev_b32_e32 v60, 30, v37
	v_writelane_b32 v201, s4, 22
	v_cmp_gt_i32_e64 s4, 0, v57
	v_lshlrev_b32_e32 v61, 29, v37
	v_lshlrev_b32_e32 v62, 28, v37
	v_lshlrev_b32_e32 v63, 30, v38
	v_lshlrev_b32_e32 v64, 29, v38
	v_writelane_b32 v201, s4, 23
	v_cmp_gt_i32_e64 s4, 0, v58
	v_lshlrev_b32_e32 v65, 28, v38
	v_lshlrev_b32_e32 v66, 30, v39
	;; [unrolled: 6-line block ×4, first 2 shown]
	v_lshlrev_b32_e32 v76, 30, v42
	v_not_b32_e32 v46, v46
	v_writelane_b32 v201, s4, 26
	v_cmp_gt_i32_e64 s4, 0, v61
	v_not_b32_e32 v47, v47
	v_lshlrev_b32_e32 v78, 29, v42
	v_lshlrev_b32_e32 v80, 28, v42
	;; [unrolled: 1-line block ×3, first 2 shown]
	v_writelane_b32 v201, s4, 27
	v_cmp_gt_i32_e64 s4, 0, v62
	v_lshlrev_b32_e32 v86, 30, v44
	v_not_b32_e32 v48, v48
	v_not_b32_e32 v49, v49
	v_lshlrev_b32_e32 v81, 30, v43
	v_writelane_b32 v201, s4, 28
	v_cmp_gt_i32_e64 s4, 0, v63
	v_lshlrev_b32_e32 v82, 29, v43
	v_lshlrev_b32_e32 v87, 29, v44
	;; [unrolled: 1-line block ×3, first 2 shown]
	v_not_b32_e32 v89, v55
	v_writelane_b32 v201, s4, 29
	v_cmp_gt_i32_e64 s4, 0, v64
	v_not_b32_e32 v92, v56
	v_ashrrev_i32_e32 v37, 31, v46
	v_ashrrev_i32_e32 v38, 31, v47
	v_not_b32_e32 v46, v57
	v_writelane_b32 v201, s4, 30
	v_cmp_gt_i32_e64 s4, 0, v65
	v_not_b32_e32 v47, v58
	v_not_b32_e32 v55, v59
	v_not_b32_e32 v56, v60
	v_not_b32_e32 v57, v61
	v_writelane_b32 v201, s4, 31
	v_cmp_gt_i32_e64 s4, 0, v66
	v_not_b32_e32 v58, v62
	v_not_b32_e32 v59, v63
	v_not_b32_e32 v60, v64
	;; [unrolled: 6-line block ×3, first 2 shown]
	v_not_b32_e32 v65, v69
	v_writelane_b32 v200, s4, 1
	v_cmp_gt_i32_e64 s4, 0, v68
	v_not_b32_e32 v66, v70
	v_not_b32_e32 v68, v72
	v_cmp_gt_i32_e64 s46, 0, v80
	v_not_b32_e32 v50, v50
	v_writelane_b32 v200, s4, 2
	v_cmp_gt_i32_e64 s4, 0, v69
	v_not_b32_e32 v69, v74
	v_not_b32_e32 v51, v51
	v_ashrrev_i32_e32 v39, 31, v48
	v_ashrrev_i32_e32 v40, 31, v49
	v_writelane_b32 v200, s4, 3
	v_cmp_gt_i32_e64 s4, 0, v70
	v_not_b32_e32 v70, v75
	v_not_b32_e32 v67, v71
	v_cmp_gt_i32_e64 s47, 0, v81
	v_cmp_gt_i32_e64 s48, 0, v82
	v_writelane_b32 v200, s4, 4
	v_cmp_gt_i32_e64 s4, 0, v71
	v_not_b32_e32 v71, v76
	v_ashrrev_i32_e32 v48, 31, v55
	v_ashrrev_i32_e32 v49, 31, v56
	;; [unrolled: 1-line block ×3, first 2 shown]
	v_writelane_b32 v200, s4, 5
	v_cmp_gt_i32_e64 s4, 0, v72
	v_not_b32_e32 v72, v78
	v_ashrrev_i32_e32 v56, 31, v63
	v_ashrrev_i32_e32 v62, 31, v69
	;; [unrolled: 1-line block ×3, first 2 shown]
	v_writelane_b32 v200, s4, 6
	v_cmp_gt_i32_e64 s4, 0, v74
	v_not_b32_e32 v74, v80
	v_not_b32_e32 v80, v86
	v_ashrrev_i32_e32 v41, 31, v50
	v_ashrrev_i32_e32 v42, 31, v51
	v_writelane_b32 v200, s4, 7
	v_cmp_gt_i32_e64 s4, 0, v75
	v_not_b32_e32 v75, v81
	v_not_b32_e32 v81, v87
	v_ashrrev_i32_e32 v70, 31, v80
	v_lshlrev_b32_e32 v80, 30, v77
	v_writelane_b32 v200, s4, 8
	v_cmp_gt_i32_e64 s4, 0, v76
	v_not_b32_e32 v76, v82
	v_not_b32_e32 v82, v88
	v_ashrrev_i32_e32 v50, 31, v57
	v_ashrrev_i32_e32 v51, 31, v58
	v_writelane_b32 v200, s4, 9
	v_cmp_gt_i32_e64 s4, 0, v78
	v_not_b32_e32 v78, v84
	v_ashrrev_i32_e32 v57, 31, v64
	v_ashrrev_i32_e32 v58, 31, v65
	;; [unrolled: 1-line block ×5, first 2 shown]
	v_lshlrev_b32_e32 v78, 28, v73
	v_ashrrev_i32_e32 v71, 31, v81
	v_ashrrev_i32_e32 v72, 31, v82
	v_cmp_gt_i32_e64 s56, 0, v80
	v_not_b32_e32 v80, v80
	v_cmp_gt_i32_e64 s55, 0, v78
	v_not_b32_e32 v78, v78
	v_lshlrev_b32_e32 v81, 29, v77
	v_lshlrev_b32_e32 v82, 28, v77
	v_cmp_gt_i32_e64 s49, 0, v84
	v_lshlrev_b32_e32 v84, 29, v79
	v_ashrrev_i32_e32 v77, 31, v78
	v_ashrrev_i32_e32 v78, 31, v80
	v_cmp_gt_i32_e64 s57, 0, v81
	v_not_b32_e32 v80, v81
	v_cmp_gt_i32_e64 s58, 0, v82
	v_not_b32_e32 v81, v82
	v_lshlrev_b32_e32 v82, 30, v79
	v_cmp_gt_i32_e64 s50, 0, v86
	v_cmp_gt_i32_e64 s60, 0, v84
	v_not_b32_e32 v84, v84
	v_lshlrev_b32_e32 v86, 28, v79
	v_cmp_gt_i32_e64 s59, 0, v82
	v_not_b32_e32 v82, v82
	v_not_b32_e32 v52, v52
	v_ashrrev_i32_e32 v79, 31, v80
	v_ashrrev_i32_e32 v80, 31, v81
	v_cmp_gt_i32_e64 s61, 0, v86
	v_ashrrev_i32_e32 v81, 31, v82
	v_ashrrev_i32_e32 v82, 31, v84
	v_not_b32_e32 v84, v86
	v_lshlrev_b32_e32 v86, 30, v83
	v_not_b32_e32 v53, v53
	v_ashrrev_i32_e32 v43, 31, v52
	v_cmp_gt_i32_e64 s51, 0, v87
	v_cmp_gt_i32_e64 s52, 0, v88
	v_ashrrev_i32_e32 v52, 31, v59
	v_ashrrev_i32_e32 v59, 31, v66
	;; [unrolled: 1-line block ×3, first 2 shown]
	v_lshlrev_b32_e32 v74, 30, v73
	v_cmp_gt_i32_e64 s62, 0, v86
	v_not_b32_e32 v86, v86
	v_lshlrev_b32_e32 v87, 29, v83
	v_lshlrev_b32_e32 v88, 28, v83
	v_not_b32_e32 v45, v45
	v_not_b32_e32 v54, v54
	v_ashrrev_i32_e32 v44, 31, v53
	v_ashrrev_i32_e32 v53, 31, v60
	;; [unrolled: 1-line block ×4, first 2 shown]
	v_cmp_gt_i32_e64 s53, 0, v74
	v_not_b32_e32 v75, v74
	v_lshlrev_b32_e32 v74, 29, v73
	v_ashrrev_i32_e32 v73, 31, v89
	v_ashrrev_i32_e32 v83, 31, v84
	;; [unrolled: 1-line block ×3, first 2 shown]
	v_cmp_gt_i32_e64 s63, 0, v87
	v_not_b32_e32 v86, v87
	v_cmp_gt_i32_e64 s64, 0, v88
	v_not_b32_e32 v87, v88
	v_lshlrev_b32_e32 v88, 30, v85
	v_lshlrev_b32_e32 v89, 29, v85
	;; [unrolled: 1-line block ×3, first 2 shown]
	v_ashrrev_i32_e32 v36, 31, v45
	v_ashrrev_i32_e32 v45, 31, v54
	v_ashrrev_i32_e32 v54, 31, v61
	v_ashrrev_i32_e32 v61, 31, v68
	v_ashrrev_i32_e32 v68, 31, v76
	v_cmp_gt_i32_e64 s54, 0, v74
	v_not_b32_e32 v76, v74
	v_ashrrev_i32_e32 v74, 31, v92
	v_cmp_gt_i32_e64 s65, 0, v88
	v_not_b32_e32 v88, v88
	v_cmp_gt_i32_e64 s66, 0, v89
	v_not_b32_e32 v89, v89
	v_not_b32_e32 v92, v85
	v_cmp_gt_i32_e64 s67, 0, v85
	v_ashrrev_i32_e32 v85, 31, v86
	v_ashrrev_i32_e32 v86, 31, v87
	;; [unrolled: 1-line block ×5, first 2 shown]
	v_lshlrev_b32_e32 v92, 30, v90
	v_lshlrev_b32_e32 v93, 29, v90
	;; [unrolled: 1-line block ×5, first 2 shown]
	v_cmp_gt_i32_e64 s68, 0, v92
	v_not_b32_e32 v92, v92
	v_not_b32_e32 v98, v90
	v_cmp_gt_i32_e64 s69, 0, v93
	v_not_b32_e32 v93, v93
	v_cmp_gt_i32_e64 s70, 0, v90
	v_cmp_gt_i32_e64 s71, 0, v94
	v_not_b32_e32 v94, v94
	v_not_b32_e32 v99, v91
	v_ashrrev_i32_e32 v90, 31, v92
	v_ashrrev_i32_e32 v92, 31, v98
	v_lshlrev_b32_e32 v98, 30, v96
	v_cmp_gt_i32_e64 s72, 0, v91
	v_ashrrev_i32_e32 v91, 31, v93
	v_ashrrev_i32_e32 v93, 31, v94
	;; [unrolled: 1-line block ×3, first 2 shown]
	v_cmp_gt_i32_e64 s73, 0, v98
	v_not_b32_e32 v98, v98
	v_lshlrev_b32_e32 v99, 29, v96
	v_lshlrev_b32_e32 v100, 28, v96
	;; [unrolled: 1-line block ×4, first 2 shown]
	v_ashrrev_i32_e32 v96, 31, v98
	v_cmp_gt_i32_e64 s74, 0, v99
	v_not_b32_e32 v98, v99
	v_cmp_gt_i32_e64 s75, 0, v100
	v_not_b32_e32 v99, v100
	v_lshlrev_b32_e32 v100, 30, v97
	v_lshlrev_b32_e32 v97, 28, v97
	v_cmp_gt_i32_e64 s77, 0, v101
	v_not_b32_e32 v101, v101
	v_cmp_gt_i32_e64 s80, 0, v105
	v_cmp_gt_i32_e64 s76, 0, v100
	v_not_b32_e32 v100, v100
	v_not_b32_e32 v104, v97
	v_cmp_gt_i32_e64 s78, 0, v97
	v_ashrrev_i32_e32 v97, 31, v98
	v_ashrrev_i32_e32 v98, 31, v99
	;; [unrolled: 1-line block ×5, first 2 shown]
	v_lshlrev_b32_e32 v104, 30, v102
	v_lshlrev_b32_e32 v102, 28, v102
	v_not_b32_e32 v105, v105
	v_lshlrev_b32_e32 v110, 29, v103
	v_lshlrev_b32_e32 v113, 29, v111
	v_cmp_gt_i32_e64 s79, 0, v104
	v_cmp_gt_i32_e64 s81, 0, v102
	v_not_b32_e32 v108, v102
	v_lshlrev_b32_e32 v102, 30, v103
	v_not_b32_e32 v104, v104
	v_ashrrev_i32_e32 v103, 31, v105
	v_cmp_gt_i32_e64 s83, 0, v110
	v_cmp_gt_i32_e64 s88, 0, v113
	v_not_b32_e32 v109, v102
	v_cmp_gt_i32_e64 s82, 0, v102
	v_ashrrev_i32_e32 v102, 31, v104
	v_ashrrev_i32_e32 v104, 31, v108
	v_not_b32_e32 v108, v110
	v_ashrrev_i32_e32 v105, 31, v109
	v_lshlrev_b32_e32 v109, 30, v106
	v_lshlrev_b32_e32 v110, 29, v106
	;; [unrolled: 1-line block ×3, first 2 shown]
	v_not_b32_e32 v113, v113
	v_lshlrev_b32_e32 v117, 29, v115
	v_not_b32_e32 v112, v109
	v_cmp_gt_i32_e64 s84, 0, v109
	v_cmp_gt_i32_e64 s85, 0, v110
	v_not_b32_e32 v109, v110
	v_cmp_gt_i32_e64 s86, 0, v106
	v_not_b32_e32 v110, v106
	v_ashrrev_i32_e32 v106, 31, v108
	v_ashrrev_i32_e32 v108, 31, v112
	v_lshlrev_b32_e32 v112, 30, v111
	v_lshlrev_b32_e32 v111, 28, v111
	v_cmp_gt_i32_e64 s91, 0, v117
	v_not_b32_e32 v117, v117
	v_lshlrev_b32_e32 v168, 29, v114
	v_cmp_gt_i32_e64 s87, 0, v112
	v_not_b32_e32 v112, v112
	v_not_b32_e32 v116, v111
	v_cmp_gt_i32_e64 s89, 0, v111
	v_lshlrev_b32_e32 v169, 30, v121
	v_lshlrev_b32_e32 v170, 29, v121
	v_ashrrev_i32_e32 v111, 31, v112
	v_ashrrev_i32_e32 v112, 31, v113
	;; [unrolled: 1-line block ×3, first 2 shown]
	v_lshlrev_b32_e32 v116, 30, v115
	v_lshlrev_b32_e32 v115, 28, v115
	;; [unrolled: 1-line block ×5, first 2 shown]
	v_cmp_gt_i32_e64 s90, 0, v116
	v_cmp_gt_i32_e64 s92, 0, v115
	v_not_b32_e32 v118, v115
	v_lshlrev_b32_e32 v115, 30, v114
	v_not_b32_e32 v116, v116
	v_lshlrev_b32_e32 v174, 28, v124
	v_lshlrev_b32_e32 v175, 30, v127
	;; [unrolled: 1-line block ×3, first 2 shown]
	v_not_b32_e32 v120, v115
	v_lshlrev_b32_e32 v177, 28, v127
	v_lshlrev_b32_e32 v178, 30, v129
	;; [unrolled: 1-line block ×3, first 2 shown]
	v_cmp_gt_i32_e64 s93, 0, v115
	v_ashrrev_i32_e32 v114, 31, v116
	v_ashrrev_i32_e32 v115, 31, v117
	;; [unrolled: 1-line block ×4, first 2 shown]
	v_not_b32_e32 v118, v168
	v_not_b32_e32 v120, v169
	v_not_b32_e32 v121, v170
	v_not_b32_e32 v122, v171
	v_not_b32_e32 v123, v172
	v_not_b32_e32 v124, v173
	v_not_b32_e32 v125, v174
	v_not_b32_e32 v126, v175
	v_not_b32_e32 v127, v176
	v_not_b32_e32 v128, v177
	v_not_b32_e32 v129, v178
	v_not_b32_e32 v130, v179
	v_writelane_b32 v200, s4, 10
	v_ashrrev_i32_e32 v46, 31, v46
	v_ashrrev_i32_e32 v47, 31, v47
	;; [unrolled: 1-line block ×22, first 2 shown]
	v_add_nc_u32_e32 v133, -4, v34
	v_cmp_gt_i32_e64 s94, 0, v168
	v_cmp_gt_i32_e64 s95, 0, v166
	;; [unrolled: 1-line block ×11, first 2 shown]
	v_cmp_gt_i32_e64 vcc_hi, 0, v178
	v_cmp_gt_i32_e64 s4, 0, v179
	v_cmp_gt_i32_e64 s5, 0, v167
	v_add_co_u32 v134, s12, v134, -1
	v_add_co_u32 v135, s13, v135, -1
	v_add_co_u32 v136, s14, v136, -1
	v_add_co_u32 v137, s15, v137, -1
	v_add_co_u32 v138, s16, v138, -1
	v_add_co_u32 v139, s17, v139, -1
	v_add_co_u32 v140, s18, v140, -1
	v_add_co_u32 v141, s19, v141, -1
	v_add_co_u32 v142, s20, v142, -1
	v_add_co_u32 v143, s21, v143, -1
	v_add_co_u32 v144, s22, v144, -1
	v_add_co_u32 v145, s23, v145, -1
	v_add_co_u32 v146, s24, v146, -1
	v_add_co_u32 v147, s25, v147, -1
	v_add_co_u32 v148, s26, v148, -1
	v_add_co_u32 v149, s27, v149, -1
	v_add_co_u32 v150, s28, v150, -1
	v_add_co_u32 v151, s29, v151, -1
	v_add_co_u32 v152, s30, v152, -1
	v_add_co_u32 v153, s31, v153, -1
	v_add_co_u32 v154, s33, v154, -1
	v_add_co_u32 v155, s34, v155, -1
	v_add_co_u32 v156, s35, v156, -1
	v_add_co_u32 v157, s36, v157, -1
	v_add_co_u32 v158, s37, v158, -1
	v_add_co_u32 v159, s38, v159, -1
	v_add_co_u32 v160, s39, v160, -1
	v_add_co_u32 v161, s40, v161, -1
	v_add_co_u32 v162, s41, v162, -1
	v_add_co_u32 v163, s42, v163, -1
	v_add_co_u32 v164, s43, v164, -1
	v_add_co_u32 v165, s44, v165, -1
	s_branch .LBB71_2
.LBB71_1:                               ;   in Loop: Header=BB71_2 Depth=1
	s_or_b32 exec_lo, exec_lo, s11
	s_waitcnt lgkmcnt(0)
	v_add_nc_u32_e32 v197, v198, v197
	s_add_i32 s45, s45, -1
	s_delay_alu instid0(SALU_CYCLE_1)
	s_cmp_eq_u32 s45, 0
	ds_bpermute_b32 v197, v35, v197
	s_waitcnt lgkmcnt(0)
	v_cndmask_b32_e64 v197, v197, v198, s10
	ds_store_b32 v0, v197 offset:32
	s_waitcnt lgkmcnt(0)
	s_barrier
	buffer_gl0_inv
	s_cbranch_scc1 .LBB71_78
.LBB71_2:                               ; =>This Inner Loop Header: Depth=1
	v_cndmask_b32_e64 v166, 0, 1, s12
	v_readlane_b32 s11, v201, 11
	ds_store_b32 v0, v132 offset:32
	s_waitcnt lgkmcnt(0)
	s_barrier
	v_cmp_ne_u32_e32 vcc_lo, 0, v166
	v_cndmask_b32_e64 v167, 0, 1, s11
	v_readlane_b32 s11, v201, 12
	buffer_gl0_inv
	; wave barrier
	v_cndmask_b32_e64 v166, 0, 1, s11
	v_cmp_ne_u32_e64 s11, 0, v167
	v_xor_b32_e32 v167, vcc_lo, v134
	v_readlane_b32 vcc_lo, v201, 13
	s_delay_alu instid0(VALU_DEP_2) | instskip(NEXT) | instid1(VALU_DEP_2)
	v_and_b32_e32 v167, exec_lo, v167
	v_cndmask_b32_e64 v168, 0, 1, vcc_lo
	v_cmp_ne_u32_e32 vcc_lo, 0, v166
	v_xor_b32_e32 v166, s11, v36
	s_delay_alu instid0(VALU_DEP_3) | instskip(SKIP_1) | instid1(VALU_DEP_3)
	v_cmp_ne_u32_e64 s11, 0, v168
	v_xor_b32_e32 v168, vcc_lo, v37
	v_and_b32_e32 v166, v167, v166
	s_delay_alu instid0(VALU_DEP_3) | instskip(NEXT) | instid1(VALU_DEP_2)
	v_xor_b32_e32 v167, s11, v38
	v_and_b32_e32 v166, v166, v168
	s_delay_alu instid0(VALU_DEP_1) | instskip(NEXT) | instid1(VALU_DEP_1)
	v_and_b32_e32 v166, v166, v167
	v_mbcnt_lo_u32_b32 v167, v166, 0
	v_cmp_ne_u32_e64 s11, 0, v166
	s_delay_alu instid0(VALU_DEP_2) | instskip(NEXT) | instid1(VALU_DEP_2)
	v_cmp_eq_u32_e32 vcc_lo, 0, v167
	s_and_b32 vcc_lo, s11, vcc_lo
	s_delay_alu instid0(SALU_CYCLE_1)
	s_and_saveexec_b32 s11, vcc_lo
	s_cbranch_execz .LBB71_4
; %bb.3:                                ;   in Loop: Header=BB71_2 Depth=1
	v_bcnt_u32_b32 v166, v166, 0
	ds_store_b32 v7, v166 offset:32
.LBB71_4:                               ;   in Loop: Header=BB71_2 Depth=1
	s_or_b32 exec_lo, exec_lo, s11
	v_cndmask_b32_e64 v166, 0, 1, s13
	v_readlane_b32 s11, v201, 23
	; wave barrier
	s_delay_alu instid0(VALU_DEP_2) | instskip(NEXT) | instid1(VALU_DEP_2)
	v_cmp_ne_u32_e32 vcc_lo, 0, v166
	v_cndmask_b32_e64 v167, 0, 1, s11
	v_readlane_b32 s11, v201, 24
	s_delay_alu instid0(VALU_DEP_1) | instskip(NEXT) | instid1(VALU_DEP_3)
	v_cndmask_b32_e64 v166, 0, 1, s11
	v_cmp_ne_u32_e64 s11, 0, v167
	v_xor_b32_e32 v167, vcc_lo, v135
	v_readlane_b32 vcc_lo, v201, 25
	s_delay_alu instid0(VALU_DEP_2) | instskip(NEXT) | instid1(VALU_DEP_2)
	v_and_b32_e32 v167, exec_lo, v167
	v_cndmask_b32_e64 v168, 0, 1, vcc_lo
	v_cmp_ne_u32_e32 vcc_lo, 0, v166
	v_xor_b32_e32 v166, s11, v46
	s_delay_alu instid0(VALU_DEP_3) | instskip(SKIP_1) | instid1(VALU_DEP_3)
	v_cmp_ne_u32_e64 s11, 0, v168
	v_xor_b32_e32 v168, vcc_lo, v47
	v_and_b32_e32 v166, v167, v166
	s_delay_alu instid0(VALU_DEP_3) | instskip(NEXT) | instid1(VALU_DEP_2)
	v_xor_b32_e32 v167, s11, v48
	v_and_b32_e32 v168, v166, v168
	ds_load_b32 v166, v9 offset:32
	; wave barrier
	v_and_b32_e32 v167, v168, v167
	s_delay_alu instid0(VALU_DEP_1) | instskip(SKIP_1) | instid1(VALU_DEP_2)
	v_mbcnt_lo_u32_b32 v168, v167, 0
	v_cmp_ne_u32_e64 s11, 0, v167
	v_cmp_eq_u32_e32 vcc_lo, 0, v168
	s_delay_alu instid0(VALU_DEP_2) | instskip(NEXT) | instid1(SALU_CYCLE_1)
	s_and_b32 vcc_lo, s11, vcc_lo
	s_and_saveexec_b32 s11, vcc_lo
	s_cbranch_execz .LBB71_6
; %bb.5:                                ;   in Loop: Header=BB71_2 Depth=1
	s_waitcnt lgkmcnt(0)
	v_bcnt_u32_b32 v166, v167, v166
	ds_store_b32 v9, v166 offset:32
.LBB71_6:                               ;   in Loop: Header=BB71_2 Depth=1
	s_or_b32 exec_lo, exec_lo, s11
	s_waitcnt lgkmcnt(0)
	v_cndmask_b32_e64 v166, 0, 1, s14
	v_readlane_b32 s11, v201, 26
	; wave barrier
	s_delay_alu instid0(VALU_DEP_2) | instskip(NEXT) | instid1(VALU_DEP_2)
	v_cmp_ne_u32_e32 vcc_lo, 0, v166
	v_cndmask_b32_e64 v167, 0, 1, s11
	v_readlane_b32 s11, v201, 27
	s_delay_alu instid0(VALU_DEP_1) | instskip(NEXT) | instid1(VALU_DEP_3)
	v_cndmask_b32_e64 v166, 0, 1, s11
	v_cmp_ne_u32_e64 s11, 0, v167
	v_xor_b32_e32 v167, vcc_lo, v136
	v_readlane_b32 vcc_lo, v201, 28
	s_delay_alu instid0(VALU_DEP_2) | instskip(NEXT) | instid1(VALU_DEP_2)
	v_and_b32_e32 v167, exec_lo, v167
	v_cndmask_b32_e64 v168, 0, 1, vcc_lo
	v_cmp_ne_u32_e32 vcc_lo, 0, v166
	v_xor_b32_e32 v166, s11, v49
	s_delay_alu instid0(VALU_DEP_3) | instskip(SKIP_1) | instid1(VALU_DEP_3)
	v_cmp_ne_u32_e64 s11, 0, v168
	v_xor_b32_e32 v168, vcc_lo, v50
	v_and_b32_e32 v166, v167, v166
	s_delay_alu instid0(VALU_DEP_3) | instskip(NEXT) | instid1(VALU_DEP_2)
	v_xor_b32_e32 v167, s11, v51
	v_and_b32_e32 v168, v166, v168
	ds_load_b32 v166, v10 offset:32
	; wave barrier
	v_and_b32_e32 v167, v168, v167
	s_delay_alu instid0(VALU_DEP_1) | instskip(SKIP_1) | instid1(VALU_DEP_2)
	v_mbcnt_lo_u32_b32 v168, v167, 0
	v_cmp_ne_u32_e64 s11, 0, v167
	v_cmp_eq_u32_e32 vcc_lo, 0, v168
	s_delay_alu instid0(VALU_DEP_2) | instskip(NEXT) | instid1(SALU_CYCLE_1)
	s_and_b32 vcc_lo, s11, vcc_lo
	s_and_saveexec_b32 s11, vcc_lo
	s_cbranch_execz .LBB71_8
; %bb.7:                                ;   in Loop: Header=BB71_2 Depth=1
	s_waitcnt lgkmcnt(0)
	v_bcnt_u32_b32 v166, v167, v166
	ds_store_b32 v10, v166 offset:32
.LBB71_8:                               ;   in Loop: Header=BB71_2 Depth=1
	s_or_b32 exec_lo, exec_lo, s11
	s_waitcnt lgkmcnt(0)
	v_cndmask_b32_e64 v166, 0, 1, s15
	v_readlane_b32 s11, v201, 29
	; wave barrier
	s_delay_alu instid0(VALU_DEP_2) | instskip(NEXT) | instid1(VALU_DEP_2)
	v_cmp_ne_u32_e32 vcc_lo, 0, v166
	v_cndmask_b32_e64 v167, 0, 1, s11
	v_readlane_b32 s11, v201, 30
	s_delay_alu instid0(VALU_DEP_1) | instskip(NEXT) | instid1(VALU_DEP_3)
	v_cndmask_b32_e64 v166, 0, 1, s11
	v_cmp_ne_u32_e64 s11, 0, v167
	v_xor_b32_e32 v167, vcc_lo, v137
	v_readlane_b32 vcc_lo, v201, 31
	s_delay_alu instid0(VALU_DEP_2) | instskip(NEXT) | instid1(VALU_DEP_2)
	v_and_b32_e32 v167, exec_lo, v167
	v_cndmask_b32_e64 v168, 0, 1, vcc_lo
	v_cmp_ne_u32_e32 vcc_lo, 0, v166
	v_xor_b32_e32 v166, s11, v52
	s_delay_alu instid0(VALU_DEP_3) | instskip(SKIP_1) | instid1(VALU_DEP_3)
	v_cmp_ne_u32_e64 s11, 0, v168
	v_xor_b32_e32 v168, vcc_lo, v53
	v_and_b32_e32 v166, v167, v166
	s_delay_alu instid0(VALU_DEP_3) | instskip(NEXT) | instid1(VALU_DEP_2)
	v_xor_b32_e32 v167, s11, v54
	v_and_b32_e32 v168, v166, v168
	ds_load_b32 v166, v11 offset:32
	; wave barrier
	v_and_b32_e32 v167, v168, v167
	s_delay_alu instid0(VALU_DEP_1) | instskip(SKIP_1) | instid1(VALU_DEP_2)
	v_mbcnt_lo_u32_b32 v168, v167, 0
	v_cmp_ne_u32_e64 s11, 0, v167
	v_cmp_eq_u32_e32 vcc_lo, 0, v168
	s_delay_alu instid0(VALU_DEP_2) | instskip(NEXT) | instid1(SALU_CYCLE_1)
	s_and_b32 vcc_lo, s11, vcc_lo
	s_and_saveexec_b32 s11, vcc_lo
	s_cbranch_execz .LBB71_10
; %bb.9:                                ;   in Loop: Header=BB71_2 Depth=1
	s_waitcnt lgkmcnt(0)
	v_bcnt_u32_b32 v166, v167, v166
	ds_store_b32 v11, v166 offset:32
.LBB71_10:                              ;   in Loop: Header=BB71_2 Depth=1
	s_or_b32 exec_lo, exec_lo, s11
	s_waitcnt lgkmcnt(0)
	v_cndmask_b32_e64 v166, 0, 1, s16
	v_readlane_b32 s11, v201, 14
	; wave barrier
	s_delay_alu instid0(VALU_DEP_2) | instskip(NEXT) | instid1(VALU_DEP_2)
	v_cmp_ne_u32_e32 vcc_lo, 0, v166
	v_cndmask_b32_e64 v167, 0, 1, s11
	v_readlane_b32 s11, v201, 15
	s_delay_alu instid0(VALU_DEP_1) | instskip(NEXT) | instid1(VALU_DEP_3)
	v_cndmask_b32_e64 v166, 0, 1, s11
	v_cmp_ne_u32_e64 s11, 0, v167
	v_xor_b32_e32 v167, vcc_lo, v138
	v_readlane_b32 vcc_lo, v201, 16
	s_delay_alu instid0(VALU_DEP_2) | instskip(NEXT) | instid1(VALU_DEP_2)
	v_and_b32_e32 v167, exec_lo, v167
	v_cndmask_b32_e64 v168, 0, 1, vcc_lo
	v_cmp_ne_u32_e32 vcc_lo, 0, v166
	v_xor_b32_e32 v166, s11, v39
	s_delay_alu instid0(VALU_DEP_3) | instskip(SKIP_1) | instid1(VALU_DEP_3)
	v_cmp_ne_u32_e64 s11, 0, v168
	v_xor_b32_e32 v168, vcc_lo, v40
	v_and_b32_e32 v166, v167, v166
	s_delay_alu instid0(VALU_DEP_3) | instskip(NEXT) | instid1(VALU_DEP_2)
	v_xor_b32_e32 v167, s11, v41
	v_and_b32_e32 v168, v166, v168
	ds_load_b32 v166, v13 offset:32
	; wave barrier
	v_and_b32_e32 v167, v168, v167
	s_delay_alu instid0(VALU_DEP_1) | instskip(SKIP_1) | instid1(VALU_DEP_2)
	v_mbcnt_lo_u32_b32 v168, v167, 0
	v_cmp_ne_u32_e64 s11, 0, v167
	v_cmp_eq_u32_e32 vcc_lo, 0, v168
	s_delay_alu instid0(VALU_DEP_2) | instskip(NEXT) | instid1(SALU_CYCLE_1)
	s_and_b32 vcc_lo, s11, vcc_lo
	s_and_saveexec_b32 s11, vcc_lo
	s_cbranch_execz .LBB71_12
; %bb.11:                               ;   in Loop: Header=BB71_2 Depth=1
	s_waitcnt lgkmcnt(0)
	v_bcnt_u32_b32 v166, v167, v166
	ds_store_b32 v13, v166 offset:32
.LBB71_12:                              ;   in Loop: Header=BB71_2 Depth=1
	s_or_b32 exec_lo, exec_lo, s11
	s_waitcnt lgkmcnt(0)
	v_cndmask_b32_e64 v166, 0, 1, s17
	v_readlane_b32 s11, v200, 0
	; wave barrier
	s_delay_alu instid0(VALU_DEP_2) | instskip(NEXT) | instid1(VALU_DEP_2)
	v_cmp_ne_u32_e32 vcc_lo, 0, v166
	v_cndmask_b32_e64 v167, 0, 1, s11
	v_readlane_b32 s11, v200, 1
	s_delay_alu instid0(VALU_DEP_1) | instskip(NEXT) | instid1(VALU_DEP_3)
	v_cndmask_b32_e64 v166, 0, 1, s11
	v_cmp_ne_u32_e64 s11, 0, v167
	v_xor_b32_e32 v167, vcc_lo, v139
	v_readlane_b32 vcc_lo, v200, 2
	s_delay_alu instid0(VALU_DEP_2) | instskip(NEXT) | instid1(VALU_DEP_2)
	v_and_b32_e32 v167, exec_lo, v167
	v_cndmask_b32_e64 v168, 0, 1, vcc_lo
	v_cmp_ne_u32_e32 vcc_lo, 0, v166
	v_xor_b32_e32 v166, s11, v55
	s_delay_alu instid0(VALU_DEP_3) | instskip(SKIP_1) | instid1(VALU_DEP_3)
	v_cmp_ne_u32_e64 s11, 0, v168
	v_xor_b32_e32 v168, vcc_lo, v56
	v_and_b32_e32 v166, v167, v166
	s_delay_alu instid0(VALU_DEP_3) | instskip(NEXT) | instid1(VALU_DEP_2)
	v_xor_b32_e32 v167, s11, v57
	v_and_b32_e32 v168, v166, v168
	ds_load_b32 v166, v14 offset:32
	; wave barrier
	v_and_b32_e32 v167, v168, v167
	s_delay_alu instid0(VALU_DEP_1) | instskip(SKIP_1) | instid1(VALU_DEP_2)
	v_mbcnt_lo_u32_b32 v168, v167, 0
	v_cmp_ne_u32_e64 s11, 0, v167
	v_cmp_eq_u32_e32 vcc_lo, 0, v168
	s_delay_alu instid0(VALU_DEP_2) | instskip(NEXT) | instid1(SALU_CYCLE_1)
	s_and_b32 vcc_lo, s11, vcc_lo
	s_and_saveexec_b32 s11, vcc_lo
	s_cbranch_execz .LBB71_14
; %bb.13:                               ;   in Loop: Header=BB71_2 Depth=1
	s_waitcnt lgkmcnt(0)
	v_bcnt_u32_b32 v166, v167, v166
	ds_store_b32 v14, v166 offset:32
.LBB71_14:                              ;   in Loop: Header=BB71_2 Depth=1
	;; [unrolled: 42-line block ×5, first 2 shown]
	s_or_b32 exec_lo, exec_lo, s11
	s_waitcnt lgkmcnt(0)
	v_cndmask_b32_e64 v166, 0, 1, s21
	v_readlane_b32 s11, v200, 9
	v_cndmask_b32_e64 v168, 0, 1, s46
	; wave barrier
	s_delay_alu instid0(VALU_DEP_3) | instskip(NEXT) | instid1(VALU_DEP_3)
	v_cmp_ne_u32_e32 vcc_lo, 0, v166
	v_cndmask_b32_e64 v167, 0, 1, s11
	v_readlane_b32 s11, v200, 10
	s_delay_alu instid0(VALU_DEP_1) | instskip(NEXT) | instid1(VALU_DEP_3)
	v_cndmask_b32_e64 v166, 0, 1, s11
	v_cmp_ne_u32_e64 s11, 0, v167
	v_xor_b32_e32 v167, vcc_lo, v143
	s_delay_alu instid0(VALU_DEP_3) | instskip(NEXT) | instid1(VALU_DEP_3)
	v_cmp_ne_u32_e32 vcc_lo, 0, v166
	v_xor_b32_e32 v166, s11, v64
	s_delay_alu instid0(VALU_DEP_3) | instskip(SKIP_2) | instid1(VALU_DEP_3)
	v_and_b32_e32 v167, exec_lo, v167
	v_cmp_ne_u32_e64 s11, 0, v168
	v_xor_b32_e32 v168, vcc_lo, v65
	v_and_b32_e32 v166, v167, v166
	s_delay_alu instid0(VALU_DEP_3) | instskip(NEXT) | instid1(VALU_DEP_2)
	v_xor_b32_e32 v167, s11, v66
	v_and_b32_e32 v168, v166, v168
	ds_load_b32 v166, v19 offset:32
	; wave barrier
	v_and_b32_e32 v167, v168, v167
	s_delay_alu instid0(VALU_DEP_1) | instskip(SKIP_1) | instid1(VALU_DEP_2)
	v_mbcnt_lo_u32_b32 v168, v167, 0
	v_cmp_ne_u32_e64 s11, 0, v167
	v_cmp_eq_u32_e32 vcc_lo, 0, v168
	s_delay_alu instid0(VALU_DEP_2) | instskip(NEXT) | instid1(SALU_CYCLE_1)
	s_and_b32 vcc_lo, s11, vcc_lo
	s_and_saveexec_b32 s11, vcc_lo
	s_cbranch_execz .LBB71_22
; %bb.21:                               ;   in Loop: Header=BB71_2 Depth=1
	s_waitcnt lgkmcnt(0)
	v_bcnt_u32_b32 v166, v167, v166
	ds_store_b32 v19, v166 offset:32
.LBB71_22:                              ;   in Loop: Header=BB71_2 Depth=1
	s_or_b32 exec_lo, exec_lo, s11
	s_waitcnt lgkmcnt(0)
	v_cndmask_b32_e64 v166, 0, 1, s22
	v_cndmask_b32_e64 v167, 0, 1, s47
	;; [unrolled: 1-line block ×3, first 2 shown]
	; wave barrier
	s_delay_alu instid0(VALU_DEP_3) | instskip(SKIP_1) | instid1(VALU_DEP_4)
	v_cmp_ne_u32_e32 vcc_lo, 0, v166
	v_cndmask_b32_e64 v166, 0, 1, s48
	v_cmp_ne_u32_e64 s11, 0, v167
	v_xor_b32_e32 v167, vcc_lo, v144
	s_delay_alu instid0(VALU_DEP_3) | instskip(NEXT) | instid1(VALU_DEP_3)
	v_cmp_ne_u32_e32 vcc_lo, 0, v166
	v_xor_b32_e32 v166, s11, v67
	v_cmp_ne_u32_e64 s11, 0, v168
	s_delay_alu instid0(VALU_DEP_4) | instskip(SKIP_1) | instid1(VALU_DEP_2)
	v_and_b32_e32 v167, exec_lo, v167
	v_xor_b32_e32 v168, vcc_lo, v68
	v_and_b32_e32 v166, v167, v166
	s_delay_alu instid0(VALU_DEP_4) | instskip(NEXT) | instid1(VALU_DEP_2)
	v_xor_b32_e32 v167, s11, v69
	v_and_b32_e32 v168, v166, v168
	ds_load_b32 v166, v20 offset:32
	; wave barrier
	v_and_b32_e32 v167, v168, v167
	s_delay_alu instid0(VALU_DEP_1) | instskip(SKIP_1) | instid1(VALU_DEP_2)
	v_mbcnt_lo_u32_b32 v168, v167, 0
	v_cmp_ne_u32_e64 s11, 0, v167
	v_cmp_eq_u32_e32 vcc_lo, 0, v168
	s_delay_alu instid0(VALU_DEP_2) | instskip(NEXT) | instid1(SALU_CYCLE_1)
	s_and_b32 vcc_lo, s11, vcc_lo
	s_and_saveexec_b32 s11, vcc_lo
	s_cbranch_execz .LBB71_24
; %bb.23:                               ;   in Loop: Header=BB71_2 Depth=1
	s_waitcnt lgkmcnt(0)
	v_bcnt_u32_b32 v166, v167, v166
	ds_store_b32 v20, v166 offset:32
.LBB71_24:                              ;   in Loop: Header=BB71_2 Depth=1
	s_or_b32 exec_lo, exec_lo, s11
	s_waitcnt lgkmcnt(0)
	v_cndmask_b32_e64 v166, 0, 1, s23
	v_cndmask_b32_e64 v167, 0, 1, s50
	;; [unrolled: 1-line block ×3, first 2 shown]
	; wave barrier
	s_delay_alu instid0(VALU_DEP_3) | instskip(SKIP_1) | instid1(VALU_DEP_4)
	v_cmp_ne_u32_e32 vcc_lo, 0, v166
	v_cndmask_b32_e64 v166, 0, 1, s51
	v_cmp_ne_u32_e64 s11, 0, v167
	v_xor_b32_e32 v167, vcc_lo, v145
	s_delay_alu instid0(VALU_DEP_3) | instskip(NEXT) | instid1(VALU_DEP_3)
	v_cmp_ne_u32_e32 vcc_lo, 0, v166
	v_xor_b32_e32 v166, s11, v70
	v_cmp_ne_u32_e64 s11, 0, v168
	s_delay_alu instid0(VALU_DEP_4) | instskip(SKIP_1) | instid1(VALU_DEP_2)
	v_and_b32_e32 v167, exec_lo, v167
	v_xor_b32_e32 v168, vcc_lo, v71
	v_and_b32_e32 v166, v167, v166
	s_delay_alu instid0(VALU_DEP_4) | instskip(NEXT) | instid1(VALU_DEP_2)
	v_xor_b32_e32 v167, s11, v72
	v_and_b32_e32 v168, v166, v168
	ds_load_b32 v166, v22 offset:32
	; wave barrier
	v_and_b32_e32 v167, v168, v167
	s_delay_alu instid0(VALU_DEP_1) | instskip(SKIP_1) | instid1(VALU_DEP_2)
	v_mbcnt_lo_u32_b32 v168, v167, 0
	v_cmp_ne_u32_e64 s11, 0, v167
	v_cmp_eq_u32_e32 vcc_lo, 0, v168
	s_delay_alu instid0(VALU_DEP_2) | instskip(NEXT) | instid1(SALU_CYCLE_1)
	s_and_b32 vcc_lo, s11, vcc_lo
	s_and_saveexec_b32 s11, vcc_lo
	s_cbranch_execz .LBB71_26
; %bb.25:                               ;   in Loop: Header=BB71_2 Depth=1
	s_waitcnt lgkmcnt(0)
	v_bcnt_u32_b32 v166, v167, v166
	ds_store_b32 v22, v166 offset:32
.LBB71_26:                              ;   in Loop: Header=BB71_2 Depth=1
	s_or_b32 exec_lo, exec_lo, s11
	s_waitcnt lgkmcnt(0)
	v_cndmask_b32_e64 v166, 0, 1, s24
	v_readlane_b32 s11, v201, 20
	; wave barrier
	s_delay_alu instid0(VALU_DEP_2) | instskip(NEXT) | instid1(VALU_DEP_2)
	v_cmp_ne_u32_e32 vcc_lo, 0, v166
	v_cndmask_b32_e64 v167, 0, 1, s11
	v_readlane_b32 s11, v201, 21
	s_delay_alu instid0(VALU_DEP_1) | instskip(NEXT) | instid1(VALU_DEP_3)
	v_cndmask_b32_e64 v166, 0, 1, s11
	v_cmp_ne_u32_e64 s11, 0, v167
	v_xor_b32_e32 v167, vcc_lo, v146
	v_readlane_b32 vcc_lo, v201, 22
	s_delay_alu instid0(VALU_DEP_2) | instskip(NEXT) | instid1(VALU_DEP_2)
	v_and_b32_e32 v167, exec_lo, v167
	v_cndmask_b32_e64 v168, 0, 1, vcc_lo
	v_cmp_ne_u32_e32 vcc_lo, 0, v166
	v_xor_b32_e32 v166, s11, v45
	s_delay_alu instid0(VALU_DEP_3) | instskip(SKIP_1) | instid1(VALU_DEP_3)
	v_cmp_ne_u32_e64 s11, 0, v168
	v_xor_b32_e32 v168, vcc_lo, v73
	v_and_b32_e32 v166, v167, v166
	s_delay_alu instid0(VALU_DEP_3) | instskip(NEXT) | instid1(VALU_DEP_2)
	v_xor_b32_e32 v167, s11, v74
	v_and_b32_e32 v168, v166, v168
	ds_load_b32 v166, v23 offset:32
	; wave barrier
	v_and_b32_e32 v167, v168, v167
	s_delay_alu instid0(VALU_DEP_1) | instskip(SKIP_1) | instid1(VALU_DEP_2)
	v_mbcnt_lo_u32_b32 v168, v167, 0
	v_cmp_ne_u32_e64 s11, 0, v167
	v_cmp_eq_u32_e32 vcc_lo, 0, v168
	s_delay_alu instid0(VALU_DEP_2) | instskip(NEXT) | instid1(SALU_CYCLE_1)
	s_and_b32 vcc_lo, s11, vcc_lo
	s_and_saveexec_b32 s11, vcc_lo
	s_cbranch_execz .LBB71_28
; %bb.27:                               ;   in Loop: Header=BB71_2 Depth=1
	s_waitcnt lgkmcnt(0)
	v_bcnt_u32_b32 v166, v167, v166
	ds_store_b32 v23, v166 offset:32
.LBB71_28:                              ;   in Loop: Header=BB71_2 Depth=1
	s_or_b32 exec_lo, exec_lo, s11
	s_waitcnt lgkmcnt(0)
	v_cndmask_b32_e64 v166, 0, 1, s25
	v_cndmask_b32_e64 v167, 0, 1, s53
	v_cndmask_b32_e64 v168, 0, 1, s55
	; wave barrier
	s_delay_alu instid0(VALU_DEP_3) | instskip(SKIP_1) | instid1(VALU_DEP_4)
	v_cmp_ne_u32_e32 vcc_lo, 0, v166
	v_cndmask_b32_e64 v166, 0, 1, s54
	v_cmp_ne_u32_e64 s11, 0, v167
	v_xor_b32_e32 v167, vcc_lo, v147
	s_delay_alu instid0(VALU_DEP_3) | instskip(NEXT) | instid1(VALU_DEP_3)
	v_cmp_ne_u32_e32 vcc_lo, 0, v166
	v_xor_b32_e32 v166, s11, v75
	v_cmp_ne_u32_e64 s11, 0, v168
	s_delay_alu instid0(VALU_DEP_4) | instskip(SKIP_1) | instid1(VALU_DEP_2)
	v_and_b32_e32 v167, exec_lo, v167
	v_xor_b32_e32 v168, vcc_lo, v76
	v_and_b32_e32 v166, v167, v166
	s_delay_alu instid0(VALU_DEP_4) | instskip(NEXT) | instid1(VALU_DEP_2)
	v_xor_b32_e32 v167, s11, v77
	v_and_b32_e32 v168, v166, v168
	ds_load_b32 v166, v24 offset:32
	; wave barrier
	v_and_b32_e32 v167, v168, v167
	s_delay_alu instid0(VALU_DEP_1) | instskip(SKIP_1) | instid1(VALU_DEP_2)
	v_mbcnt_lo_u32_b32 v168, v167, 0
	v_cmp_ne_u32_e64 s11, 0, v167
	v_cmp_eq_u32_e32 vcc_lo, 0, v168
	s_delay_alu instid0(VALU_DEP_2) | instskip(NEXT) | instid1(SALU_CYCLE_1)
	s_and_b32 vcc_lo, s11, vcc_lo
	s_and_saveexec_b32 s11, vcc_lo
	s_cbranch_execz .LBB71_30
; %bb.29:                               ;   in Loop: Header=BB71_2 Depth=1
	s_waitcnt lgkmcnt(0)
	v_bcnt_u32_b32 v166, v167, v166
	ds_store_b32 v24, v166 offset:32
.LBB71_30:                              ;   in Loop: Header=BB71_2 Depth=1
	s_or_b32 exec_lo, exec_lo, s11
	s_waitcnt lgkmcnt(0)
	v_cndmask_b32_e64 v166, 0, 1, s26
	v_cndmask_b32_e64 v167, 0, 1, s56
	v_cndmask_b32_e64 v168, 0, 1, s58
	; wave barrier
	s_delay_alu instid0(VALU_DEP_3) | instskip(SKIP_1) | instid1(VALU_DEP_4)
	v_cmp_ne_u32_e32 vcc_lo, 0, v166
	v_cndmask_b32_e64 v166, 0, 1, s57
	v_cmp_ne_u32_e64 s11, 0, v167
	v_xor_b32_e32 v167, vcc_lo, v148
	s_delay_alu instid0(VALU_DEP_3) | instskip(NEXT) | instid1(VALU_DEP_3)
	v_cmp_ne_u32_e32 vcc_lo, 0, v166
	v_xor_b32_e32 v166, s11, v78
	v_cmp_ne_u32_e64 s11, 0, v168
	s_delay_alu instid0(VALU_DEP_4) | instskip(SKIP_1) | instid1(VALU_DEP_2)
	v_and_b32_e32 v167, exec_lo, v167
	v_xor_b32_e32 v168, vcc_lo, v79
	v_and_b32_e32 v166, v167, v166
	s_delay_alu instid0(VALU_DEP_4) | instskip(NEXT) | instid1(VALU_DEP_2)
	;; [unrolled: 38-line block ×3, first 2 shown]
	v_xor_b32_e32 v167, s11, v83
	v_and_b32_e32 v168, v166, v168
	ds_load_b32 v166, v27 offset:32
	; wave barrier
	v_and_b32_e32 v167, v168, v167
	s_delay_alu instid0(VALU_DEP_1) | instskip(SKIP_1) | instid1(VALU_DEP_2)
	v_mbcnt_lo_u32_b32 v168, v167, 0
	v_cmp_ne_u32_e64 s11, 0, v167
	v_cmp_eq_u32_e32 vcc_lo, 0, v168
	s_delay_alu instid0(VALU_DEP_2) | instskip(NEXT) | instid1(SALU_CYCLE_1)
	s_and_b32 vcc_lo, s11, vcc_lo
	s_and_saveexec_b32 s11, vcc_lo
	s_cbranch_execz .LBB71_34
; %bb.33:                               ;   in Loop: Header=BB71_2 Depth=1
	s_waitcnt lgkmcnt(0)
	v_bcnt_u32_b32 v166, v167, v166
	ds_store_b32 v27, v166 offset:32
.LBB71_34:                              ;   in Loop: Header=BB71_2 Depth=1
	s_or_b32 exec_lo, exec_lo, s11
	; wave barrier
	s_waitcnt lgkmcnt(0)
	s_barrier
	buffer_gl0_inv
	ds_load_b32 v166, v0 offset:32
	s_waitcnt lgkmcnt(0)
	v_mov_b32_dpp v167, v166 row_shr:1 row_mask:0xf bank_mask:0xf
	s_delay_alu instid0(VALU_DEP_1) | instskip(NEXT) | instid1(VALU_DEP_1)
	v_cndmask_b32_e64 v167, v167, 0, s6
	v_add_nc_u32_e32 v166, v167, v166
	s_delay_alu instid0(VALU_DEP_1) | instskip(NEXT) | instid1(VALU_DEP_1)
	v_mov_b32_dpp v167, v166 row_shr:2 row_mask:0xf bank_mask:0xf
	v_cndmask_b32_e64 v167, 0, v167, s0
	s_delay_alu instid0(VALU_DEP_1) | instskip(NEXT) | instid1(VALU_DEP_1)
	v_add_nc_u32_e32 v166, v166, v167
	v_mov_b32_dpp v167, v166 row_shr:4 row_mask:0xf bank_mask:0xf
	s_delay_alu instid0(VALU_DEP_1) | instskip(NEXT) | instid1(VALU_DEP_1)
	v_cndmask_b32_e64 v167, 0, v167, s1
	v_add_nc_u32_e32 v166, v166, v167
	s_delay_alu instid0(VALU_DEP_1) | instskip(NEXT) | instid1(VALU_DEP_1)
	v_mov_b32_dpp v167, v166 row_shr:8 row_mask:0xf bank_mask:0xf
	v_cndmask_b32_e64 v167, 0, v167, s2
	s_delay_alu instid0(VALU_DEP_1) | instskip(SKIP_3) | instid1(VALU_DEP_1)
	v_add_nc_u32_e32 v166, v166, v167
	ds_swizzle_b32 v167, v166 offset:swizzle(BROADCAST,32,15)
	s_waitcnt lgkmcnt(0)
	v_cndmask_b32_e64 v167, v167, 0, s3
	v_add_nc_u32_e32 v166, v166, v167
	s_and_saveexec_b32 s11, s7
	s_delay_alu instid0(SALU_CYCLE_1)
	s_xor_b32 s11, exec_lo, s11
	s_cbranch_execz .LBB71_36
; %bb.35:                               ;   in Loop: Header=BB71_2 Depth=1
	ds_store_b32 v34, v166
.LBB71_36:                              ;   in Loop: Header=BB71_2 Depth=1
	s_or_b32 exec_lo, exec_lo, s11
	s_waitcnt lgkmcnt(0)
	s_barrier
	buffer_gl0_inv
	s_and_saveexec_b32 s11, s8
	s_cbranch_execz .LBB71_38
; %bb.37:                               ;   in Loop: Header=BB71_2 Depth=1
	ds_load_b32 v167, v0
	v_readlane_b32 vcc_lo, v201, 4
	s_waitcnt lgkmcnt(0)
	v_mov_b32_dpp v168, v167 row_shr:1 row_mask:0xf bank_mask:0xf
	s_delay_alu instid0(VALU_DEP_1) | instskip(SKIP_1) | instid1(VALU_DEP_2)
	v_cndmask_b32_e64 v168, v168, 0, vcc_lo
	v_readlane_b32 vcc_lo, v201, 5
	v_add_nc_u32_e32 v167, v168, v167
	s_delay_alu instid0(VALU_DEP_1) | instskip(NEXT) | instid1(VALU_DEP_1)
	v_mov_b32_dpp v168, v167 row_shr:2 row_mask:0xf bank_mask:0xf
	v_cndmask_b32_e32 v168, 0, v168, vcc_lo
	v_readlane_b32 vcc_lo, v201, 6
	s_delay_alu instid0(VALU_DEP_2) | instskip(NEXT) | instid1(VALU_DEP_1)
	v_add_nc_u32_e32 v167, v167, v168
	v_mov_b32_dpp v168, v167 row_shr:4 row_mask:0xf bank_mask:0xf
	s_delay_alu instid0(VALU_DEP_1) | instskip(NEXT) | instid1(VALU_DEP_1)
	v_cndmask_b32_e32 v168, 0, v168, vcc_lo
	v_add_nc_u32_e32 v167, v167, v168
	ds_store_b32 v0, v167
.LBB71_38:                              ;   in Loop: Header=BB71_2 Depth=1
	s_or_b32 exec_lo, exec_lo, s11
	v_mov_b32_e32 v167, 0
	s_waitcnt lgkmcnt(0)
	s_barrier
	buffer_gl0_inv
	s_and_saveexec_b32 s11, s9
	s_cbranch_execz .LBB71_40
; %bb.39:                               ;   in Loop: Header=BB71_2 Depth=1
	ds_load_b32 v167, v133
.LBB71_40:                              ;   in Loop: Header=BB71_2 Depth=1
	s_or_b32 exec_lo, exec_lo, s11
	v_cndmask_b32_e64 v168, 0, 1, s28
	s_waitcnt lgkmcnt(0)
	v_add_nc_u32_e32 v166, v167, v166
	v_cndmask_b32_e64 v169, 0, 1, s62
	v_cndmask_b32_e64 v170, 0, 1, s64
	v_cmp_ne_u32_e32 vcc_lo, 0, v168
	v_cndmask_b32_e64 v168, 0, 1, s63
	ds_bpermute_b32 v166, v35, v166
	v_cmp_ne_u32_e64 s11, 0, v169
	v_xor_b32_e32 v169, vcc_lo, v150
	v_cmp_ne_u32_e32 vcc_lo, 0, v168
	s_delay_alu instid0(VALU_DEP_3) | instskip(SKIP_1) | instid1(VALU_DEP_4)
	v_xor_b32_e32 v168, s11, v84
	v_cmp_ne_u32_e64 s11, 0, v170
	v_and_b32_e32 v169, exec_lo, v169
	v_xor_b32_e32 v170, vcc_lo, v85
	s_delay_alu instid0(VALU_DEP_2) | instskip(NEXT) | instid1(VALU_DEP_4)
	v_and_b32_e32 v168, v169, v168
	v_xor_b32_e32 v169, s11, v86
	s_delay_alu instid0(VALU_DEP_2) | instskip(SKIP_2) | instid1(VALU_DEP_2)
	v_and_b32_e32 v168, v168, v170
	s_waitcnt lgkmcnt(0)
	v_cndmask_b32_e64 v166, v166, v167, s10
	v_and_b32_e32 v167, v168, v169
	ds_store_b32 v0, v166 offset:32
	s_waitcnt lgkmcnt(0)
	s_barrier
	v_mbcnt_lo_u32_b32 v166, v167, 0
	v_cmp_ne_u32_e64 s11, 0, v167
	buffer_gl0_inv
	ds_store_b32 v0, v132 offset:32
	s_waitcnt lgkmcnt(0)
	v_cmp_eq_u32_e32 vcc_lo, 0, v166
	s_barrier
	buffer_gl0_inv
	; wave barrier
	s_and_b32 vcc_lo, s11, vcc_lo
	s_delay_alu instid0(SALU_CYCLE_1)
	s_and_saveexec_b32 s11, vcc_lo
	s_cbranch_execz .LBB71_42
; %bb.41:                               ;   in Loop: Header=BB71_2 Depth=1
	v_bcnt_u32_b32 v167, v167, 0
	ds_store_b32 v1, v167 offset:32
.LBB71_42:                              ;   in Loop: Header=BB71_2 Depth=1
	s_or_b32 exec_lo, exec_lo, s11
	v_cndmask_b32_e64 v167, 0, 1, s29
	v_cndmask_b32_e64 v168, 0, 1, s65
	;; [unrolled: 1-line block ×3, first 2 shown]
	; wave barrier
	s_delay_alu instid0(VALU_DEP_3) | instskip(SKIP_1) | instid1(VALU_DEP_4)
	v_cmp_ne_u32_e32 vcc_lo, 0, v167
	v_cndmask_b32_e64 v167, 0, 1, s66
	v_cmp_ne_u32_e64 s11, 0, v168
	v_xor_b32_e32 v168, vcc_lo, v151
	s_delay_alu instid0(VALU_DEP_3) | instskip(NEXT) | instid1(VALU_DEP_3)
	v_cmp_ne_u32_e32 vcc_lo, 0, v167
	v_xor_b32_e32 v167, s11, v87
	v_cmp_ne_u32_e64 s11, 0, v169
	s_delay_alu instid0(VALU_DEP_4) | instskip(SKIP_1) | instid1(VALU_DEP_2)
	v_and_b32_e32 v168, exec_lo, v168
	v_xor_b32_e32 v169, vcc_lo, v88
	v_and_b32_e32 v167, v168, v167
	s_delay_alu instid0(VALU_DEP_4) | instskip(NEXT) | instid1(VALU_DEP_2)
	v_xor_b32_e32 v168, s11, v89
	v_and_b32_e32 v169, v167, v169
	ds_load_b32 v167, v3 offset:32
	; wave barrier
	v_and_b32_e32 v169, v169, v168
	s_delay_alu instid0(VALU_DEP_1) | instskip(SKIP_1) | instid1(VALU_DEP_2)
	v_mbcnt_lo_u32_b32 v168, v169, 0
	v_cmp_ne_u32_e64 s11, 0, v169
	v_cmp_eq_u32_e32 vcc_lo, 0, v168
	s_delay_alu instid0(VALU_DEP_2) | instskip(NEXT) | instid1(SALU_CYCLE_1)
	s_and_b32 vcc_lo, s11, vcc_lo
	s_and_saveexec_b32 s11, vcc_lo
	s_cbranch_execz .LBB71_44
; %bb.43:                               ;   in Loop: Header=BB71_2 Depth=1
	s_waitcnt lgkmcnt(0)
	v_bcnt_u32_b32 v169, v169, v167
	ds_store_b32 v3, v169 offset:32
.LBB71_44:                              ;   in Loop: Header=BB71_2 Depth=1
	s_or_b32 exec_lo, exec_lo, s11
	v_cndmask_b32_e64 v169, 0, 1, s30
	v_cndmask_b32_e64 v170, 0, 1, s68
	;; [unrolled: 1-line block ×3, first 2 shown]
	; wave barrier
	s_delay_alu instid0(VALU_DEP_3) | instskip(SKIP_1) | instid1(VALU_DEP_4)
	v_cmp_ne_u32_e32 vcc_lo, 0, v169
	v_cndmask_b32_e64 v169, 0, 1, s69
	v_cmp_ne_u32_e64 s11, 0, v170
	v_xor_b32_e32 v170, vcc_lo, v152
	s_delay_alu instid0(VALU_DEP_3) | instskip(NEXT) | instid1(VALU_DEP_3)
	v_cmp_ne_u32_e32 vcc_lo, 0, v169
	v_xor_b32_e32 v169, s11, v90
	v_cmp_ne_u32_e64 s11, 0, v171
	s_delay_alu instid0(VALU_DEP_4) | instskip(SKIP_1) | instid1(VALU_DEP_2)
	v_and_b32_e32 v170, exec_lo, v170
	v_xor_b32_e32 v171, vcc_lo, v91
	v_and_b32_e32 v169, v170, v169
	s_delay_alu instid0(VALU_DEP_4) | instskip(NEXT) | instid1(VALU_DEP_2)
	v_xor_b32_e32 v170, s11, v92
	v_and_b32_e32 v171, v169, v171
	ds_load_b32 v169, v5 offset:32
	; wave barrier
	v_and_b32_e32 v171, v171, v170
	s_delay_alu instid0(VALU_DEP_1) | instskip(SKIP_1) | instid1(VALU_DEP_2)
	v_mbcnt_lo_u32_b32 v170, v171, 0
	v_cmp_ne_u32_e64 s11, 0, v171
	v_cmp_eq_u32_e32 vcc_lo, 0, v170
	s_delay_alu instid0(VALU_DEP_2) | instskip(NEXT) | instid1(SALU_CYCLE_1)
	s_and_b32 vcc_lo, s11, vcc_lo
	s_and_saveexec_b32 s11, vcc_lo
	s_cbranch_execz .LBB71_46
; %bb.45:                               ;   in Loop: Header=BB71_2 Depth=1
	s_waitcnt lgkmcnt(0)
	v_bcnt_u32_b32 v171, v171, v169
	ds_store_b32 v5, v171 offset:32
.LBB71_46:                              ;   in Loop: Header=BB71_2 Depth=1
	s_or_b32 exec_lo, exec_lo, s11
	v_cndmask_b32_e64 v171, 0, 1, s31
	v_cndmask_b32_e64 v172, 0, 1, s71
	; wave barrier
	s_delay_alu instid0(VALU_DEP_2) | instskip(SKIP_1) | instid1(VALU_DEP_3)
	v_cmp_ne_u32_e32 vcc_lo, 0, v171
	v_cndmask_b32_e64 v171, 0, 1, s72
	v_cmp_ne_u32_e64 s11, 0, v172
	v_xor_b32_e32 v172, vcc_lo, v153
	v_readlane_b32 vcc_lo, v201, 7
	s_delay_alu instid0(VALU_DEP_2) | instskip(NEXT) | instid1(VALU_DEP_2)
	v_and_b32_e32 v172, exec_lo, v172
	v_cndmask_b32_e64 v173, 0, 1, vcc_lo
	v_cmp_ne_u32_e32 vcc_lo, 0, v171
	v_xor_b32_e32 v171, s11, v93
	s_delay_alu instid0(VALU_DEP_3) | instskip(SKIP_1) | instid1(VALU_DEP_3)
	v_cmp_ne_u32_e64 s11, 0, v173
	v_xor_b32_e32 v173, vcc_lo, v94
	v_and_b32_e32 v171, v172, v171
	s_delay_alu instid0(VALU_DEP_3) | instskip(NEXT) | instid1(VALU_DEP_2)
	v_xor_b32_e32 v172, s11, v95
	v_and_b32_e32 v173, v171, v173
	ds_load_b32 v171, v6 offset:32
	; wave barrier
	v_and_b32_e32 v173, v173, v172
	s_delay_alu instid0(VALU_DEP_1) | instskip(SKIP_1) | instid1(VALU_DEP_2)
	v_mbcnt_lo_u32_b32 v172, v173, 0
	v_cmp_ne_u32_e64 s11, 0, v173
	v_cmp_eq_u32_e32 vcc_lo, 0, v172
	s_delay_alu instid0(VALU_DEP_2) | instskip(NEXT) | instid1(SALU_CYCLE_1)
	s_and_b32 vcc_lo, s11, vcc_lo
	s_and_saveexec_b32 s11, vcc_lo
	s_cbranch_execz .LBB71_48
; %bb.47:                               ;   in Loop: Header=BB71_2 Depth=1
	s_waitcnt lgkmcnt(0)
	v_bcnt_u32_b32 v173, v173, v171
	ds_store_b32 v6, v173 offset:32
.LBB71_48:                              ;   in Loop: Header=BB71_2 Depth=1
	s_or_b32 exec_lo, exec_lo, s11
	v_cndmask_b32_e64 v173, 0, 1, s33
	v_cndmask_b32_e64 v174, 0, 1, s73
	v_cndmask_b32_e64 v175, 0, 1, s75
	; wave barrier
	s_delay_alu instid0(VALU_DEP_3) | instskip(SKIP_1) | instid1(VALU_DEP_4)
	v_cmp_ne_u32_e32 vcc_lo, 0, v173
	v_cndmask_b32_e64 v173, 0, 1, s74
	v_cmp_ne_u32_e64 s11, 0, v174
	v_xor_b32_e32 v174, vcc_lo, v154
	s_delay_alu instid0(VALU_DEP_3) | instskip(NEXT) | instid1(VALU_DEP_3)
	v_cmp_ne_u32_e32 vcc_lo, 0, v173
	v_xor_b32_e32 v173, s11, v96
	v_cmp_ne_u32_e64 s11, 0, v175
	s_delay_alu instid0(VALU_DEP_4) | instskip(SKIP_1) | instid1(VALU_DEP_2)
	v_and_b32_e32 v174, exec_lo, v174
	v_xor_b32_e32 v175, vcc_lo, v97
	v_and_b32_e32 v173, v174, v173
	s_delay_alu instid0(VALU_DEP_4) | instskip(NEXT) | instid1(VALU_DEP_2)
	v_xor_b32_e32 v174, s11, v98
	v_and_b32_e32 v175, v173, v175
	ds_load_b32 v173, v4 offset:32
	; wave barrier
	v_and_b32_e32 v175, v175, v174
	s_delay_alu instid0(VALU_DEP_1) | instskip(SKIP_1) | instid1(VALU_DEP_2)
	v_mbcnt_lo_u32_b32 v174, v175, 0
	v_cmp_ne_u32_e64 s11, 0, v175
	v_cmp_eq_u32_e32 vcc_lo, 0, v174
	s_delay_alu instid0(VALU_DEP_2) | instskip(NEXT) | instid1(SALU_CYCLE_1)
	s_and_b32 vcc_lo, s11, vcc_lo
	s_and_saveexec_b32 s11, vcc_lo
	s_cbranch_execz .LBB71_50
; %bb.49:                               ;   in Loop: Header=BB71_2 Depth=1
	s_waitcnt lgkmcnt(0)
	v_bcnt_u32_b32 v175, v175, v173
	ds_store_b32 v4, v175 offset:32
.LBB71_50:                              ;   in Loop: Header=BB71_2 Depth=1
	s_or_b32 exec_lo, exec_lo, s11
	v_cndmask_b32_e64 v175, 0, 1, s34
	v_cndmask_b32_e64 v176, 0, 1, s76
	v_cndmask_b32_e64 v177, 0, 1, s78
	; wave barrier
	s_delay_alu instid0(VALU_DEP_3) | instskip(SKIP_1) | instid1(VALU_DEP_4)
	v_cmp_ne_u32_e32 vcc_lo, 0, v175
	v_cndmask_b32_e64 v175, 0, 1, s77
	v_cmp_ne_u32_e64 s11, 0, v176
	v_xor_b32_e32 v176, vcc_lo, v155
	s_delay_alu instid0(VALU_DEP_3) | instskip(NEXT) | instid1(VALU_DEP_3)
	v_cmp_ne_u32_e32 vcc_lo, 0, v175
	v_xor_b32_e32 v175, s11, v99
	v_cmp_ne_u32_e64 s11, 0, v177
	s_delay_alu instid0(VALU_DEP_4) | instskip(SKIP_1) | instid1(VALU_DEP_2)
	v_and_b32_e32 v176, exec_lo, v176
	v_xor_b32_e32 v177, vcc_lo, v100
	v_and_b32_e32 v175, v176, v175
	s_delay_alu instid0(VALU_DEP_4) | instskip(NEXT) | instid1(VALU_DEP_2)
	;; [unrolled: 37-line block ×3, first 2 shown]
	v_xor_b32_e32 v178, s11, v104
	v_and_b32_e32 v179, v177, v179
	ds_load_b32 v177, v12 offset:32
	; wave barrier
	v_and_b32_e32 v179, v179, v178
	s_delay_alu instid0(VALU_DEP_1) | instskip(SKIP_1) | instid1(VALU_DEP_2)
	v_mbcnt_lo_u32_b32 v178, v179, 0
	v_cmp_ne_u32_e64 s11, 0, v179
	v_cmp_eq_u32_e32 vcc_lo, 0, v178
	s_delay_alu instid0(VALU_DEP_2) | instskip(NEXT) | instid1(SALU_CYCLE_1)
	s_and_b32 vcc_lo, s11, vcc_lo
	s_and_saveexec_b32 s11, vcc_lo
	s_cbranch_execz .LBB71_54
; %bb.53:                               ;   in Loop: Header=BB71_2 Depth=1
	s_waitcnt lgkmcnt(0)
	v_bcnt_u32_b32 v179, v179, v177
	ds_store_b32 v12, v179 offset:32
.LBB71_54:                              ;   in Loop: Header=BB71_2 Depth=1
	s_or_b32 exec_lo, exec_lo, s11
	v_cndmask_b32_e64 v179, 0, 1, s36
	v_cndmask_b32_e64 v180, 0, 1, s82
	; wave barrier
	s_delay_alu instid0(VALU_DEP_2) | instskip(SKIP_1) | instid1(VALU_DEP_3)
	v_cmp_ne_u32_e32 vcc_lo, 0, v179
	v_cndmask_b32_e64 v179, 0, 1, s83
	v_cmp_ne_u32_e64 s11, 0, v180
	v_xor_b32_e32 v180, vcc_lo, v157
	v_readlane_b32 vcc_lo, v201, 8
	s_delay_alu instid0(VALU_DEP_2) | instskip(NEXT) | instid1(VALU_DEP_2)
	v_and_b32_e32 v180, exec_lo, v180
	v_cndmask_b32_e64 v181, 0, 1, vcc_lo
	v_cmp_ne_u32_e32 vcc_lo, 0, v179
	v_xor_b32_e32 v179, s11, v105
	s_delay_alu instid0(VALU_DEP_3) | instskip(SKIP_1) | instid1(VALU_DEP_3)
	v_cmp_ne_u32_e64 s11, 0, v181
	v_xor_b32_e32 v181, vcc_lo, v106
	v_and_b32_e32 v179, v180, v179
	s_delay_alu instid0(VALU_DEP_3) | instskip(NEXT) | instid1(VALU_DEP_2)
	v_xor_b32_e32 v180, s11, v107
	v_and_b32_e32 v181, v179, v181
	ds_load_b32 v179, v17 offset:32
	; wave barrier
	v_and_b32_e32 v181, v181, v180
	s_delay_alu instid0(VALU_DEP_1) | instskip(SKIP_1) | instid1(VALU_DEP_2)
	v_mbcnt_lo_u32_b32 v180, v181, 0
	v_cmp_ne_u32_e64 s11, 0, v181
	v_cmp_eq_u32_e32 vcc_lo, 0, v180
	s_delay_alu instid0(VALU_DEP_2) | instskip(NEXT) | instid1(SALU_CYCLE_1)
	s_and_b32 vcc_lo, s11, vcc_lo
	s_and_saveexec_b32 s11, vcc_lo
	s_cbranch_execz .LBB71_56
; %bb.55:                               ;   in Loop: Header=BB71_2 Depth=1
	s_waitcnt lgkmcnt(0)
	v_bcnt_u32_b32 v181, v181, v179
	ds_store_b32 v17, v181 offset:32
.LBB71_56:                              ;   in Loop: Header=BB71_2 Depth=1
	s_or_b32 exec_lo, exec_lo, s11
	v_cndmask_b32_e64 v181, 0, 1, s37
	v_cndmask_b32_e64 v182, 0, 1, s84
	v_cndmask_b32_e64 v183, 0, 1, s86
	; wave barrier
	s_delay_alu instid0(VALU_DEP_3) | instskip(SKIP_1) | instid1(VALU_DEP_4)
	v_cmp_ne_u32_e32 vcc_lo, 0, v181
	v_cndmask_b32_e64 v181, 0, 1, s85
	v_cmp_ne_u32_e64 s11, 0, v182
	v_xor_b32_e32 v182, vcc_lo, v158
	s_delay_alu instid0(VALU_DEP_3) | instskip(NEXT) | instid1(VALU_DEP_3)
	v_cmp_ne_u32_e32 vcc_lo, 0, v181
	v_xor_b32_e32 v181, s11, v108
	v_cmp_ne_u32_e64 s11, 0, v183
	s_delay_alu instid0(VALU_DEP_4) | instskip(SKIP_1) | instid1(VALU_DEP_2)
	v_and_b32_e32 v182, exec_lo, v182
	v_xor_b32_e32 v183, vcc_lo, v109
	v_and_b32_e32 v181, v182, v181
	s_delay_alu instid0(VALU_DEP_4) | instskip(NEXT) | instid1(VALU_DEP_2)
	v_xor_b32_e32 v182, s11, v110
	v_and_b32_e32 v183, v181, v183
	ds_load_b32 v181, v21 offset:32
	; wave barrier
	v_and_b32_e32 v183, v183, v182
	s_delay_alu instid0(VALU_DEP_1) | instskip(SKIP_1) | instid1(VALU_DEP_2)
	v_mbcnt_lo_u32_b32 v182, v183, 0
	v_cmp_ne_u32_e64 s11, 0, v183
	v_cmp_eq_u32_e32 vcc_lo, 0, v182
	s_delay_alu instid0(VALU_DEP_2) | instskip(NEXT) | instid1(SALU_CYCLE_1)
	s_and_b32 vcc_lo, s11, vcc_lo
	s_and_saveexec_b32 s11, vcc_lo
	s_cbranch_execz .LBB71_58
; %bb.57:                               ;   in Loop: Header=BB71_2 Depth=1
	s_waitcnt lgkmcnt(0)
	v_bcnt_u32_b32 v183, v183, v181
	ds_store_b32 v21, v183 offset:32
.LBB71_58:                              ;   in Loop: Header=BB71_2 Depth=1
	s_or_b32 exec_lo, exec_lo, s11
	v_cndmask_b32_e64 v183, 0, 1, s38
	v_cndmask_b32_e64 v184, 0, 1, s87
	v_cndmask_b32_e64 v185, 0, 1, s89
	; wave barrier
	s_delay_alu instid0(VALU_DEP_3) | instskip(SKIP_1) | instid1(VALU_DEP_4)
	v_cmp_ne_u32_e32 vcc_lo, 0, v183
	v_cndmask_b32_e64 v183, 0, 1, s88
	v_cmp_ne_u32_e64 s11, 0, v184
	v_xor_b32_e32 v184, vcc_lo, v159
	s_delay_alu instid0(VALU_DEP_3) | instskip(NEXT) | instid1(VALU_DEP_3)
	v_cmp_ne_u32_e32 vcc_lo, 0, v183
	v_xor_b32_e32 v183, s11, v111
	v_cmp_ne_u32_e64 s11, 0, v185
	s_delay_alu instid0(VALU_DEP_4) | instskip(SKIP_1) | instid1(VALU_DEP_2)
	v_and_b32_e32 v184, exec_lo, v184
	v_xor_b32_e32 v185, vcc_lo, v112
	v_and_b32_e32 v183, v184, v183
	s_delay_alu instid0(VALU_DEP_4) | instskip(NEXT) | instid1(VALU_DEP_2)
	v_xor_b32_e32 v184, s11, v113
	v_and_b32_e32 v185, v183, v185
	ds_load_b32 v183, v25 offset:32
	; wave barrier
	v_and_b32_e32 v185, v185, v184
	s_delay_alu instid0(VALU_DEP_1) | instskip(SKIP_1) | instid1(VALU_DEP_2)
	v_mbcnt_lo_u32_b32 v184, v185, 0
	v_cmp_ne_u32_e64 s11, 0, v185
	v_cmp_eq_u32_e32 vcc_lo, 0, v184
	s_delay_alu instid0(VALU_DEP_2) | instskip(NEXT) | instid1(SALU_CYCLE_1)
	s_and_b32 vcc_lo, s11, vcc_lo
	s_and_saveexec_b32 s11, vcc_lo
	s_cbranch_execz .LBB71_60
; %bb.59:                               ;   in Loop: Header=BB71_2 Depth=1
	s_waitcnt lgkmcnt(0)
	v_bcnt_u32_b32 v185, v185, v183
	ds_store_b32 v25, v185 offset:32
.LBB71_60:                              ;   in Loop: Header=BB71_2 Depth=1
	s_or_b32 exec_lo, exec_lo, s11
	v_cndmask_b32_e64 v185, 0, 1, s39
	v_cndmask_b32_e64 v186, 0, 1, s90
	v_cndmask_b32_e64 v187, 0, 1, s92
	; wave barrier
	s_delay_alu instid0(VALU_DEP_3) | instskip(SKIP_1) | instid1(VALU_DEP_4)
	v_cmp_ne_u32_e32 vcc_lo, 0, v185
	v_cndmask_b32_e64 v185, 0, 1, s91
	v_cmp_ne_u32_e64 s11, 0, v186
	v_xor_b32_e32 v186, vcc_lo, v160
	s_delay_alu instid0(VALU_DEP_3) | instskip(NEXT) | instid1(VALU_DEP_3)
	v_cmp_ne_u32_e32 vcc_lo, 0, v185
	v_xor_b32_e32 v185, s11, v114
	v_cmp_ne_u32_e64 s11, 0, v187
	s_delay_alu instid0(VALU_DEP_4) | instskip(SKIP_1) | instid1(VALU_DEP_2)
	v_and_b32_e32 v186, exec_lo, v186
	v_xor_b32_e32 v187, vcc_lo, v115
	v_and_b32_e32 v185, v186, v185
	s_delay_alu instid0(VALU_DEP_4) | instskip(NEXT) | instid1(VALU_DEP_2)
	v_xor_b32_e32 v186, s11, v116
	v_and_b32_e32 v187, v185, v187
	ds_load_b32 v185, v28 offset:32
	; wave barrier
	v_and_b32_e32 v187, v187, v186
	s_delay_alu instid0(VALU_DEP_1) | instskip(SKIP_1) | instid1(VALU_DEP_2)
	v_mbcnt_lo_u32_b32 v186, v187, 0
	v_cmp_ne_u32_e64 s11, 0, v187
	v_cmp_eq_u32_e32 vcc_lo, 0, v186
	s_delay_alu instid0(VALU_DEP_2) | instskip(NEXT) | instid1(SALU_CYCLE_1)
	s_and_b32 vcc_lo, s11, vcc_lo
	s_and_saveexec_b32 s11, vcc_lo
	s_cbranch_execz .LBB71_62
; %bb.61:                               ;   in Loop: Header=BB71_2 Depth=1
	s_waitcnt lgkmcnt(0)
	v_bcnt_u32_b32 v187, v187, v185
	ds_store_b32 v28, v187 offset:32
.LBB71_62:                              ;   in Loop: Header=BB71_2 Depth=1
	s_or_b32 exec_lo, exec_lo, s11
	v_cndmask_b32_e64 v187, 0, 1, s40
	v_cndmask_b32_e64 v188, 0, 1, s93
	v_cndmask_b32_e64 v189, 0, 1, s95
	; wave barrier
	s_delay_alu instid0(VALU_DEP_3) | instskip(SKIP_1) | instid1(VALU_DEP_4)
	v_cmp_ne_u32_e32 vcc_lo, 0, v187
	v_cndmask_b32_e64 v187, 0, 1, s94
	v_cmp_ne_u32_e64 s11, 0, v188
	v_xor_b32_e32 v188, vcc_lo, v161
	s_delay_alu instid0(VALU_DEP_3) | instskip(NEXT) | instid1(VALU_DEP_3)
	v_cmp_ne_u32_e32 vcc_lo, 0, v187
	v_xor_b32_e32 v187, s11, v117
	v_cmp_ne_u32_e64 s11, 0, v189
	s_delay_alu instid0(VALU_DEP_4) | instskip(SKIP_1) | instid1(VALU_DEP_2)
	v_and_b32_e32 v188, exec_lo, v188
	v_xor_b32_e32 v189, vcc_lo, v118
	v_and_b32_e32 v187, v188, v187
	s_delay_alu instid0(VALU_DEP_4) | instskip(NEXT) | instid1(VALU_DEP_2)
	v_xor_b32_e32 v188, s11, v119
	v_and_b32_e32 v189, v187, v189
	ds_load_b32 v187, v29 offset:32
	; wave barrier
	v_and_b32_e32 v189, v189, v188
	s_delay_alu instid0(VALU_DEP_1) | instskip(SKIP_1) | instid1(VALU_DEP_2)
	v_mbcnt_lo_u32_b32 v188, v189, 0
	v_cmp_ne_u32_e64 s11, 0, v189
	v_cmp_eq_u32_e32 vcc_lo, 0, v188
	s_delay_alu instid0(VALU_DEP_2) | instskip(NEXT) | instid1(SALU_CYCLE_1)
	s_and_b32 vcc_lo, s11, vcc_lo
	s_and_saveexec_b32 s11, vcc_lo
	s_cbranch_execz .LBB71_64
; %bb.63:                               ;   in Loop: Header=BB71_2 Depth=1
	s_waitcnt lgkmcnt(0)
	v_bcnt_u32_b32 v189, v189, v187
	ds_store_b32 v29, v189 offset:32
.LBB71_64:                              ;   in Loop: Header=BB71_2 Depth=1
	s_or_b32 exec_lo, exec_lo, s11
	v_cndmask_b32_e64 v189, 0, 1, s41
	v_cndmask_b32_e64 v190, 0, 1, s96
	v_cndmask_b32_e64 v191, 0, 1, s98
	; wave barrier
	s_delay_alu instid0(VALU_DEP_3) | instskip(SKIP_1) | instid1(VALU_DEP_4)
	v_cmp_ne_u32_e32 vcc_lo, 0, v189
	v_cndmask_b32_e64 v189, 0, 1, s97
	v_cmp_ne_u32_e64 s11, 0, v190
	v_xor_b32_e32 v190, vcc_lo, v162
	s_delay_alu instid0(VALU_DEP_3) | instskip(NEXT) | instid1(VALU_DEP_3)
	v_cmp_ne_u32_e32 vcc_lo, 0, v189
	v_xor_b32_e32 v189, s11, v120
	v_cmp_ne_u32_e64 s11, 0, v191
	s_delay_alu instid0(VALU_DEP_4) | instskip(SKIP_1) | instid1(VALU_DEP_2)
	v_and_b32_e32 v190, exec_lo, v190
	v_xor_b32_e32 v191, vcc_lo, v121
	v_and_b32_e32 v189, v190, v189
	s_delay_alu instid0(VALU_DEP_4) | instskip(NEXT) | instid1(VALU_DEP_2)
	v_xor_b32_e32 v190, s11, v122
	v_and_b32_e32 v191, v189, v191
	ds_load_b32 v189, v30 offset:32
	; wave barrier
	v_and_b32_e32 v191, v191, v190
	s_delay_alu instid0(VALU_DEP_1) | instskip(SKIP_1) | instid1(VALU_DEP_2)
	v_mbcnt_lo_u32_b32 v190, v191, 0
	v_cmp_ne_u32_e64 s11, 0, v191
	v_cmp_eq_u32_e32 vcc_lo, 0, v190
	s_delay_alu instid0(VALU_DEP_2) | instskip(NEXT) | instid1(SALU_CYCLE_1)
	s_and_b32 vcc_lo, s11, vcc_lo
	s_and_saveexec_b32 s11, vcc_lo
	s_cbranch_execz .LBB71_66
; %bb.65:                               ;   in Loop: Header=BB71_2 Depth=1
	s_waitcnt lgkmcnt(0)
	v_bcnt_u32_b32 v191, v191, v189
	ds_store_b32 v30, v191 offset:32
.LBB71_66:                              ;   in Loop: Header=BB71_2 Depth=1
	s_or_b32 exec_lo, exec_lo, s11
	v_cndmask_b32_e64 v191, 0, 1, s42
	v_cndmask_b32_e64 v192, 0, 1, s99
	v_cndmask_b32_e64 v193, 0, 1, s101
	; wave barrier
	s_delay_alu instid0(VALU_DEP_3) | instskip(SKIP_1) | instid1(VALU_DEP_4)
	v_cmp_ne_u32_e32 vcc_lo, 0, v191
	v_cndmask_b32_e64 v191, 0, 1, s100
	v_cmp_ne_u32_e64 s11, 0, v192
	v_xor_b32_e32 v192, vcc_lo, v163
	s_delay_alu instid0(VALU_DEP_3) | instskip(NEXT) | instid1(VALU_DEP_3)
	v_cmp_ne_u32_e32 vcc_lo, 0, v191
	v_xor_b32_e32 v191, s11, v123
	v_cmp_ne_u32_e64 s11, 0, v193
	s_delay_alu instid0(VALU_DEP_4) | instskip(SKIP_1) | instid1(VALU_DEP_2)
	v_and_b32_e32 v192, exec_lo, v192
	v_xor_b32_e32 v193, vcc_lo, v124
	v_and_b32_e32 v191, v192, v191
	s_delay_alu instid0(VALU_DEP_4) | instskip(NEXT) | instid1(VALU_DEP_2)
	v_xor_b32_e32 v192, s11, v125
	v_and_b32_e32 v193, v191, v193
	ds_load_b32 v191, v31 offset:32
	; wave barrier
	v_and_b32_e32 v193, v193, v192
	s_delay_alu instid0(VALU_DEP_1) | instskip(SKIP_1) | instid1(VALU_DEP_2)
	v_mbcnt_lo_u32_b32 v192, v193, 0
	v_cmp_ne_u32_e64 s11, 0, v193
	v_cmp_eq_u32_e32 vcc_lo, 0, v192
	s_delay_alu instid0(VALU_DEP_2) | instskip(NEXT) | instid1(SALU_CYCLE_1)
	s_and_b32 vcc_lo, s11, vcc_lo
	s_and_saveexec_b32 s11, vcc_lo
	s_cbranch_execz .LBB71_68
; %bb.67:                               ;   in Loop: Header=BB71_2 Depth=1
	s_waitcnt lgkmcnt(0)
	v_bcnt_u32_b32 v193, v193, v191
	ds_store_b32 v31, v193 offset:32
.LBB71_68:                              ;   in Loop: Header=BB71_2 Depth=1
	s_or_b32 exec_lo, exec_lo, s11
	v_cndmask_b32_e64 v193, 0, 1, s43
	v_cndmask_b32_e64 v194, 0, 1, s102
	v_cndmask_b32_e64 v195, 0, 1, s104
	; wave barrier
	s_delay_alu instid0(VALU_DEP_3) | instskip(SKIP_1) | instid1(VALU_DEP_4)
	v_cmp_ne_u32_e32 vcc_lo, 0, v193
	v_cndmask_b32_e64 v193, 0, 1, s103
	v_cmp_ne_u32_e64 s11, 0, v194
	v_xor_b32_e32 v194, vcc_lo, v164
	s_delay_alu instid0(VALU_DEP_3) | instskip(NEXT) | instid1(VALU_DEP_3)
	v_cmp_ne_u32_e32 vcc_lo, 0, v193
	v_xor_b32_e32 v193, s11, v126
	v_cmp_ne_u32_e64 s11, 0, v195
	s_delay_alu instid0(VALU_DEP_4) | instskip(SKIP_1) | instid1(VALU_DEP_2)
	v_and_b32_e32 v194, exec_lo, v194
	v_xor_b32_e32 v195, vcc_lo, v127
	v_and_b32_e32 v193, v194, v193
	s_delay_alu instid0(VALU_DEP_4) | instskip(NEXT) | instid1(VALU_DEP_2)
	v_xor_b32_e32 v194, s11, v128
	v_and_b32_e32 v195, v193, v195
	ds_load_b32 v193, v32 offset:32
	; wave barrier
	v_and_b32_e32 v195, v195, v194
	s_delay_alu instid0(VALU_DEP_1) | instskip(SKIP_1) | instid1(VALU_DEP_2)
	v_mbcnt_lo_u32_b32 v194, v195, 0
	v_cmp_ne_u32_e64 s11, 0, v195
	v_cmp_eq_u32_e32 vcc_lo, 0, v194
	s_delay_alu instid0(VALU_DEP_2) | instskip(NEXT) | instid1(SALU_CYCLE_1)
	s_and_b32 vcc_lo, s11, vcc_lo
	s_and_saveexec_b32 s11, vcc_lo
	s_cbranch_execz .LBB71_70
; %bb.69:                               ;   in Loop: Header=BB71_2 Depth=1
	s_waitcnt lgkmcnt(0)
	v_bcnt_u32_b32 v195, v195, v193
	ds_store_b32 v32, v195 offset:32
.LBB71_70:                              ;   in Loop: Header=BB71_2 Depth=1
	s_or_b32 exec_lo, exec_lo, s11
	v_cndmask_b32_e64 v195, 0, 1, s44
	v_cndmask_b32_e64 v196, 0, 1, vcc_hi
	v_cndmask_b32_e64 v197, 0, 1, s5
	; wave barrier
	s_delay_alu instid0(VALU_DEP_3) | instskip(SKIP_1) | instid1(VALU_DEP_4)
	v_cmp_ne_u32_e32 vcc_lo, 0, v195
	v_cndmask_b32_e64 v195, 0, 1, s4
	v_cmp_ne_u32_e64 s11, 0, v196
	v_xor_b32_e32 v196, vcc_lo, v165
	s_delay_alu instid0(VALU_DEP_3) | instskip(NEXT) | instid1(VALU_DEP_3)
	v_cmp_ne_u32_e32 vcc_lo, 0, v195
	v_xor_b32_e32 v195, s11, v129
	v_cmp_ne_u32_e64 s11, 0, v197
	s_delay_alu instid0(VALU_DEP_4) | instskip(SKIP_1) | instid1(VALU_DEP_2)
	v_and_b32_e32 v196, exec_lo, v196
	v_xor_b32_e32 v197, vcc_lo, v130
	v_and_b32_e32 v195, v196, v195
	s_delay_alu instid0(VALU_DEP_4) | instskip(NEXT) | instid1(VALU_DEP_2)
	v_xor_b32_e32 v196, s11, v131
	v_and_b32_e32 v197, v195, v197
	ds_load_b32 v195, v33 offset:32
	; wave barrier
	v_and_b32_e32 v197, v197, v196
	s_delay_alu instid0(VALU_DEP_1) | instskip(SKIP_1) | instid1(VALU_DEP_2)
	v_mbcnt_lo_u32_b32 v196, v197, 0
	v_cmp_ne_u32_e64 s11, 0, v197
	v_cmp_eq_u32_e32 vcc_lo, 0, v196
	s_delay_alu instid0(VALU_DEP_2) | instskip(NEXT) | instid1(SALU_CYCLE_1)
	s_and_b32 vcc_lo, s11, vcc_lo
	s_and_saveexec_b32 s11, vcc_lo
	s_cbranch_execz .LBB71_72
; %bb.71:                               ;   in Loop: Header=BB71_2 Depth=1
	s_waitcnt lgkmcnt(0)
	v_bcnt_u32_b32 v197, v197, v195
	ds_store_b32 v33, v197 offset:32
.LBB71_72:                              ;   in Loop: Header=BB71_2 Depth=1
	s_or_b32 exec_lo, exec_lo, s11
	; wave barrier
	s_waitcnt lgkmcnt(0)
	s_barrier
	buffer_gl0_inv
	ds_load_b32 v197, v0 offset:32
	s_waitcnt lgkmcnt(0)
	v_mov_b32_dpp v198, v197 row_shr:1 row_mask:0xf bank_mask:0xf
	s_delay_alu instid0(VALU_DEP_1) | instskip(NEXT) | instid1(VALU_DEP_1)
	v_cndmask_b32_e64 v198, v198, 0, s6
	v_add_nc_u32_e32 v197, v198, v197
	s_delay_alu instid0(VALU_DEP_1) | instskip(NEXT) | instid1(VALU_DEP_1)
	v_mov_b32_dpp v198, v197 row_shr:2 row_mask:0xf bank_mask:0xf
	v_cndmask_b32_e64 v198, 0, v198, s0
	s_delay_alu instid0(VALU_DEP_1) | instskip(NEXT) | instid1(VALU_DEP_1)
	v_add_nc_u32_e32 v197, v197, v198
	v_mov_b32_dpp v198, v197 row_shr:4 row_mask:0xf bank_mask:0xf
	s_delay_alu instid0(VALU_DEP_1) | instskip(NEXT) | instid1(VALU_DEP_1)
	v_cndmask_b32_e64 v198, 0, v198, s1
	v_add_nc_u32_e32 v197, v197, v198
	s_delay_alu instid0(VALU_DEP_1) | instskip(NEXT) | instid1(VALU_DEP_1)
	v_mov_b32_dpp v198, v197 row_shr:8 row_mask:0xf bank_mask:0xf
	v_cndmask_b32_e64 v198, 0, v198, s2
	s_delay_alu instid0(VALU_DEP_1) | instskip(SKIP_3) | instid1(VALU_DEP_1)
	v_add_nc_u32_e32 v197, v197, v198
	ds_swizzle_b32 v198, v197 offset:swizzle(BROADCAST,32,15)
	s_waitcnt lgkmcnt(0)
	v_cndmask_b32_e64 v198, v198, 0, s3
	v_add_nc_u32_e32 v197, v197, v198
	s_and_saveexec_b32 s11, s7
	s_cbranch_execz .LBB71_74
; %bb.73:                               ;   in Loop: Header=BB71_2 Depth=1
	ds_store_b32 v34, v197
.LBB71_74:                              ;   in Loop: Header=BB71_2 Depth=1
	s_or_b32 exec_lo, exec_lo, s11
	s_waitcnt lgkmcnt(0)
	s_barrier
	buffer_gl0_inv
	s_and_saveexec_b32 s11, s8
	s_cbranch_execz .LBB71_76
; %bb.75:                               ;   in Loop: Header=BB71_2 Depth=1
	ds_load_b32 v198, v0
	v_readlane_b32 vcc_lo, v201, 4
	s_waitcnt lgkmcnt(0)
	v_mov_b32_dpp v199, v198 row_shr:1 row_mask:0xf bank_mask:0xf
	s_delay_alu instid0(VALU_DEP_1) | instskip(SKIP_1) | instid1(VALU_DEP_2)
	v_cndmask_b32_e64 v199, v199, 0, vcc_lo
	v_readlane_b32 vcc_lo, v201, 5
	v_add_nc_u32_e32 v198, v199, v198
	s_delay_alu instid0(VALU_DEP_1) | instskip(NEXT) | instid1(VALU_DEP_1)
	v_mov_b32_dpp v199, v198 row_shr:2 row_mask:0xf bank_mask:0xf
	v_cndmask_b32_e32 v199, 0, v199, vcc_lo
	v_readlane_b32 vcc_lo, v201, 6
	s_delay_alu instid0(VALU_DEP_2) | instskip(NEXT) | instid1(VALU_DEP_1)
	v_add_nc_u32_e32 v198, v198, v199
	v_mov_b32_dpp v199, v198 row_shr:4 row_mask:0xf bank_mask:0xf
	s_delay_alu instid0(VALU_DEP_1) | instskip(NEXT) | instid1(VALU_DEP_1)
	v_cndmask_b32_e32 v199, 0, v199, vcc_lo
	v_add_nc_u32_e32 v198, v198, v199
	ds_store_b32 v0, v198
.LBB71_76:                              ;   in Loop: Header=BB71_2 Depth=1
	s_or_b32 exec_lo, exec_lo, s11
	v_mov_b32_e32 v198, 0
	s_waitcnt lgkmcnt(0)
	s_barrier
	buffer_gl0_inv
	s_and_saveexec_b32 s11, s9
	s_cbranch_execz .LBB71_1
; %bb.77:                               ;   in Loop: Header=BB71_2 Depth=1
	ds_load_b32 v198, v133
	s_branch .LBB71_1
.LBB71_78:
	ds_load_b32 v0, v33 offset:32
	ds_load_b32 v7, v32 offset:32
	;; [unrolled: 1-line block ×16, first 2 shown]
	v_readlane_b32 s0, v201, 9
	v_readlane_b32 s4, v201, 0
	;; [unrolled: 1-line block ×5, first 2 shown]
	s_waitcnt lgkmcnt(15)
	v_add3_u32 v6, v196, v195, v0
	s_waitcnt lgkmcnt(14)
	v_add3_u32 v5, v194, v193, v7
	;; [unrolled: 2-line block ×3, first 2 shown]
	s_lshl_b64 s[0:1], s[0:1], 2
	s_waitcnt lgkmcnt(10)
	v_add3_u32 v9, v186, v185, v13
	s_waitcnt lgkmcnt(9)
	v_add3_u32 v8, v184, v183, v14
	;; [unrolled: 2-line block ×9, first 2 shown]
	s_waitcnt lgkmcnt(1)
	v_add_nc_u32_e32 v15, v1, v166
	v_lshlrev_b32_e32 v0, 2, v2
	s_mov_b64 s[2:3], s[6:7]
	v_add3_u32 v3, v190, v189, v10
	v_add3_u32 v10, v188, v187, v11
	s_waitcnt lgkmcnt(0)
	v_add3_u32 v11, v174, v173, v21
	s_add_u32 s0, s2, s0
	s_addc_u32 s1, s3, s1
	v_readlane_b32 s5, v201, 1
	s_clause 0x3
	global_store_b128 v0, v[15:18], s[0:1]
	global_store_b128 v0, v[11:14], s[0:1] offset:16
	global_store_b128 v0, v[7:10], s[0:1] offset:32
	;; [unrolled: 1-line block ×3, first 2 shown]
	s_nop 0
	s_sendmsg sendmsg(MSG_DEALLOC_VGPRS)
	s_endpgm
	.section	.rodata,"a",@progbits
	.p2align	6, 0x0
	.amdhsa_kernel _Z11rank_kernelIhLj4ELb0EL18RadixRankAlgorithm2ELj256ELj16ELj10EEvPKT_Pi
		.amdhsa_group_segment_fixed_size 1056
		.amdhsa_private_segment_fixed_size 0
		.amdhsa_kernarg_size 272
		.amdhsa_user_sgpr_count 15
		.amdhsa_user_sgpr_dispatch_ptr 0
		.amdhsa_user_sgpr_queue_ptr 0
		.amdhsa_user_sgpr_kernarg_segment_ptr 1
		.amdhsa_user_sgpr_dispatch_id 0
		.amdhsa_user_sgpr_private_segment_size 0
		.amdhsa_wavefront_size32 1
		.amdhsa_uses_dynamic_stack 0
		.amdhsa_enable_private_segment 0
		.amdhsa_system_sgpr_workgroup_id_x 1
		.amdhsa_system_sgpr_workgroup_id_y 0
		.amdhsa_system_sgpr_workgroup_id_z 0
		.amdhsa_system_sgpr_workgroup_info 0
		.amdhsa_system_vgpr_workitem_id 2
		.amdhsa_next_free_vgpr 202
		.amdhsa_next_free_sgpr 105
		.amdhsa_reserve_vcc 1
		.amdhsa_float_round_mode_32 0
		.amdhsa_float_round_mode_16_64 0
		.amdhsa_float_denorm_mode_32 3
		.amdhsa_float_denorm_mode_16_64 3
		.amdhsa_dx10_clamp 1
		.amdhsa_ieee_mode 1
		.amdhsa_fp16_overflow 0
		.amdhsa_workgroup_processor_mode 1
		.amdhsa_memory_ordered 1
		.amdhsa_forward_progress 0
		.amdhsa_shared_vgpr_count 0
		.amdhsa_exception_fp_ieee_invalid_op 0
		.amdhsa_exception_fp_denorm_src 0
		.amdhsa_exception_fp_ieee_div_zero 0
		.amdhsa_exception_fp_ieee_overflow 0
		.amdhsa_exception_fp_ieee_underflow 0
		.amdhsa_exception_fp_ieee_inexact 0
		.amdhsa_exception_int_div_zero 0
	.end_amdhsa_kernel
	.section	.text._Z11rank_kernelIhLj4ELb0EL18RadixRankAlgorithm2ELj256ELj16ELj10EEvPKT_Pi,"axG",@progbits,_Z11rank_kernelIhLj4ELb0EL18RadixRankAlgorithm2ELj256ELj16ELj10EEvPKT_Pi,comdat
.Lfunc_end71:
	.size	_Z11rank_kernelIhLj4ELb0EL18RadixRankAlgorithm2ELj256ELj16ELj10EEvPKT_Pi, .Lfunc_end71-_Z11rank_kernelIhLj4ELb0EL18RadixRankAlgorithm2ELj256ELj16ELj10EEvPKT_Pi
                                        ; -- End function
	.section	.AMDGPU.csdata,"",@progbits
; Kernel info:
; codeLenInByte = 11052
; NumSgprs: 107
; NumVgprs: 202
; ScratchSize: 0
; MemoryBound: 0
; FloatMode: 240
; IeeeMode: 1
; LDSByteSize: 1056 bytes/workgroup (compile time only)
; SGPRBlocks: 13
; VGPRBlocks: 25
; NumSGPRsForWavesPerEU: 107
; NumVGPRsForWavesPerEU: 202
; Occupancy: 7
; WaveLimiterHint : 0
; COMPUTE_PGM_RSRC2:SCRATCH_EN: 0
; COMPUTE_PGM_RSRC2:USER_SGPR: 15
; COMPUTE_PGM_RSRC2:TRAP_HANDLER: 0
; COMPUTE_PGM_RSRC2:TGID_X_EN: 1
; COMPUTE_PGM_RSRC2:TGID_Y_EN: 0
; COMPUTE_PGM_RSRC2:TGID_Z_EN: 0
; COMPUTE_PGM_RSRC2:TIDIG_COMP_CNT: 2
	.section	.text._Z11rank_kernelIhLj4ELb0EL18RadixRankAlgorithm0ELj256ELj32ELj10EEvPKT_Pi,"axG",@progbits,_Z11rank_kernelIhLj4ELb0EL18RadixRankAlgorithm0ELj256ELj32ELj10EEvPKT_Pi,comdat
	.protected	_Z11rank_kernelIhLj4ELb0EL18RadixRankAlgorithm0ELj256ELj32ELj10EEvPKT_Pi ; -- Begin function _Z11rank_kernelIhLj4ELb0EL18RadixRankAlgorithm0ELj256ELj32ELj10EEvPKT_Pi
	.globl	_Z11rank_kernelIhLj4ELb0EL18RadixRankAlgorithm0ELj256ELj32ELj10EEvPKT_Pi
	.p2align	8
	.type	_Z11rank_kernelIhLj4ELb0EL18RadixRankAlgorithm0ELj256ELj32ELj10EEvPKT_Pi,@function
_Z11rank_kernelIhLj4ELb0EL18RadixRankAlgorithm0ELj256ELj32ELj10EEvPKT_Pi: ; @_Z11rank_kernelIhLj4ELb0EL18RadixRankAlgorithm0ELj256ELj32ELj10EEvPKT_Pi
; %bb.0:
	s_load_b128 s[16:19], s[0:1], 0x0
	s_lshl_b32 s12, s15, 13
	v_dual_mov_b32 v2, 0 :: v_dual_lshlrev_b32 v1, 5, v0
	v_mbcnt_lo_u32_b32 v4, -1, 0
	v_or_b32_e32 v7, 31, v0
	v_lshrrev_b32_e32 v9, 3, v0
	v_lshlrev_b32_e32 v3, 2, v0
	v_or_b32_e32 v41, 0xffffff00, v0
	v_add_nc_u32_e32 v8, -1, v4
	v_and_b32_e32 v5, 15, v4
	v_and_b32_e32 v6, 16, v4
	;; [unrolled: 1-line block ×3, first 2 shown]
	v_cmp_eq_u32_e64 s2, 0, v4
	v_cmp_gt_i32_e32 vcc_lo, 0, v8
	v_cmp_eq_u32_e64 s3, 0, v5
	v_cmp_lt_u32_e64 s4, 1, v5
	v_cmp_lt_u32_e64 s5, 3, v5
	v_cmp_lt_u32_e64 s6, 7, v5
	v_dual_cndmask_b32 v5, v8, v4 :: v_dual_and_b32 v4, 28, v9
	s_waitcnt lgkmcnt(0)
	s_add_u32 s0, s16, s12
	s_addc_u32 s1, s17, 0
	s_clause 0x1
	global_load_b128 v[23:26], v1, s[0:1]
	global_load_b128 v[36:39], v1, s[0:1] offset:16
	v_cmp_gt_u32_e64 s0, 8, v0
	v_cmp_lt_u32_e64 s1, 31, v0
	v_cmp_eq_u32_e64 s7, 0, v6
	v_cmp_eq_u32_e64 s8, v7, v0
	;; [unrolled: 1-line block ×3, first 2 shown]
	v_cmp_lt_u32_e64 s10, 1, v10
	v_cmp_lt_u32_e64 s11, 3, v10
	v_lshlrev_b32_e32 v5, 2, v5
	s_mov_b32 s13, 0
	s_delay_alu instid0(SALU_CYCLE_1)
	s_mov_b32 s14, s13
	s_waitcnt vmcnt(1)
	v_lshrrev_b32_e32 v6, 24, v23
	v_lshrrev_b32_e32 v7, 24, v24
	;; [unrolled: 1-line block ×4, first 2 shown]
	s_waitcnt vmcnt(0)
	v_lshrrev_b32_e32 v10, 24, v36
	v_lshrrev_b32_e32 v11, 24, v37
	;; [unrolled: 1-line block ×4, first 2 shown]
	v_and_b32_e32 v14, 0xff, v23
	v_bfe_u32 v15, v23, 8, 8
	v_bfe_u32 v17, v23, 16, 8
	v_and_b32_e32 v18, 0xff, v24
	v_bfe_u32 v19, v24, 8, 8
	v_bfe_u32 v20, v24, 16, 8
	;; [unrolled: 3-line block ×8, first 2 shown]
	s_branch .LBB72_2
.LBB72_1:                               ;   in Loop: Header=BB72_2 Depth=1
	s_add_i32 s14, s14, 1
	s_delay_alu instid0(SALU_CYCLE_1)
	s_cmp_eq_u32 s14, 10
	s_cbranch_scc1 .LBB72_12
.LBB72_2:                               ; =>This Loop Header: Depth=1
                                        ;     Child Loop BB72_4 Depth 2
                                        ;       Child Loop BB72_5 Depth 3
	s_mov_b32 s17, -1
	s_mov_b32 s16, 28
	s_branch .LBB72_4
.LBB72_3:                               ;   in Loop: Header=BB72_4 Depth=2
	s_or_b32 exec_lo, exec_lo, s16
	s_waitcnt lgkmcnt(0)
	v_add_nc_u32_e32 v103, v104, v103
	ds_load_b32 v109, v2 offset:8220
	ds_load_2addr_b32 v[105:106], v1 offset1:1
	s_mov_b32 s16, 24
	s_mov_b32 s17, 0
	s_and_not1_b32 vcc_lo, exec_lo, s15
	ds_bpermute_b32 v103, v5, v103
	s_waitcnt lgkmcnt(0)
	v_cndmask_b32_e64 v110, v103, v104, s2
	ds_load_2addr_b32 v[103:104], v1 offset0:2 offset1:3
	ds_load_2addr_b32 v[107:108], v1 offset0:4 offset1:5
	v_lshl_add_u32 v109, v109, 16, v110
	ds_load_b32 v110, v1 offset:24
	v_add_nc_u32_e32 v105, v109, v105
	s_delay_alu instid0(VALU_DEP_1) | instskip(SKIP_1) | instid1(VALU_DEP_1)
	v_add_nc_u32_e32 v106, v106, v105
	s_waitcnt lgkmcnt(2)
	v_add_nc_u32_e32 v103, v103, v106
	s_delay_alu instid0(VALU_DEP_1) | instskip(SKIP_1) | instid1(VALU_DEP_1)
	v_add_nc_u32_e32 v104, v104, v103
	s_waitcnt lgkmcnt(1)
	;; [unrolled: 4-line block ×3, first 2 shown]
	v_add_nc_u32_e32 v110, v110, v108
	ds_store_2addr_b32 v1, v109, v105 offset1:1
	ds_store_2addr_b32 v1, v106, v103 offset0:2 offset1:3
	ds_store_2addr_b32 v1, v104, v107 offset0:4 offset1:5
	;; [unrolled: 1-line block ×3, first 2 shown]
	s_waitcnt lgkmcnt(0)
	s_barrier
	buffer_gl0_inv
	s_cbranch_vccz .LBB72_1
.LBB72_4:                               ;   Parent Loop BB72_2 Depth=1
                                        ; =>  This Loop Header: Depth=2
                                        ;       Child Loop BB72_5 Depth 3
	v_dual_mov_b32 v16, v41 :: v_dual_mov_b32 v27, v3
	s_xor_b32 s15, s17, -1
	s_mov_b32 s17, 0
.LBB72_5:                               ;   Parent Loop BB72_2 Depth=1
                                        ;     Parent Loop BB72_4 Depth=2
                                        ; =>    This Inner Loop Header: Depth=3
	s_delay_alu instid0(VALU_DEP_1) | instskip(SKIP_4) | instid1(SALU_CYCLE_1)
	v_add_nc_u32_e32 v16, 0x100, v16
	ds_store_b32 v27, v2
	v_add_nc_u32_e32 v27, 0x400, v27
	v_cmp_lt_u32_e32 vcc_lo, 0x6ff, v16
	s_or_b32 s17, vcc_lo, s17
	s_and_not1_b32 exec_lo, exec_lo, s17
	s_cbranch_execnz .LBB72_5
; %bb.6:                                ;   in Loop: Header=BB72_4 Depth=2
	s_or_b32 exec_lo, exec_lo, s17
	v_lshlrev_b32_e32 v16, s16, v14
	v_lshlrev_b32_e32 v69, s16, v9
	s_delay_alu instid0(VALU_DEP_2) | instskip(NEXT) | instid1(VALU_DEP_2)
	v_lshrrev_b32_e32 v27, 20, v16
	v_lshrrev_b32_e32 v70, 20, v69
	s_delay_alu instid0(VALU_DEP_2) | instskip(NEXT) | instid1(VALU_DEP_2)
	v_and_or_b32 v27, 0x700, v27, v0
	v_and_or_b32 v70, 0x700, v70, v0
	s_delay_alu instid0(VALU_DEP_2) | instskip(SKIP_1) | instid1(VALU_DEP_3)
	v_alignbit_b32 v16, v27, v16, 31
	v_lshlrev_b32_e32 v27, s16, v15
	v_alignbit_b32 v69, v70, v69, 31
	s_delay_alu instid0(VALU_DEP_3) | instskip(NEXT) | instid1(VALU_DEP_3)
	v_lshlrev_b32_e32 v16, 1, v16
	v_lshrrev_b32_e32 v39, 20, v27
	s_delay_alu instid0(VALU_DEP_3) | instskip(SKIP_2) | instid1(VALU_DEP_1)
	v_lshlrev_b32_e32 v69, 1, v69
	ds_load_u16 v45, v16
	v_and_or_b32 v39, 0x700, v39, v0
	v_alignbit_b32 v27, v39, v27, 31
	s_delay_alu instid0(VALU_DEP_1)
	v_lshlrev_b32_e32 v27, 1, v27
	s_waitcnt lgkmcnt(0)
	v_add_nc_u16 v39, v45, 1
	ds_store_b16 v16, v39
	ds_load_u16 v48, v27
	v_lshlrev_b32_e32 v39, s16, v17
	s_delay_alu instid0(VALU_DEP_1) | instskip(NEXT) | instid1(VALU_DEP_1)
	v_lshrrev_b32_e32 v42, 20, v39
	v_and_or_b32 v42, 0x700, v42, v0
	s_delay_alu instid0(VALU_DEP_1) | instskip(SKIP_2) | instid1(VALU_DEP_2)
	v_alignbit_b32 v39, v42, v39, 31
	s_waitcnt lgkmcnt(0)
	v_add_nc_u16 v42, v48, 1
	v_lshlrev_b32_e32 v39, 1, v39
	ds_store_b16 v27, v42
	ds_load_u16 v50, v39
	v_lshlrev_b32_e32 v42, s16, v6
	s_delay_alu instid0(VALU_DEP_1) | instskip(NEXT) | instid1(VALU_DEP_1)
	v_lshrrev_b32_e32 v43, 20, v42
	v_and_or_b32 v43, 0x700, v43, v0
	s_delay_alu instid0(VALU_DEP_1) | instskip(SKIP_2) | instid1(VALU_DEP_2)
	v_alignbit_b32 v42, v43, v42, 31
	s_waitcnt lgkmcnt(0)
	v_add_nc_u16 v43, v50, 1
	v_lshlrev_b32_e32 v42, 1, v42
	;; [unrolled: 11-line block ×6, first 2 shown]
	v_lshlrev_b32_e32 v47, s16, v21
	ds_store_b16 v46, v51
	ds_load_u16 v60, v49
	v_lshrrev_b32_e32 v51, 20, v47
	s_delay_alu instid0(VALU_DEP_1) | instskip(NEXT) | instid1(VALU_DEP_1)
	v_and_or_b32 v51, 0x700, v51, v0
	v_alignbit_b32 v47, v51, v47, 31
	s_delay_alu instid0(VALU_DEP_1)
	v_lshlrev_b32_e32 v47, 1, v47
	s_waitcnt lgkmcnt(0)
	v_add_nc_u16 v51, v60, 1
	ds_store_b16 v49, v51
	ds_load_u16 v61, v47
	v_lshlrev_b32_e32 v51, s16, v22
	s_delay_alu instid0(VALU_DEP_1) | instskip(NEXT) | instid1(VALU_DEP_1)
	v_lshrrev_b32_e32 v53, 20, v51
	v_and_or_b32 v53, 0x700, v53, v0
	s_delay_alu instid0(VALU_DEP_1) | instskip(SKIP_2) | instid1(VALU_DEP_2)
	v_alignbit_b32 v51, v53, v51, 31
	s_waitcnt lgkmcnt(0)
	v_add_nc_u16 v53, v61, 1
	v_lshlrev_b32_e32 v51, 1, v51
	ds_store_b16 v47, v53
	ds_load_u16 v63, v51
	v_lshlrev_b32_e32 v53, s16, v23
	s_delay_alu instid0(VALU_DEP_1) | instskip(NEXT) | instid1(VALU_DEP_1)
	v_lshrrev_b32_e32 v55, 20, v53
	v_and_or_b32 v55, 0x700, v55, v0
	s_delay_alu instid0(VALU_DEP_1) | instskip(SKIP_2) | instid1(VALU_DEP_2)
	v_alignbit_b32 v53, v55, v53, 31
	s_waitcnt lgkmcnt(0)
	v_add_nc_u16 v55, v63, 1
	v_lshlrev_b32_e32 v53, 1, v53
	;; [unrolled: 11-line block ×6, first 2 shown]
	ds_store_b16 v59, v68
	ds_load_u16 v68, v62
	s_waitcnt lgkmcnt(0)
	v_add_nc_u16 v70, v68, 1
	ds_store_b16 v62, v70
	ds_load_u16 v71, v69
	v_lshlrev_b32_e32 v70, s16, v28
	s_delay_alu instid0(VALU_DEP_1) | instskip(NEXT) | instid1(VALU_DEP_1)
	v_lshrrev_b32_e32 v72, 20, v70
	v_and_or_b32 v72, 0x700, v72, v0
	s_delay_alu instid0(VALU_DEP_1) | instskip(SKIP_2) | instid1(VALU_DEP_2)
	v_alignbit_b32 v70, v72, v70, 31
	s_waitcnt lgkmcnt(0)
	v_add_nc_u16 v72, v71, 1
	v_lshlrev_b32_e32 v70, 1, v70
	ds_store_b16 v69, v72
	ds_load_u16 v74, v70
	v_lshlrev_b32_e32 v72, s16, v29
	s_delay_alu instid0(VALU_DEP_1) | instskip(NEXT) | instid1(VALU_DEP_1)
	v_lshrrev_b32_e32 v73, 20, v72
	v_and_or_b32 v73, 0x700, v73, v0
	s_delay_alu instid0(VALU_DEP_1) | instskip(SKIP_2) | instid1(VALU_DEP_2)
	v_alignbit_b32 v72, v73, v72, 31
	s_waitcnt lgkmcnt(0)
	v_add_nc_u16 v73, v74, 1
	v_lshlrev_b32_e32 v72, 1, v72
	;; [unrolled: 11-line block ×8, first 2 shown]
	v_lshlrev_b32_e32 v80, s16, v34
	ds_store_b16 v79, v82
	ds_load_u16 v92, v81
	v_lshrrev_b32_e32 v82, 20, v80
	s_delay_alu instid0(VALU_DEP_1) | instskip(NEXT) | instid1(VALU_DEP_1)
	v_and_or_b32 v82, 0x700, v82, v0
	v_alignbit_b32 v80, v82, v80, 31
	s_delay_alu instid0(VALU_DEP_1)
	v_lshlrev_b32_e32 v80, 1, v80
	s_waitcnt lgkmcnt(0)
	v_add_nc_u16 v82, v92, 1
	ds_store_b16 v81, v82
	ds_load_u16 v94, v80
	v_lshlrev_b32_e32 v82, s16, v35
	s_delay_alu instid0(VALU_DEP_1) | instskip(NEXT) | instid1(VALU_DEP_1)
	v_lshrrev_b32_e32 v84, 20, v82
	v_and_or_b32 v84, 0x700, v84, v0
	s_delay_alu instid0(VALU_DEP_1) | instskip(SKIP_2) | instid1(VALU_DEP_2)
	v_alignbit_b32 v82, v84, v82, 31
	s_waitcnt lgkmcnt(0)
	v_add_nc_u16 v84, v94, 1
	v_lshlrev_b32_e32 v82, 1, v82
	ds_store_b16 v80, v84
	ds_load_u16 v96, v82
	v_lshlrev_b32_e32 v84, s16, v36
	s_delay_alu instid0(VALU_DEP_1) | instskip(NEXT) | instid1(VALU_DEP_1)
	v_lshrrev_b32_e32 v86, 20, v84
	v_and_or_b32 v86, 0x700, v86, v0
	s_delay_alu instid0(VALU_DEP_1) | instskip(SKIP_2) | instid1(VALU_DEP_2)
	v_alignbit_b32 v84, v86, v84, 31
	s_waitcnt lgkmcnt(0)
	v_add_nc_u16 v86, v96, 1
	v_lshlrev_b32_e32 v84, 1, v84
	;; [unrolled: 11-line block ×7, first 2 shown]
	ds_store_b16 v93, v102
	ds_load_u16 v102, v95
	s_waitcnt lgkmcnt(0)
	v_add_nc_u16 v103, v102, 1
	ds_store_b16 v95, v103
	s_waitcnt lgkmcnt(0)
	s_barrier
	buffer_gl0_inv
	ds_load_2addr_b32 v[103:104], v1 offset1:1
	ds_load_2addr_b32 v[105:106], v1 offset0:2 offset1:3
	ds_load_2addr_b32 v[107:108], v1 offset0:4 offset1:5
	;; [unrolled: 1-line block ×3, first 2 shown]
	s_waitcnt lgkmcnt(3)
	v_add_nc_u32_e32 v103, v104, v103
	s_waitcnt lgkmcnt(2)
	s_delay_alu instid0(VALU_DEP_1) | instskip(SKIP_1) | instid1(VALU_DEP_1)
	v_add3_u32 v103, v103, v105, v106
	s_waitcnt lgkmcnt(1)
	v_add3_u32 v103, v103, v107, v108
	s_waitcnt lgkmcnt(0)
	s_delay_alu instid0(VALU_DEP_1) | instskip(NEXT) | instid1(VALU_DEP_1)
	v_add3_u32 v103, v103, v109, v110
	v_mov_b32_dpp v104, v103 row_shr:1 row_mask:0xf bank_mask:0xf
	s_delay_alu instid0(VALU_DEP_1) | instskip(NEXT) | instid1(VALU_DEP_1)
	v_cndmask_b32_e64 v104, v104, 0, s3
	v_add_nc_u32_e32 v103, v104, v103
	s_delay_alu instid0(VALU_DEP_1) | instskip(NEXT) | instid1(VALU_DEP_1)
	v_mov_b32_dpp v104, v103 row_shr:2 row_mask:0xf bank_mask:0xf
	v_cndmask_b32_e64 v104, 0, v104, s4
	s_delay_alu instid0(VALU_DEP_1) | instskip(NEXT) | instid1(VALU_DEP_1)
	v_add_nc_u32_e32 v103, v103, v104
	v_mov_b32_dpp v104, v103 row_shr:4 row_mask:0xf bank_mask:0xf
	s_delay_alu instid0(VALU_DEP_1) | instskip(NEXT) | instid1(VALU_DEP_1)
	v_cndmask_b32_e64 v104, 0, v104, s5
	v_add_nc_u32_e32 v103, v103, v104
	s_delay_alu instid0(VALU_DEP_1) | instskip(NEXT) | instid1(VALU_DEP_1)
	v_mov_b32_dpp v104, v103 row_shr:8 row_mask:0xf bank_mask:0xf
	v_cndmask_b32_e64 v104, 0, v104, s6
	s_delay_alu instid0(VALU_DEP_1) | instskip(SKIP_3) | instid1(VALU_DEP_1)
	v_add_nc_u32_e32 v103, v103, v104
	ds_swizzle_b32 v104, v103 offset:swizzle(BROADCAST,32,15)
	s_waitcnt lgkmcnt(0)
	v_cndmask_b32_e64 v104, v104, 0, s7
	v_add_nc_u32_e32 v103, v103, v104
	s_and_saveexec_b32 s16, s8
	s_cbranch_execz .LBB72_8
; %bb.7:                                ;   in Loop: Header=BB72_4 Depth=2
	ds_store_b32 v4, v103 offset:8192
.LBB72_8:                               ;   in Loop: Header=BB72_4 Depth=2
	s_or_b32 exec_lo, exec_lo, s16
	s_waitcnt lgkmcnt(0)
	s_barrier
	buffer_gl0_inv
	s_and_saveexec_b32 s16, s0
	s_cbranch_execz .LBB72_10
; %bb.9:                                ;   in Loop: Header=BB72_4 Depth=2
	ds_load_b32 v104, v3 offset:8192
	s_waitcnt lgkmcnt(0)
	v_mov_b32_dpp v105, v104 row_shr:1 row_mask:0xf bank_mask:0xf
	s_delay_alu instid0(VALU_DEP_1) | instskip(NEXT) | instid1(VALU_DEP_1)
	v_cndmask_b32_e64 v105, v105, 0, s9
	v_add_nc_u32_e32 v104, v105, v104
	s_delay_alu instid0(VALU_DEP_1) | instskip(NEXT) | instid1(VALU_DEP_1)
	v_mov_b32_dpp v105, v104 row_shr:2 row_mask:0xf bank_mask:0xf
	v_cndmask_b32_e64 v105, 0, v105, s10
	s_delay_alu instid0(VALU_DEP_1) | instskip(NEXT) | instid1(VALU_DEP_1)
	v_add_nc_u32_e32 v104, v104, v105
	v_mov_b32_dpp v105, v104 row_shr:4 row_mask:0xf bank_mask:0xf
	s_delay_alu instid0(VALU_DEP_1) | instskip(NEXT) | instid1(VALU_DEP_1)
	v_cndmask_b32_e64 v105, 0, v105, s11
	v_add_nc_u32_e32 v104, v104, v105
	ds_store_b32 v3, v104 offset:8192
.LBB72_10:                              ;   in Loop: Header=BB72_4 Depth=2
	s_or_b32 exec_lo, exec_lo, s16
	v_mov_b32_e32 v104, 0
	s_waitcnt lgkmcnt(0)
	s_barrier
	buffer_gl0_inv
	s_and_saveexec_b32 s16, s1
	s_cbranch_execz .LBB72_3
; %bb.11:                               ;   in Loop: Header=BB72_4 Depth=2
	ds_load_b32 v104, v4 offset:8188
	s_branch .LBB72_3
.LBB72_12:
	v_and_b32_e32 v0, 0xffff, v45
	v_and_b32_e32 v3, 0xffff, v48
	;; [unrolled: 1-line block ×11, first 2 shown]
	ds_load_u16 v36, v49
	ds_load_u16 v37, v46
	;; [unrolled: 1-line block ×32, first 2 shown]
	v_and_b32_e32 v13, 0xffff, v65
	v_and_b32_e32 v14, 0xffff, v66
	;; [unrolled: 1-line block ×21, first 2 shown]
	s_waitcnt lgkmcnt(24)
	v_add_nc_u32_e32 v2, v2, v0
	v_add_nc_u32_e32 v3, v27, v3
	;; [unrolled: 1-line block ×4, first 2 shown]
	s_lshl_b64 s[0:1], s[12:13], 2
	v_lshlrev_b32_e32 v0, 2, v1
	v_add_nc_u32_e32 v6, v40, v6
	v_add_nc_u32_e32 v7, v38, v7
	;; [unrolled: 1-line block ×4, first 2 shown]
	s_waitcnt lgkmcnt(16)
	v_add_nc_u32_e32 v10, v47, v10
	v_add_nc_u32_e32 v11, v48, v11
	;; [unrolled: 1-line block ×4, first 2 shown]
	s_add_u32 s0, s18, s0
	v_add_nc_u32_e32 v14, v44, v14
	v_add_nc_u32_e32 v15, v43, v15
	;; [unrolled: 1-line block ×4, first 2 shown]
	s_addc_u32 s1, s19, s1
	s_waitcnt lgkmcnt(8)
	v_add_nc_u32_e32 v18, v56, v19
	v_add_nc_u32_e32 v19, v55, v20
	;; [unrolled: 1-line block ×8, first 2 shown]
	s_waitcnt lgkmcnt(0)
	v_add_nc_u32_e32 v26, v64, v28
	v_add_nc_u32_e32 v27, v63, v29
	;; [unrolled: 1-line block ×8, first 2 shown]
	s_clause 0x7
	global_store_b128 v0, v[2:5], s[0:1]
	global_store_b128 v0, v[6:9], s[0:1] offset:16
	global_store_b128 v0, v[10:13], s[0:1] offset:32
	;; [unrolled: 1-line block ×7, first 2 shown]
	s_nop 0
	s_sendmsg sendmsg(MSG_DEALLOC_VGPRS)
	s_endpgm
	.section	.rodata,"a",@progbits
	.p2align	6, 0x0
	.amdhsa_kernel _Z11rank_kernelIhLj4ELb0EL18RadixRankAlgorithm0ELj256ELj32ELj10EEvPKT_Pi
		.amdhsa_group_segment_fixed_size 8224
		.amdhsa_private_segment_fixed_size 0
		.amdhsa_kernarg_size 16
		.amdhsa_user_sgpr_count 15
		.amdhsa_user_sgpr_dispatch_ptr 0
		.amdhsa_user_sgpr_queue_ptr 0
		.amdhsa_user_sgpr_kernarg_segment_ptr 1
		.amdhsa_user_sgpr_dispatch_id 0
		.amdhsa_user_sgpr_private_segment_size 0
		.amdhsa_wavefront_size32 1
		.amdhsa_uses_dynamic_stack 0
		.amdhsa_enable_private_segment 0
		.amdhsa_system_sgpr_workgroup_id_x 1
		.amdhsa_system_sgpr_workgroup_id_y 0
		.amdhsa_system_sgpr_workgroup_id_z 0
		.amdhsa_system_sgpr_workgroup_info 0
		.amdhsa_system_vgpr_workitem_id 0
		.amdhsa_next_free_vgpr 111
		.amdhsa_next_free_sgpr 20
		.amdhsa_reserve_vcc 1
		.amdhsa_float_round_mode_32 0
		.amdhsa_float_round_mode_16_64 0
		.amdhsa_float_denorm_mode_32 3
		.amdhsa_float_denorm_mode_16_64 3
		.amdhsa_dx10_clamp 1
		.amdhsa_ieee_mode 1
		.amdhsa_fp16_overflow 0
		.amdhsa_workgroup_processor_mode 1
		.amdhsa_memory_ordered 1
		.amdhsa_forward_progress 0
		.amdhsa_shared_vgpr_count 0
		.amdhsa_exception_fp_ieee_invalid_op 0
		.amdhsa_exception_fp_denorm_src 0
		.amdhsa_exception_fp_ieee_div_zero 0
		.amdhsa_exception_fp_ieee_overflow 0
		.amdhsa_exception_fp_ieee_underflow 0
		.amdhsa_exception_fp_ieee_inexact 0
		.amdhsa_exception_int_div_zero 0
	.end_amdhsa_kernel
	.section	.text._Z11rank_kernelIhLj4ELb0EL18RadixRankAlgorithm0ELj256ELj32ELj10EEvPKT_Pi,"axG",@progbits,_Z11rank_kernelIhLj4ELb0EL18RadixRankAlgorithm0ELj256ELj32ELj10EEvPKT_Pi,comdat
.Lfunc_end72:
	.size	_Z11rank_kernelIhLj4ELb0EL18RadixRankAlgorithm0ELj256ELj32ELj10EEvPKT_Pi, .Lfunc_end72-_Z11rank_kernelIhLj4ELb0EL18RadixRankAlgorithm0ELj256ELj32ELj10EEvPKT_Pi
                                        ; -- End function
	.section	.AMDGPU.csdata,"",@progbits
; Kernel info:
; codeLenInByte = 4088
; NumSgprs: 22
; NumVgprs: 111
; ScratchSize: 0
; MemoryBound: 0
; FloatMode: 240
; IeeeMode: 1
; LDSByteSize: 8224 bytes/workgroup (compile time only)
; SGPRBlocks: 2
; VGPRBlocks: 13
; NumSGPRsForWavesPerEU: 22
; NumVGPRsForWavesPerEU: 111
; Occupancy: 12
; WaveLimiterHint : 0
; COMPUTE_PGM_RSRC2:SCRATCH_EN: 0
; COMPUTE_PGM_RSRC2:USER_SGPR: 15
; COMPUTE_PGM_RSRC2:TRAP_HANDLER: 0
; COMPUTE_PGM_RSRC2:TGID_X_EN: 1
; COMPUTE_PGM_RSRC2:TGID_Y_EN: 0
; COMPUTE_PGM_RSRC2:TGID_Z_EN: 0
; COMPUTE_PGM_RSRC2:TIDIG_COMP_CNT: 0
	.section	.text._Z11rank_kernelIhLj4ELb0EL18RadixRankAlgorithm1ELj256ELj32ELj10EEvPKT_Pi,"axG",@progbits,_Z11rank_kernelIhLj4ELb0EL18RadixRankAlgorithm1ELj256ELj32ELj10EEvPKT_Pi,comdat
	.protected	_Z11rank_kernelIhLj4ELb0EL18RadixRankAlgorithm1ELj256ELj32ELj10EEvPKT_Pi ; -- Begin function _Z11rank_kernelIhLj4ELb0EL18RadixRankAlgorithm1ELj256ELj32ELj10EEvPKT_Pi
	.globl	_Z11rank_kernelIhLj4ELb0EL18RadixRankAlgorithm1ELj256ELj32ELj10EEvPKT_Pi
	.p2align	8
	.type	_Z11rank_kernelIhLj4ELb0EL18RadixRankAlgorithm1ELj256ELj32ELj10EEvPKT_Pi,@function
_Z11rank_kernelIhLj4ELb0EL18RadixRankAlgorithm1ELj256ELj32ELj10EEvPKT_Pi: ; @_Z11rank_kernelIhLj4ELb0EL18RadixRankAlgorithm1ELj256ELj32ELj10EEvPKT_Pi
; %bb.0:
	s_load_b128 s[16:19], s[0:1], 0x0
	s_lshl_b32 s12, s15, 13
	v_dual_mov_b32 v10, 0 :: v_dual_lshlrev_b32 v9, 5, v0
	v_mbcnt_lo_u32_b32 v12, -1, 0
	v_or_b32_e32 v15, 31, v0
	v_lshrrev_b32_e32 v17, 3, v0
	v_lshlrev_b32_e32 v11, 2, v0
	v_or_b32_e32 v49, 0xffffff00, v0
	v_add_nc_u32_e32 v16, -1, v12
	v_and_b32_e32 v13, 15, v12
	v_and_b32_e32 v14, 16, v12
	;; [unrolled: 1-line block ×3, first 2 shown]
	v_cmp_eq_u32_e64 s2, 0, v12
	v_cmp_gt_i32_e32 vcc_lo, 0, v16
	v_cmp_eq_u32_e64 s3, 0, v13
	v_cmp_lt_u32_e64 s4, 1, v13
	v_cmp_lt_u32_e64 s5, 3, v13
	;; [unrolled: 1-line block ×3, first 2 shown]
	v_dual_cndmask_b32 v13, v16, v12 :: v_dual_and_b32 v12, 28, v17
	s_waitcnt lgkmcnt(0)
	s_add_u32 s0, s16, s12
	s_addc_u32 s1, s17, 0
	s_clause 0x1
	global_load_b128 v[1:4], v9, s[0:1]
	global_load_b128 v[5:8], v9, s[0:1] offset:16
	v_cmp_gt_u32_e64 s0, 8, v0
	v_cmp_lt_u32_e64 s1, 31, v0
	v_cmp_eq_u32_e64 s7, 0, v14
	v_cmp_eq_u32_e64 s8, v15, v0
	;; [unrolled: 1-line block ×3, first 2 shown]
	v_cmp_lt_u32_e64 s10, 1, v18
	v_cmp_lt_u32_e64 s11, 3, v18
	v_lshlrev_b32_e32 v13, 2, v13
	s_mov_b32 s13, 0
	s_delay_alu instid0(SALU_CYCLE_1)
	s_mov_b32 s14, s13
	s_waitcnt vmcnt(1)
	v_lshrrev_b32_e32 v14, 24, v1
	v_lshrrev_b32_e32 v15, 24, v2
	;; [unrolled: 1-line block ×4, first 2 shown]
	s_waitcnt vmcnt(0)
	v_lshrrev_b32_e32 v18, 24, v5
	v_lshrrev_b32_e32 v19, 24, v6
	;; [unrolled: 1-line block ×4, first 2 shown]
	v_and_b32_e32 v22, 0xff, v1
	v_bfe_u32 v23, v1, 8, 8
	v_bfe_u32 v25, v1, 16, 8
	v_and_b32_e32 v26, 0xff, v2
	v_bfe_u32 v27, v2, 8, 8
	v_bfe_u32 v28, v2, 16, 8
	;; [unrolled: 3-line block ×8, first 2 shown]
	s_branch .LBB73_2
.LBB73_1:                               ;   in Loop: Header=BB73_2 Depth=1
	s_add_i32 s14, s14, 1
	s_delay_alu instid0(SALU_CYCLE_1)
	s_cmp_eq_u32 s14, 10
	s_cbranch_scc1 .LBB73_12
.LBB73_2:                               ; =>This Loop Header: Depth=1
                                        ;     Child Loop BB73_4 Depth 2
                                        ;       Child Loop BB73_5 Depth 3
	s_mov_b32 s17, -1
	s_mov_b32 s16, 28
	s_branch .LBB73_4
.LBB73_3:                               ;   in Loop: Header=BB73_4 Depth=2
	s_or_b32 exec_lo, exec_lo, s16
	s_waitcnt lgkmcnt(0)
	v_add_nc_u32_e32 v2, v111, v2
	ds_load_b32 v112, v10 offset:8220
	s_mov_b32 s16, 24
	s_mov_b32 s17, 0
	s_and_not1_b32 vcc_lo, exec_lo, s15
	ds_bpermute_b32 v2, v13, v2
	s_waitcnt lgkmcnt(0)
	v_cndmask_b32_e64 v2, v2, v111, s2
	s_delay_alu instid0(VALU_DEP_1) | instskip(NEXT) | instid1(VALU_DEP_1)
	v_lshl_add_u32 v2, v112, 16, v2
	v_add_nc_u32_e32 v5, v2, v5
	s_delay_alu instid0(VALU_DEP_1) | instskip(NEXT) | instid1(VALU_DEP_1)
	v_add_nc_u32_e32 v6, v5, v6
	v_add_nc_u32_e32 v7, v6, v7
	s_delay_alu instid0(VALU_DEP_1) | instskip(NEXT) | instid1(VALU_DEP_1)
	v_add_nc_u32_e32 v8, v7, v8
	;; [unrolled: 3-line block ×3, first 2 shown]
	v_add_nc_u32_e32 v1, v4, v1
	ds_store_2addr_b32 v9, v2, v5 offset1:1
	ds_store_2addr_b32 v9, v6, v7 offset0:2 offset1:3
	ds_store_2addr_b32 v9, v8, v3 offset0:4 offset1:5
	;; [unrolled: 1-line block ×3, first 2 shown]
	s_waitcnt lgkmcnt(0)
	s_barrier
	buffer_gl0_inv
	s_cbranch_vccz .LBB73_1
.LBB73_4:                               ;   Parent Loop BB73_2 Depth=1
                                        ; =>  This Loop Header: Depth=2
                                        ;       Child Loop BB73_5 Depth 3
	v_dual_mov_b32 v1, v49 :: v_dual_mov_b32 v2, v11
	s_xor_b32 s15, s17, -1
	s_mov_b32 s17, 0
.LBB73_5:                               ;   Parent Loop BB73_2 Depth=1
                                        ;     Parent Loop BB73_4 Depth=2
                                        ; =>    This Inner Loop Header: Depth=3
	s_delay_alu instid0(VALU_DEP_1) | instskip(SKIP_4) | instid1(SALU_CYCLE_1)
	v_add_nc_u32_e32 v1, 0x100, v1
	ds_store_b32 v2, v10
	v_add_nc_u32_e32 v2, 0x400, v2
	v_cmp_lt_u32_e32 vcc_lo, 0x6ff, v1
	s_or_b32 s17, vcc_lo, s17
	s_and_not1_b32 exec_lo, exec_lo, s17
	s_cbranch_execnz .LBB73_5
; %bb.6:                                ;   in Loop: Header=BB73_4 Depth=2
	s_or_b32 exec_lo, exec_lo, s17
	v_lshlrev_b32_e32 v1, s16, v22
	s_delay_alu instid0(VALU_DEP_1) | instskip(NEXT) | instid1(VALU_DEP_1)
	v_lshrrev_b32_e32 v2, 20, v1
	v_and_or_b32 v2, 0x700, v2, v0
	s_delay_alu instid0(VALU_DEP_1) | instskip(NEXT) | instid1(VALU_DEP_1)
	v_alignbit_b32 v1, v2, v1, 31
	v_lshlrev_b32_e32 v24, 1, v1
	v_lshlrev_b32_e32 v1, s16, v23
	ds_load_u16 v53, v24
	v_lshrrev_b32_e32 v2, 20, v1
	s_delay_alu instid0(VALU_DEP_1) | instskip(NEXT) | instid1(VALU_DEP_1)
	v_and_or_b32 v2, 0x700, v2, v0
	v_alignbit_b32 v1, v2, v1, 31
	s_delay_alu instid0(VALU_DEP_1)
	v_lshlrev_b32_e32 v35, 1, v1
	v_lshlrev_b32_e32 v1, s16, v25
	s_waitcnt lgkmcnt(0)
	v_add_nc_u16 v2, v53, 1
	ds_store_b16 v24, v2
	ds_load_u16 v56, v35
	v_lshrrev_b32_e32 v2, 20, v1
	s_delay_alu instid0(VALU_DEP_1) | instskip(NEXT) | instid1(VALU_DEP_1)
	v_and_or_b32 v2, 0x700, v2, v0
	v_alignbit_b32 v1, v2, v1, 31
	s_delay_alu instid0(VALU_DEP_1)
	v_lshlrev_b32_e32 v47, 1, v1
	v_lshlrev_b32_e32 v1, s16, v14
	s_waitcnt lgkmcnt(0)
	v_add_nc_u16 v2, v56, 1
	ds_store_b16 v35, v2
	;; [unrolled: 11-line block ×30, first 2 shown]
	ds_load_u16 v109, v101
	v_lshrrev_b32_e32 v2, 20, v1
	s_delay_alu instid0(VALU_DEP_1) | instskip(NEXT) | instid1(VALU_DEP_1)
	v_and_or_b32 v2, 0x700, v2, v0
	v_alignbit_b32 v1, v2, v1, 31
	s_delay_alu instid0(VALU_DEP_1)
	v_lshlrev_b32_e32 v103, 1, v1
	s_waitcnt lgkmcnt(0)
	v_add_nc_u16 v2, v109, 1
	ds_store_b16 v101, v2
	ds_load_u16 v110, v103
	s_waitcnt lgkmcnt(0)
	v_add_nc_u16 v1, v110, 1
	ds_store_b16 v103, v1
	s_waitcnt lgkmcnt(0)
	s_barrier
	buffer_gl0_inv
	ds_load_2addr_b32 v[5:6], v9 offset1:1
	ds_load_2addr_b32 v[7:8], v9 offset0:2 offset1:3
	ds_load_2addr_b32 v[3:4], v9 offset0:4 offset1:5
	;; [unrolled: 1-line block ×3, first 2 shown]
	s_waitcnt lgkmcnt(3)
	v_add_nc_u32_e32 v111, v6, v5
	s_waitcnt lgkmcnt(2)
	s_delay_alu instid0(VALU_DEP_1) | instskip(SKIP_1) | instid1(VALU_DEP_1)
	v_add3_u32 v111, v111, v7, v8
	s_waitcnt lgkmcnt(1)
	v_add3_u32 v111, v111, v3, v4
	s_waitcnt lgkmcnt(0)
	s_delay_alu instid0(VALU_DEP_1) | instskip(NEXT) | instid1(VALU_DEP_1)
	v_add3_u32 v2, v111, v1, v2
	v_mov_b32_dpp v111, v2 row_shr:1 row_mask:0xf bank_mask:0xf
	s_delay_alu instid0(VALU_DEP_1) | instskip(NEXT) | instid1(VALU_DEP_1)
	v_cndmask_b32_e64 v111, v111, 0, s3
	v_add_nc_u32_e32 v2, v111, v2
	s_delay_alu instid0(VALU_DEP_1) | instskip(NEXT) | instid1(VALU_DEP_1)
	v_mov_b32_dpp v111, v2 row_shr:2 row_mask:0xf bank_mask:0xf
	v_cndmask_b32_e64 v111, 0, v111, s4
	s_delay_alu instid0(VALU_DEP_1) | instskip(NEXT) | instid1(VALU_DEP_1)
	v_add_nc_u32_e32 v2, v2, v111
	v_mov_b32_dpp v111, v2 row_shr:4 row_mask:0xf bank_mask:0xf
	s_delay_alu instid0(VALU_DEP_1) | instskip(NEXT) | instid1(VALU_DEP_1)
	v_cndmask_b32_e64 v111, 0, v111, s5
	v_add_nc_u32_e32 v2, v2, v111
	s_delay_alu instid0(VALU_DEP_1) | instskip(NEXT) | instid1(VALU_DEP_1)
	v_mov_b32_dpp v111, v2 row_shr:8 row_mask:0xf bank_mask:0xf
	v_cndmask_b32_e64 v111, 0, v111, s6
	s_delay_alu instid0(VALU_DEP_1) | instskip(SKIP_3) | instid1(VALU_DEP_1)
	v_add_nc_u32_e32 v2, v2, v111
	ds_swizzle_b32 v111, v2 offset:swizzle(BROADCAST,32,15)
	s_waitcnt lgkmcnt(0)
	v_cndmask_b32_e64 v111, v111, 0, s7
	v_add_nc_u32_e32 v2, v2, v111
	s_and_saveexec_b32 s16, s8
	s_cbranch_execz .LBB73_8
; %bb.7:                                ;   in Loop: Header=BB73_4 Depth=2
	ds_store_b32 v12, v2 offset:8192
.LBB73_8:                               ;   in Loop: Header=BB73_4 Depth=2
	s_or_b32 exec_lo, exec_lo, s16
	s_waitcnt lgkmcnt(0)
	s_barrier
	buffer_gl0_inv
	s_and_saveexec_b32 s16, s0
	s_cbranch_execz .LBB73_10
; %bb.9:                                ;   in Loop: Header=BB73_4 Depth=2
	ds_load_b32 v111, v11 offset:8192
	s_waitcnt lgkmcnt(0)
	v_mov_b32_dpp v112, v111 row_shr:1 row_mask:0xf bank_mask:0xf
	s_delay_alu instid0(VALU_DEP_1) | instskip(NEXT) | instid1(VALU_DEP_1)
	v_cndmask_b32_e64 v112, v112, 0, s9
	v_add_nc_u32_e32 v111, v112, v111
	s_delay_alu instid0(VALU_DEP_1) | instskip(NEXT) | instid1(VALU_DEP_1)
	v_mov_b32_dpp v112, v111 row_shr:2 row_mask:0xf bank_mask:0xf
	v_cndmask_b32_e64 v112, 0, v112, s10
	s_delay_alu instid0(VALU_DEP_1) | instskip(NEXT) | instid1(VALU_DEP_1)
	v_add_nc_u32_e32 v111, v111, v112
	v_mov_b32_dpp v112, v111 row_shr:4 row_mask:0xf bank_mask:0xf
	s_delay_alu instid0(VALU_DEP_1) | instskip(NEXT) | instid1(VALU_DEP_1)
	v_cndmask_b32_e64 v112, 0, v112, s11
	v_add_nc_u32_e32 v111, v111, v112
	ds_store_b32 v11, v111 offset:8192
.LBB73_10:                              ;   in Loop: Header=BB73_4 Depth=2
	s_or_b32 exec_lo, exec_lo, s16
	v_mov_b32_e32 v111, 0
	s_waitcnt lgkmcnt(0)
	s_barrier
	buffer_gl0_inv
	s_and_saveexec_b32 s16, s1
	s_cbranch_execz .LBB73_3
; %bb.11:                               ;   in Loop: Header=BB73_4 Depth=2
	ds_load_b32 v111, v12 offset:8188
	s_branch .LBB73_3
.LBB73_12:
	v_and_b32_e32 v0, 0xffff, v53
	v_and_b32_e32 v1, 0xffff, v56
	;; [unrolled: 1-line block ×6, first 2 shown]
	ds_load_u16 v10, v57
	ds_load_u16 v36, v54
	;; [unrolled: 1-line block ×32, first 2 shown]
	v_and_b32_e32 v7, 0xffff, v68
	v_and_b32_e32 v8, 0xffff, v69
	;; [unrolled: 1-line block ×26, first 2 shown]
	s_waitcnt lgkmcnt(24)
	v_add_nc_u32_e32 v0, v24, v0
	v_add_nc_u32_e32 v1, v35, v1
	;; [unrolled: 1-line block ×5, first 2 shown]
	s_waitcnt lgkmcnt(16)
	v_add_nc_u32_e32 v10, v48, v8
	s_lshl_b64 s[0:1], s[12:13], 2
	v_lshlrev_b32_e32 v8, 2, v9
	v_add_nc_u32_e32 v4, v38, v4
	v_add_nc_u32_e32 v5, v37, v5
	;; [unrolled: 1-line block ×6, first 2 shown]
	s_add_u32 s0, s18, s0
	v_add_nc_u32_e32 v14, v44, v14
	v_add_nc_u32_e32 v15, v43, v15
	;; [unrolled: 1-line block ×4, first 2 shown]
	s_addc_u32 s1, s19, s1
	s_waitcnt lgkmcnt(8)
	v_add_nc_u32_e32 v18, v56, v18
	v_add_nc_u32_e32 v19, v55, v19
	;; [unrolled: 1-line block ×8, first 2 shown]
	s_waitcnt lgkmcnt(0)
	v_add_nc_u32_e32 v26, v64, v27
	v_add_nc_u32_e32 v27, v63, v28
	;; [unrolled: 1-line block ×8, first 2 shown]
	s_clause 0x7
	global_store_b128 v8, v[0:3], s[0:1]
	global_store_b128 v8, v[4:7], s[0:1] offset:16
	global_store_b128 v8, v[10:13], s[0:1] offset:32
	global_store_b128 v8, v[14:17], s[0:1] offset:48
	global_store_b128 v8, v[18:21], s[0:1] offset:64
	global_store_b128 v8, v[22:25], s[0:1] offset:80
	global_store_b128 v8, v[26:29], s[0:1] offset:96
	global_store_b128 v8, v[30:33], s[0:1] offset:112
	s_nop 0
	s_sendmsg sendmsg(MSG_DEALLOC_VGPRS)
	s_endpgm
	.section	.rodata,"a",@progbits
	.p2align	6, 0x0
	.amdhsa_kernel _Z11rank_kernelIhLj4ELb0EL18RadixRankAlgorithm1ELj256ELj32ELj10EEvPKT_Pi
		.amdhsa_group_segment_fixed_size 8224
		.amdhsa_private_segment_fixed_size 0
		.amdhsa_kernarg_size 16
		.amdhsa_user_sgpr_count 15
		.amdhsa_user_sgpr_dispatch_ptr 0
		.amdhsa_user_sgpr_queue_ptr 0
		.amdhsa_user_sgpr_kernarg_segment_ptr 1
		.amdhsa_user_sgpr_dispatch_id 0
		.amdhsa_user_sgpr_private_segment_size 0
		.amdhsa_wavefront_size32 1
		.amdhsa_uses_dynamic_stack 0
		.amdhsa_enable_private_segment 0
		.amdhsa_system_sgpr_workgroup_id_x 1
		.amdhsa_system_sgpr_workgroup_id_y 0
		.amdhsa_system_sgpr_workgroup_id_z 0
		.amdhsa_system_sgpr_workgroup_info 0
		.amdhsa_system_vgpr_workitem_id 0
		.amdhsa_next_free_vgpr 113
		.amdhsa_next_free_sgpr 20
		.amdhsa_reserve_vcc 1
		.amdhsa_float_round_mode_32 0
		.amdhsa_float_round_mode_16_64 0
		.amdhsa_float_denorm_mode_32 3
		.amdhsa_float_denorm_mode_16_64 3
		.amdhsa_dx10_clamp 1
		.amdhsa_ieee_mode 1
		.amdhsa_fp16_overflow 0
		.amdhsa_workgroup_processor_mode 1
		.amdhsa_memory_ordered 1
		.amdhsa_forward_progress 0
		.amdhsa_shared_vgpr_count 0
		.amdhsa_exception_fp_ieee_invalid_op 0
		.amdhsa_exception_fp_denorm_src 0
		.amdhsa_exception_fp_ieee_div_zero 0
		.amdhsa_exception_fp_ieee_overflow 0
		.amdhsa_exception_fp_ieee_underflow 0
		.amdhsa_exception_fp_ieee_inexact 0
		.amdhsa_exception_int_div_zero 0
	.end_amdhsa_kernel
	.section	.text._Z11rank_kernelIhLj4ELb0EL18RadixRankAlgorithm1ELj256ELj32ELj10EEvPKT_Pi,"axG",@progbits,_Z11rank_kernelIhLj4ELb0EL18RadixRankAlgorithm1ELj256ELj32ELj10EEvPKT_Pi,comdat
.Lfunc_end73:
	.size	_Z11rank_kernelIhLj4ELb0EL18RadixRankAlgorithm1ELj256ELj32ELj10EEvPKT_Pi, .Lfunc_end73-_Z11rank_kernelIhLj4ELb0EL18RadixRankAlgorithm1ELj256ELj32ELj10EEvPKT_Pi
                                        ; -- End function
	.section	.AMDGPU.csdata,"",@progbits
; Kernel info:
; codeLenInByte = 4048
; NumSgprs: 22
; NumVgprs: 113
; ScratchSize: 0
; MemoryBound: 0
; FloatMode: 240
; IeeeMode: 1
; LDSByteSize: 8224 bytes/workgroup (compile time only)
; SGPRBlocks: 2
; VGPRBlocks: 14
; NumSGPRsForWavesPerEU: 22
; NumVGPRsForWavesPerEU: 113
; Occupancy: 12
; WaveLimiterHint : 0
; COMPUTE_PGM_RSRC2:SCRATCH_EN: 0
; COMPUTE_PGM_RSRC2:USER_SGPR: 15
; COMPUTE_PGM_RSRC2:TRAP_HANDLER: 0
; COMPUTE_PGM_RSRC2:TGID_X_EN: 1
; COMPUTE_PGM_RSRC2:TGID_Y_EN: 0
; COMPUTE_PGM_RSRC2:TGID_Z_EN: 0
; COMPUTE_PGM_RSRC2:TIDIG_COMP_CNT: 0
	.section	.text._Z11rank_kernelIhLj4ELb0EL18RadixRankAlgorithm2ELj256ELj32ELj10EEvPKT_Pi,"axG",@progbits,_Z11rank_kernelIhLj4ELb0EL18RadixRankAlgorithm2ELj256ELj32ELj10EEvPKT_Pi,comdat
	.protected	_Z11rank_kernelIhLj4ELb0EL18RadixRankAlgorithm2ELj256ELj32ELj10EEvPKT_Pi ; -- Begin function _Z11rank_kernelIhLj4ELb0EL18RadixRankAlgorithm2ELj256ELj32ELj10EEvPKT_Pi
	.globl	_Z11rank_kernelIhLj4ELb0EL18RadixRankAlgorithm2ELj256ELj32ELj10EEvPKT_Pi
	.p2align	8
	.type	_Z11rank_kernelIhLj4ELb0EL18RadixRankAlgorithm2ELj256ELj32ELj10EEvPKT_Pi,@function
_Z11rank_kernelIhLj4ELb0EL18RadixRankAlgorithm2ELj256ELj32ELj10EEvPKT_Pi: ; @_Z11rank_kernelIhLj4ELb0EL18RadixRankAlgorithm2ELj256ELj32ELj10EEvPKT_Pi
; %bb.0:
	s_clause 0x1
	s_load_b128 s[16:19], s[0:1], 0x0
	s_load_b32 s8, s[0:1], 0x1c
	v_mbcnt_lo_u32_b32 v3, -1, 0
	s_lshl_b32 s14, s15, 13
	v_bfe_u32 v5, v0, 10, 10
	v_bfe_u32 v6, v0, 20, 10
	s_mov_b32 s15, 0
	v_add_nc_u32_e32 v9, -1, v3
	v_and_b32_e32 v7, 15, v3
	v_and_b32_e32 v8, 16, v3
	;; [unrolled: 1-line block ×3, first 2 shown]
	s_mov_b32 s13, s15
	v_cmp_gt_i32_e32 vcc_lo, 0, v9
	v_and_b32_e32 v4, 0x3ff, v0
	v_cmp_lt_u32_e64 s2, 1, v7
	v_mov_b32_e32 v2, 0
	v_cmp_lt_u32_e64 s3, 3, v7
	v_cndmask_b32_e32 v9, v9, v3, vcc_lo
	v_lshlrev_b32_e32 v1, 5, v4
	v_cmp_lt_u32_e64 s4, 7, v7
	s_waitcnt lgkmcnt(0)
	s_add_u32 s0, s16, s14
	s_addc_u32 s1, s17, 0
	s_lshr_b32 s9, s8, 16
	s_clause 0x1
	global_load_b128 v[23:26], v1, s[0:1]
	global_load_b128 v[35:38], v1, s[0:1] offset:16
	v_mad_u32_u24 v5, v6, s9, v5
	v_cmp_eq_u32_e64 s0, 0, v3
	v_lshrrev_b32_e32 v3, 3, v4
	s_and_b32 s8, s8, 0xffff
	v_cmp_eq_u32_e64 s1, 0, v7
	v_mad_u64_u32 v[6:7], null, v5, s8, v[4:5]
	v_cmp_eq_u32_e64 s5, 0, v8
	v_or_b32_e32 v8, 31, v4
	v_and_b32_e32 v3, 28, v3
	v_lshlrev_b32_e32 v0, 2, v4
	v_cmp_gt_u32_e64 s6, 8, v4
	v_cmp_lt_u32_e64 s7, 31, v4
	v_cmp_eq_u32_e64 s8, 0, v10
	v_cmp_lt_u32_e64 s9, 1, v10
	v_cmp_lt_u32_e64 s10, 3, v10
	v_cmp_eq_u32_e64 s11, v8, v4
	v_lshlrev_b32_e32 v4, 2, v9
	v_add_nc_u32_e32 v5, -4, v3
	v_lshrrev_b32_e32 v6, 5, v6
	s_waitcnt vmcnt(1)
	v_lshrrev_b32_e32 v7, 24, v23
	v_lshrrev_b32_e32 v8, 24, v24
	;; [unrolled: 1-line block ×4, first 2 shown]
	s_waitcnt vmcnt(0)
	v_lshrrev_b32_e32 v11, 24, v35
	v_lshrrev_b32_e32 v12, 24, v36
	;; [unrolled: 1-line block ×4, first 2 shown]
	v_and_b32_e32 v15, 0xff, v23
	v_bfe_u32 v16, v23, 8, 8
	v_bfe_u32 v17, v23, 16, 8
	v_and_b32_e32 v18, 0xff, v24
	v_bfe_u32 v19, v24, 8, 8
	v_bfe_u32 v20, v24, 16, 8
	;; [unrolled: 3-line block ×8, first 2 shown]
	s_branch .LBB74_2
.LBB74_1:                               ;   in Loop: Header=BB74_2 Depth=1
	s_add_i32 s13, s13, 1
	s_delay_alu instid0(SALU_CYCLE_1)
	s_cmp_eq_u32 s13, 10
	s_cbranch_scc1 .LBB74_74
.LBB74_2:                               ; =>This Loop Header: Depth=1
                                        ;     Child Loop BB74_4 Depth 2
	s_mov_b32 s16, -1
	s_mov_b32 s17, 28
	s_branch .LBB74_4
.LBB74_3:                               ;   in Loop: Header=BB74_4 Depth=2
	s_or_b32 exec_lo, exec_lo, s12
	s_waitcnt lgkmcnt(0)
	v_add_nc_u32_e32 v134, v135, v134
	s_xor_b32 s12, s16, -1
	s_mov_b32 s17, 24
	s_mov_b32 s16, 0
	s_and_not1_b32 vcc_lo, exec_lo, s12
	ds_bpermute_b32 v134, v4, v134
	s_waitcnt lgkmcnt(0)
	v_cndmask_b32_e64 v134, v134, v135, s0
	ds_store_b32 v0, v134 offset:32
	s_waitcnt lgkmcnt(0)
	s_barrier
	buffer_gl0_inv
	s_cbranch_vccz .LBB74_1
.LBB74_4:                               ;   Parent Loop BB74_2 Depth=1
                                        ; =>  This Inner Loop Header: Depth=2
	v_lshlrev_b32_e32 v39, s17, v15
	ds_store_b32 v0, v2 offset:32
	s_waitcnt lgkmcnt(0)
	s_barrier
	buffer_gl0_inv
	v_bfe_u32 v40, v39, 28, 1
	v_lshrrev_b32_e32 v42, 28, v39
	v_not_b32_e32 v45, v39
	; wave barrier
	s_delay_alu instid0(VALU_DEP_3) | instskip(NEXT) | instid1(VALU_DEP_1)
	v_add_co_u32 v40, s12, v40, -1
	v_cndmask_b32_e64 v41, 0, 1, s12
	s_delay_alu instid0(VALU_DEP_4) | instskip(SKIP_1) | instid1(VALU_DEP_3)
	v_lshlrev_b32_e32 v43, 30, v42
	v_lshlrev_b32_e32 v44, 29, v42
	v_cmp_ne_u32_e32 vcc_lo, 0, v41
	s_delay_alu instid0(VALU_DEP_3) | instskip(SKIP_1) | instid1(VALU_DEP_4)
	v_not_b32_e32 v41, v43
	v_cmp_gt_i32_e64 s12, 0, v43
	v_not_b32_e32 v43, v44
	v_xor_b32_e32 v40, vcc_lo, v40
	s_delay_alu instid0(VALU_DEP_4) | instskip(SKIP_1) | instid1(VALU_DEP_4)
	v_ashrrev_i32_e32 v41, 31, v41
	v_cmp_gt_i32_e32 vcc_lo, 0, v44
	v_ashrrev_i32_e32 v43, 31, v43
	s_delay_alu instid0(VALU_DEP_4) | instskip(NEXT) | instid1(VALU_DEP_4)
	v_and_b32_e32 v40, exec_lo, v40
	v_xor_b32_e32 v41, s12, v41
	v_cmp_gt_i32_e64 s12, 0, v39
	v_ashrrev_i32_e32 v39, 31, v45
	v_xor_b32_e32 v43, vcc_lo, v43
	s_delay_alu instid0(VALU_DEP_4) | instskip(NEXT) | instid1(VALU_DEP_3)
	v_and_b32_e32 v40, v40, v41
	v_xor_b32_e32 v39, s12, v39
	s_delay_alu instid0(VALU_DEP_2) | instskip(NEXT) | instid1(VALU_DEP_1)
	v_and_b32_e32 v40, v40, v43
	v_and_b32_e32 v41, v40, v39
	v_mad_u32_u24 v40, v42, 9, v6
	s_delay_alu instid0(VALU_DEP_2) | instskip(SKIP_1) | instid1(VALU_DEP_3)
	v_mbcnt_lo_u32_b32 v39, v41, 0
	v_cmp_ne_u32_e64 s12, 0, v41
	v_lshl_add_u32 v40, v40, 2, 32
	s_delay_alu instid0(VALU_DEP_3) | instskip(NEXT) | instid1(VALU_DEP_3)
	v_cmp_eq_u32_e32 vcc_lo, 0, v39
	s_and_b32 s20, vcc_lo, s12
	s_delay_alu instid0(SALU_CYCLE_1)
	s_and_saveexec_b32 s12, s20
	s_cbranch_execz .LBB74_6
; %bb.5:                                ;   in Loop: Header=BB74_4 Depth=2
	v_bcnt_u32_b32 v41, v41, 0
	ds_store_b32 v40, v41
.LBB74_6:                               ;   in Loop: Header=BB74_4 Depth=2
	s_or_b32 exec_lo, exec_lo, s12
	v_lshlrev_b32_e32 v41, s17, v16
	; wave barrier
	s_delay_alu instid0(VALU_DEP_1) | instskip(SKIP_2) | instid1(VALU_DEP_3)
	v_bfe_u32 v42, v41, 28, 1
	v_lshrrev_b32_e32 v43, 28, v41
	v_not_b32_e32 v47, v41
	v_add_co_u32 v42, s12, v42, -1
	s_delay_alu instid0(VALU_DEP_1) | instskip(NEXT) | instid1(VALU_DEP_4)
	v_cndmask_b32_e64 v44, 0, 1, s12
	v_lshlrev_b32_e32 v45, 30, v43
	v_lshlrev_b32_e32 v46, 29, v43
	s_delay_alu instid0(VALU_DEP_3) | instskip(NEXT) | instid1(VALU_DEP_3)
	v_cmp_ne_u32_e32 vcc_lo, 0, v44
	v_not_b32_e32 v44, v45
	v_cmp_gt_i32_e64 s12, 0, v45
	s_delay_alu instid0(VALU_DEP_4) | instskip(SKIP_1) | instid1(VALU_DEP_4)
	v_not_b32_e32 v45, v46
	v_xor_b32_e32 v42, vcc_lo, v42
	v_ashrrev_i32_e32 v44, 31, v44
	v_cmp_gt_i32_e32 vcc_lo, 0, v46
	s_delay_alu instid0(VALU_DEP_4) | instskip(NEXT) | instid1(VALU_DEP_4)
	v_ashrrev_i32_e32 v45, 31, v45
	v_and_b32_e32 v42, exec_lo, v42
	s_delay_alu instid0(VALU_DEP_4)
	v_xor_b32_e32 v44, s12, v44
	v_cmp_gt_i32_e64 s12, 0, v41
	v_mul_u32_u24_e32 v41, 9, v43
	v_ashrrev_i32_e32 v43, 31, v47
	v_xor_b32_e32 v45, vcc_lo, v45
	v_and_b32_e32 v42, v42, v44
	s_delay_alu instid0(VALU_DEP_4) | instskip(NEXT) | instid1(VALU_DEP_4)
	v_add_lshl_u32 v46, v41, v6, 2
	v_xor_b32_e32 v43, s12, v43
	s_delay_alu instid0(VALU_DEP_3) | instskip(SKIP_3) | instid1(VALU_DEP_2)
	v_and_b32_e32 v42, v42, v45
	ds_load_b32 v41, v46 offset:32
	; wave barrier
	v_and_b32_e32 v44, v42, v43
	v_add_nc_u32_e32 v43, 32, v46
	v_mbcnt_lo_u32_b32 v42, v44, 0
	v_cmp_ne_u32_e64 s12, 0, v44
	s_delay_alu instid0(VALU_DEP_2) | instskip(NEXT) | instid1(VALU_DEP_2)
	v_cmp_eq_u32_e32 vcc_lo, 0, v42
	s_and_b32 s20, vcc_lo, s12
	s_delay_alu instid0(SALU_CYCLE_1)
	s_and_saveexec_b32 s12, s20
	s_cbranch_execz .LBB74_8
; %bb.7:                                ;   in Loop: Header=BB74_4 Depth=2
	s_waitcnt lgkmcnt(0)
	v_bcnt_u32_b32 v44, v44, v41
	ds_store_b32 v43, v44
.LBB74_8:                               ;   in Loop: Header=BB74_4 Depth=2
	s_or_b32 exec_lo, exec_lo, s12
	v_lshlrev_b32_e32 v44, s17, v17
	; wave barrier
	s_delay_alu instid0(VALU_DEP_1) | instskip(SKIP_2) | instid1(VALU_DEP_3)
	v_bfe_u32 v45, v44, 28, 1
	v_lshrrev_b32_e32 v46, 28, v44
	v_not_b32_e32 v50, v44
	v_add_co_u32 v45, s12, v45, -1
	s_delay_alu instid0(VALU_DEP_1) | instskip(NEXT) | instid1(VALU_DEP_4)
	v_cndmask_b32_e64 v47, 0, 1, s12
	v_lshlrev_b32_e32 v48, 30, v46
	v_lshlrev_b32_e32 v49, 29, v46
	s_delay_alu instid0(VALU_DEP_3) | instskip(NEXT) | instid1(VALU_DEP_3)
	v_cmp_ne_u32_e32 vcc_lo, 0, v47
	v_not_b32_e32 v47, v48
	v_cmp_gt_i32_e64 s12, 0, v48
	s_delay_alu instid0(VALU_DEP_4) | instskip(SKIP_1) | instid1(VALU_DEP_4)
	v_not_b32_e32 v48, v49
	v_xor_b32_e32 v45, vcc_lo, v45
	v_ashrrev_i32_e32 v47, 31, v47
	v_cmp_gt_i32_e32 vcc_lo, 0, v49
	s_delay_alu instid0(VALU_DEP_4) | instskip(NEXT) | instid1(VALU_DEP_4)
	v_ashrrev_i32_e32 v48, 31, v48
	v_and_b32_e32 v45, exec_lo, v45
	s_delay_alu instid0(VALU_DEP_4)
	v_xor_b32_e32 v47, s12, v47
	v_cmp_gt_i32_e64 s12, 0, v44
	v_mul_u32_u24_e32 v44, 9, v46
	v_ashrrev_i32_e32 v46, 31, v50
	v_xor_b32_e32 v48, vcc_lo, v48
	v_and_b32_e32 v45, v45, v47
	s_delay_alu instid0(VALU_DEP_4) | instskip(NEXT) | instid1(VALU_DEP_4)
	v_add_lshl_u32 v49, v44, v6, 2
	v_xor_b32_e32 v46, s12, v46
	s_delay_alu instid0(VALU_DEP_3) | instskip(SKIP_3) | instid1(VALU_DEP_2)
	v_and_b32_e32 v45, v45, v48
	ds_load_b32 v44, v49 offset:32
	; wave barrier
	v_and_b32_e32 v47, v45, v46
	v_add_nc_u32_e32 v46, 32, v49
	v_mbcnt_lo_u32_b32 v45, v47, 0
	v_cmp_ne_u32_e64 s12, 0, v47
	s_delay_alu instid0(VALU_DEP_2) | instskip(NEXT) | instid1(VALU_DEP_2)
	v_cmp_eq_u32_e32 vcc_lo, 0, v45
	s_and_b32 s20, vcc_lo, s12
	s_delay_alu instid0(SALU_CYCLE_1)
	s_and_saveexec_b32 s12, s20
	s_cbranch_execz .LBB74_10
; %bb.9:                                ;   in Loop: Header=BB74_4 Depth=2
	s_waitcnt lgkmcnt(0)
	v_bcnt_u32_b32 v47, v47, v44
	ds_store_b32 v46, v47
.LBB74_10:                              ;   in Loop: Header=BB74_4 Depth=2
	s_or_b32 exec_lo, exec_lo, s12
	v_lshlrev_b32_e32 v47, s17, v7
	; wave barrier
	s_delay_alu instid0(VALU_DEP_1) | instskip(SKIP_2) | instid1(VALU_DEP_3)
	v_bfe_u32 v48, v47, 28, 1
	v_lshrrev_b32_e32 v49, 28, v47
	v_not_b32_e32 v53, v47
	v_add_co_u32 v48, s12, v48, -1
	s_delay_alu instid0(VALU_DEP_1) | instskip(NEXT) | instid1(VALU_DEP_4)
	v_cndmask_b32_e64 v50, 0, 1, s12
	v_lshlrev_b32_e32 v51, 30, v49
	v_lshlrev_b32_e32 v52, 29, v49
	s_delay_alu instid0(VALU_DEP_3) | instskip(NEXT) | instid1(VALU_DEP_3)
	v_cmp_ne_u32_e32 vcc_lo, 0, v50
	v_not_b32_e32 v50, v51
	v_cmp_gt_i32_e64 s12, 0, v51
	s_delay_alu instid0(VALU_DEP_4) | instskip(SKIP_1) | instid1(VALU_DEP_4)
	v_not_b32_e32 v51, v52
	v_xor_b32_e32 v48, vcc_lo, v48
	v_ashrrev_i32_e32 v50, 31, v50
	v_cmp_gt_i32_e32 vcc_lo, 0, v52
	s_delay_alu instid0(VALU_DEP_4) | instskip(NEXT) | instid1(VALU_DEP_4)
	v_ashrrev_i32_e32 v51, 31, v51
	v_and_b32_e32 v48, exec_lo, v48
	s_delay_alu instid0(VALU_DEP_4)
	v_xor_b32_e32 v50, s12, v50
	v_cmp_gt_i32_e64 s12, 0, v47
	v_mul_u32_u24_e32 v47, 9, v49
	v_ashrrev_i32_e32 v49, 31, v53
	v_xor_b32_e32 v51, vcc_lo, v51
	v_and_b32_e32 v48, v48, v50
	s_delay_alu instid0(VALU_DEP_4) | instskip(NEXT) | instid1(VALU_DEP_4)
	v_add_lshl_u32 v52, v47, v6, 2
	v_xor_b32_e32 v49, s12, v49
	s_delay_alu instid0(VALU_DEP_3) | instskip(SKIP_3) | instid1(VALU_DEP_2)
	v_and_b32_e32 v48, v48, v51
	ds_load_b32 v47, v52 offset:32
	; wave barrier
	v_and_b32_e32 v50, v48, v49
	v_add_nc_u32_e32 v49, 32, v52
	v_mbcnt_lo_u32_b32 v48, v50, 0
	v_cmp_ne_u32_e64 s12, 0, v50
	s_delay_alu instid0(VALU_DEP_2) | instskip(NEXT) | instid1(VALU_DEP_2)
	v_cmp_eq_u32_e32 vcc_lo, 0, v48
	s_and_b32 s20, vcc_lo, s12
	s_delay_alu instid0(SALU_CYCLE_1)
	s_and_saveexec_b32 s12, s20
	s_cbranch_execz .LBB74_12
; %bb.11:                               ;   in Loop: Header=BB74_4 Depth=2
	s_waitcnt lgkmcnt(0)
	v_bcnt_u32_b32 v50, v50, v47
	ds_store_b32 v49, v50
.LBB74_12:                              ;   in Loop: Header=BB74_4 Depth=2
	s_or_b32 exec_lo, exec_lo, s12
	v_lshlrev_b32_e32 v50, s17, v18
	; wave barrier
	s_delay_alu instid0(VALU_DEP_1) | instskip(SKIP_2) | instid1(VALU_DEP_3)
	v_bfe_u32 v51, v50, 28, 1
	v_lshrrev_b32_e32 v52, 28, v50
	v_not_b32_e32 v56, v50
	v_add_co_u32 v51, s12, v51, -1
	s_delay_alu instid0(VALU_DEP_1) | instskip(NEXT) | instid1(VALU_DEP_4)
	v_cndmask_b32_e64 v53, 0, 1, s12
	v_lshlrev_b32_e32 v54, 30, v52
	v_lshlrev_b32_e32 v55, 29, v52
	s_delay_alu instid0(VALU_DEP_3) | instskip(NEXT) | instid1(VALU_DEP_3)
	v_cmp_ne_u32_e32 vcc_lo, 0, v53
	v_not_b32_e32 v53, v54
	v_cmp_gt_i32_e64 s12, 0, v54
	s_delay_alu instid0(VALU_DEP_4) | instskip(SKIP_1) | instid1(VALU_DEP_4)
	v_not_b32_e32 v54, v55
	v_xor_b32_e32 v51, vcc_lo, v51
	v_ashrrev_i32_e32 v53, 31, v53
	v_cmp_gt_i32_e32 vcc_lo, 0, v55
	s_delay_alu instid0(VALU_DEP_4) | instskip(NEXT) | instid1(VALU_DEP_4)
	v_ashrrev_i32_e32 v54, 31, v54
	v_and_b32_e32 v51, exec_lo, v51
	s_delay_alu instid0(VALU_DEP_4)
	v_xor_b32_e32 v53, s12, v53
	v_cmp_gt_i32_e64 s12, 0, v50
	v_mul_u32_u24_e32 v50, 9, v52
	v_ashrrev_i32_e32 v52, 31, v56
	v_xor_b32_e32 v54, vcc_lo, v54
	v_and_b32_e32 v51, v51, v53
	s_delay_alu instid0(VALU_DEP_4) | instskip(NEXT) | instid1(VALU_DEP_4)
	v_add_lshl_u32 v55, v50, v6, 2
	v_xor_b32_e32 v52, s12, v52
	s_delay_alu instid0(VALU_DEP_3) | instskip(SKIP_3) | instid1(VALU_DEP_2)
	v_and_b32_e32 v51, v51, v54
	ds_load_b32 v50, v55 offset:32
	; wave barrier
	v_and_b32_e32 v53, v51, v52
	v_add_nc_u32_e32 v52, 32, v55
	v_mbcnt_lo_u32_b32 v51, v53, 0
	v_cmp_ne_u32_e64 s12, 0, v53
	s_delay_alu instid0(VALU_DEP_2) | instskip(NEXT) | instid1(VALU_DEP_2)
	v_cmp_eq_u32_e32 vcc_lo, 0, v51
	s_and_b32 s20, vcc_lo, s12
	s_delay_alu instid0(SALU_CYCLE_1)
	s_and_saveexec_b32 s12, s20
	s_cbranch_execz .LBB74_14
; %bb.13:                               ;   in Loop: Header=BB74_4 Depth=2
	s_waitcnt lgkmcnt(0)
	v_bcnt_u32_b32 v53, v53, v50
	ds_store_b32 v52, v53
.LBB74_14:                              ;   in Loop: Header=BB74_4 Depth=2
	s_or_b32 exec_lo, exec_lo, s12
	v_lshlrev_b32_e32 v53, s17, v19
	; wave barrier
	s_delay_alu instid0(VALU_DEP_1) | instskip(SKIP_2) | instid1(VALU_DEP_3)
	v_bfe_u32 v54, v53, 28, 1
	v_lshrrev_b32_e32 v55, 28, v53
	v_not_b32_e32 v59, v53
	v_add_co_u32 v54, s12, v54, -1
	s_delay_alu instid0(VALU_DEP_1) | instskip(NEXT) | instid1(VALU_DEP_4)
	v_cndmask_b32_e64 v56, 0, 1, s12
	v_lshlrev_b32_e32 v57, 30, v55
	v_lshlrev_b32_e32 v58, 29, v55
	s_delay_alu instid0(VALU_DEP_3) | instskip(NEXT) | instid1(VALU_DEP_3)
	v_cmp_ne_u32_e32 vcc_lo, 0, v56
	v_not_b32_e32 v56, v57
	v_cmp_gt_i32_e64 s12, 0, v57
	s_delay_alu instid0(VALU_DEP_4) | instskip(SKIP_1) | instid1(VALU_DEP_4)
	v_not_b32_e32 v57, v58
	v_xor_b32_e32 v54, vcc_lo, v54
	v_ashrrev_i32_e32 v56, 31, v56
	v_cmp_gt_i32_e32 vcc_lo, 0, v58
	s_delay_alu instid0(VALU_DEP_4) | instskip(NEXT) | instid1(VALU_DEP_4)
	v_ashrrev_i32_e32 v57, 31, v57
	v_and_b32_e32 v54, exec_lo, v54
	s_delay_alu instid0(VALU_DEP_4)
	v_xor_b32_e32 v56, s12, v56
	v_cmp_gt_i32_e64 s12, 0, v53
	v_mul_u32_u24_e32 v53, 9, v55
	v_ashrrev_i32_e32 v55, 31, v59
	v_xor_b32_e32 v57, vcc_lo, v57
	v_and_b32_e32 v54, v54, v56
	s_delay_alu instid0(VALU_DEP_4) | instskip(NEXT) | instid1(VALU_DEP_4)
	v_add_lshl_u32 v58, v53, v6, 2
	v_xor_b32_e32 v55, s12, v55
	s_delay_alu instid0(VALU_DEP_3) | instskip(SKIP_3) | instid1(VALU_DEP_2)
	v_and_b32_e32 v54, v54, v57
	ds_load_b32 v53, v58 offset:32
	; wave barrier
	v_and_b32_e32 v56, v54, v55
	v_add_nc_u32_e32 v55, 32, v58
	v_mbcnt_lo_u32_b32 v54, v56, 0
	v_cmp_ne_u32_e64 s12, 0, v56
	s_delay_alu instid0(VALU_DEP_2) | instskip(NEXT) | instid1(VALU_DEP_2)
	v_cmp_eq_u32_e32 vcc_lo, 0, v54
	s_and_b32 s20, vcc_lo, s12
	s_delay_alu instid0(SALU_CYCLE_1)
	s_and_saveexec_b32 s12, s20
	s_cbranch_execz .LBB74_16
; %bb.15:                               ;   in Loop: Header=BB74_4 Depth=2
	s_waitcnt lgkmcnt(0)
	v_bcnt_u32_b32 v56, v56, v53
	ds_store_b32 v55, v56
.LBB74_16:                              ;   in Loop: Header=BB74_4 Depth=2
	s_or_b32 exec_lo, exec_lo, s12
	v_lshlrev_b32_e32 v56, s17, v20
	; wave barrier
	s_delay_alu instid0(VALU_DEP_1) | instskip(SKIP_2) | instid1(VALU_DEP_3)
	v_bfe_u32 v57, v56, 28, 1
	v_lshrrev_b32_e32 v58, 28, v56
	v_not_b32_e32 v62, v56
	v_add_co_u32 v57, s12, v57, -1
	s_delay_alu instid0(VALU_DEP_1) | instskip(NEXT) | instid1(VALU_DEP_4)
	v_cndmask_b32_e64 v59, 0, 1, s12
	v_lshlrev_b32_e32 v60, 30, v58
	v_lshlrev_b32_e32 v61, 29, v58
	s_delay_alu instid0(VALU_DEP_3) | instskip(NEXT) | instid1(VALU_DEP_3)
	v_cmp_ne_u32_e32 vcc_lo, 0, v59
	v_not_b32_e32 v59, v60
	v_cmp_gt_i32_e64 s12, 0, v60
	s_delay_alu instid0(VALU_DEP_4) | instskip(SKIP_1) | instid1(VALU_DEP_4)
	v_not_b32_e32 v60, v61
	v_xor_b32_e32 v57, vcc_lo, v57
	v_ashrrev_i32_e32 v59, 31, v59
	v_cmp_gt_i32_e32 vcc_lo, 0, v61
	s_delay_alu instid0(VALU_DEP_4) | instskip(NEXT) | instid1(VALU_DEP_4)
	v_ashrrev_i32_e32 v60, 31, v60
	v_and_b32_e32 v57, exec_lo, v57
	s_delay_alu instid0(VALU_DEP_4)
	v_xor_b32_e32 v59, s12, v59
	v_cmp_gt_i32_e64 s12, 0, v56
	v_mul_u32_u24_e32 v56, 9, v58
	v_ashrrev_i32_e32 v58, 31, v62
	v_xor_b32_e32 v60, vcc_lo, v60
	v_and_b32_e32 v57, v57, v59
	s_delay_alu instid0(VALU_DEP_4) | instskip(NEXT) | instid1(VALU_DEP_4)
	v_add_lshl_u32 v61, v56, v6, 2
	v_xor_b32_e32 v58, s12, v58
	s_delay_alu instid0(VALU_DEP_3) | instskip(SKIP_3) | instid1(VALU_DEP_2)
	v_and_b32_e32 v57, v57, v60
	ds_load_b32 v56, v61 offset:32
	; wave barrier
	v_and_b32_e32 v59, v57, v58
	v_add_nc_u32_e32 v58, 32, v61
	v_mbcnt_lo_u32_b32 v57, v59, 0
	v_cmp_ne_u32_e64 s12, 0, v59
	s_delay_alu instid0(VALU_DEP_2) | instskip(NEXT) | instid1(VALU_DEP_2)
	v_cmp_eq_u32_e32 vcc_lo, 0, v57
	s_and_b32 s20, vcc_lo, s12
	s_delay_alu instid0(SALU_CYCLE_1)
	s_and_saveexec_b32 s12, s20
	s_cbranch_execz .LBB74_18
; %bb.17:                               ;   in Loop: Header=BB74_4 Depth=2
	s_waitcnt lgkmcnt(0)
	v_bcnt_u32_b32 v59, v59, v56
	ds_store_b32 v58, v59
.LBB74_18:                              ;   in Loop: Header=BB74_4 Depth=2
	s_or_b32 exec_lo, exec_lo, s12
	v_lshlrev_b32_e32 v59, s17, v8
	; wave barrier
	s_delay_alu instid0(VALU_DEP_1) | instskip(SKIP_2) | instid1(VALU_DEP_3)
	v_bfe_u32 v60, v59, 28, 1
	v_lshrrev_b32_e32 v61, 28, v59
	v_not_b32_e32 v65, v59
	v_add_co_u32 v60, s12, v60, -1
	s_delay_alu instid0(VALU_DEP_1) | instskip(NEXT) | instid1(VALU_DEP_4)
	v_cndmask_b32_e64 v62, 0, 1, s12
	v_lshlrev_b32_e32 v63, 30, v61
	v_lshlrev_b32_e32 v64, 29, v61
	s_delay_alu instid0(VALU_DEP_3) | instskip(NEXT) | instid1(VALU_DEP_3)
	v_cmp_ne_u32_e32 vcc_lo, 0, v62
	v_not_b32_e32 v62, v63
	v_cmp_gt_i32_e64 s12, 0, v63
	s_delay_alu instid0(VALU_DEP_4) | instskip(SKIP_1) | instid1(VALU_DEP_4)
	v_not_b32_e32 v63, v64
	v_xor_b32_e32 v60, vcc_lo, v60
	v_ashrrev_i32_e32 v62, 31, v62
	v_cmp_gt_i32_e32 vcc_lo, 0, v64
	s_delay_alu instid0(VALU_DEP_4) | instskip(NEXT) | instid1(VALU_DEP_4)
	v_ashrrev_i32_e32 v63, 31, v63
	v_and_b32_e32 v60, exec_lo, v60
	s_delay_alu instid0(VALU_DEP_4)
	v_xor_b32_e32 v62, s12, v62
	v_cmp_gt_i32_e64 s12, 0, v59
	v_mul_u32_u24_e32 v59, 9, v61
	v_ashrrev_i32_e32 v61, 31, v65
	v_xor_b32_e32 v63, vcc_lo, v63
	v_and_b32_e32 v60, v60, v62
	s_delay_alu instid0(VALU_DEP_4) | instskip(NEXT) | instid1(VALU_DEP_4)
	v_add_lshl_u32 v64, v59, v6, 2
	v_xor_b32_e32 v61, s12, v61
	s_delay_alu instid0(VALU_DEP_3) | instskip(SKIP_3) | instid1(VALU_DEP_2)
	v_and_b32_e32 v60, v60, v63
	ds_load_b32 v59, v64 offset:32
	; wave barrier
	v_and_b32_e32 v62, v60, v61
	v_add_nc_u32_e32 v61, 32, v64
	v_mbcnt_lo_u32_b32 v60, v62, 0
	v_cmp_ne_u32_e64 s12, 0, v62
	s_delay_alu instid0(VALU_DEP_2) | instskip(NEXT) | instid1(VALU_DEP_2)
	v_cmp_eq_u32_e32 vcc_lo, 0, v60
	s_and_b32 s20, vcc_lo, s12
	s_delay_alu instid0(SALU_CYCLE_1)
	s_and_saveexec_b32 s12, s20
	s_cbranch_execz .LBB74_20
; %bb.19:                               ;   in Loop: Header=BB74_4 Depth=2
	s_waitcnt lgkmcnt(0)
	v_bcnt_u32_b32 v62, v62, v59
	ds_store_b32 v61, v62
.LBB74_20:                              ;   in Loop: Header=BB74_4 Depth=2
	s_or_b32 exec_lo, exec_lo, s12
	v_lshlrev_b32_e32 v62, s17, v21
	; wave barrier
	s_delay_alu instid0(VALU_DEP_1) | instskip(SKIP_2) | instid1(VALU_DEP_3)
	v_bfe_u32 v63, v62, 28, 1
	v_lshrrev_b32_e32 v64, 28, v62
	v_not_b32_e32 v68, v62
	v_add_co_u32 v63, s12, v63, -1
	s_delay_alu instid0(VALU_DEP_1) | instskip(NEXT) | instid1(VALU_DEP_4)
	v_cndmask_b32_e64 v65, 0, 1, s12
	v_lshlrev_b32_e32 v66, 30, v64
	v_lshlrev_b32_e32 v67, 29, v64
	s_delay_alu instid0(VALU_DEP_3) | instskip(NEXT) | instid1(VALU_DEP_3)
	v_cmp_ne_u32_e32 vcc_lo, 0, v65
	v_not_b32_e32 v65, v66
	v_cmp_gt_i32_e64 s12, 0, v66
	s_delay_alu instid0(VALU_DEP_4) | instskip(SKIP_1) | instid1(VALU_DEP_4)
	v_not_b32_e32 v66, v67
	v_xor_b32_e32 v63, vcc_lo, v63
	v_ashrrev_i32_e32 v65, 31, v65
	v_cmp_gt_i32_e32 vcc_lo, 0, v67
	s_delay_alu instid0(VALU_DEP_4) | instskip(NEXT) | instid1(VALU_DEP_4)
	v_ashrrev_i32_e32 v66, 31, v66
	v_and_b32_e32 v63, exec_lo, v63
	s_delay_alu instid0(VALU_DEP_4)
	v_xor_b32_e32 v65, s12, v65
	v_cmp_gt_i32_e64 s12, 0, v62
	v_mul_u32_u24_e32 v62, 9, v64
	v_ashrrev_i32_e32 v64, 31, v68
	v_xor_b32_e32 v66, vcc_lo, v66
	v_and_b32_e32 v63, v63, v65
	s_delay_alu instid0(VALU_DEP_4) | instskip(NEXT) | instid1(VALU_DEP_4)
	v_add_lshl_u32 v67, v62, v6, 2
	v_xor_b32_e32 v64, s12, v64
	s_delay_alu instid0(VALU_DEP_3) | instskip(SKIP_3) | instid1(VALU_DEP_2)
	v_and_b32_e32 v63, v63, v66
	ds_load_b32 v62, v67 offset:32
	; wave barrier
	v_and_b32_e32 v65, v63, v64
	v_add_nc_u32_e32 v64, 32, v67
	v_mbcnt_lo_u32_b32 v63, v65, 0
	v_cmp_ne_u32_e64 s12, 0, v65
	s_delay_alu instid0(VALU_DEP_2) | instskip(NEXT) | instid1(VALU_DEP_2)
	v_cmp_eq_u32_e32 vcc_lo, 0, v63
	s_and_b32 s20, vcc_lo, s12
	s_delay_alu instid0(SALU_CYCLE_1)
	s_and_saveexec_b32 s12, s20
	s_cbranch_execz .LBB74_22
; %bb.21:                               ;   in Loop: Header=BB74_4 Depth=2
	s_waitcnt lgkmcnt(0)
	v_bcnt_u32_b32 v65, v65, v62
	ds_store_b32 v64, v65
.LBB74_22:                              ;   in Loop: Header=BB74_4 Depth=2
	s_or_b32 exec_lo, exec_lo, s12
	v_lshlrev_b32_e32 v65, s17, v22
	; wave barrier
	s_delay_alu instid0(VALU_DEP_1) | instskip(SKIP_2) | instid1(VALU_DEP_3)
	v_bfe_u32 v66, v65, 28, 1
	v_lshrrev_b32_e32 v67, 28, v65
	v_not_b32_e32 v71, v65
	v_add_co_u32 v66, s12, v66, -1
	s_delay_alu instid0(VALU_DEP_1) | instskip(NEXT) | instid1(VALU_DEP_4)
	v_cndmask_b32_e64 v68, 0, 1, s12
	v_lshlrev_b32_e32 v69, 30, v67
	v_lshlrev_b32_e32 v70, 29, v67
	s_delay_alu instid0(VALU_DEP_3) | instskip(NEXT) | instid1(VALU_DEP_3)
	v_cmp_ne_u32_e32 vcc_lo, 0, v68
	v_not_b32_e32 v68, v69
	v_cmp_gt_i32_e64 s12, 0, v69
	s_delay_alu instid0(VALU_DEP_4) | instskip(SKIP_1) | instid1(VALU_DEP_4)
	v_not_b32_e32 v69, v70
	v_xor_b32_e32 v66, vcc_lo, v66
	v_ashrrev_i32_e32 v68, 31, v68
	v_cmp_gt_i32_e32 vcc_lo, 0, v70
	s_delay_alu instid0(VALU_DEP_4) | instskip(NEXT) | instid1(VALU_DEP_4)
	v_ashrrev_i32_e32 v69, 31, v69
	v_and_b32_e32 v66, exec_lo, v66
	s_delay_alu instid0(VALU_DEP_4)
	v_xor_b32_e32 v68, s12, v68
	v_cmp_gt_i32_e64 s12, 0, v65
	v_mul_u32_u24_e32 v65, 9, v67
	v_ashrrev_i32_e32 v67, 31, v71
	v_xor_b32_e32 v69, vcc_lo, v69
	v_and_b32_e32 v66, v66, v68
	s_delay_alu instid0(VALU_DEP_4) | instskip(NEXT) | instid1(VALU_DEP_4)
	v_add_lshl_u32 v70, v65, v6, 2
	v_xor_b32_e32 v67, s12, v67
	s_delay_alu instid0(VALU_DEP_3) | instskip(SKIP_3) | instid1(VALU_DEP_2)
	v_and_b32_e32 v66, v66, v69
	ds_load_b32 v65, v70 offset:32
	; wave barrier
	v_and_b32_e32 v68, v66, v67
	v_add_nc_u32_e32 v67, 32, v70
	v_mbcnt_lo_u32_b32 v66, v68, 0
	v_cmp_ne_u32_e64 s12, 0, v68
	s_delay_alu instid0(VALU_DEP_2) | instskip(NEXT) | instid1(VALU_DEP_2)
	v_cmp_eq_u32_e32 vcc_lo, 0, v66
	s_and_b32 s20, vcc_lo, s12
	s_delay_alu instid0(SALU_CYCLE_1)
	s_and_saveexec_b32 s12, s20
	s_cbranch_execz .LBB74_24
; %bb.23:                               ;   in Loop: Header=BB74_4 Depth=2
	s_waitcnt lgkmcnt(0)
	v_bcnt_u32_b32 v68, v68, v65
	ds_store_b32 v67, v68
.LBB74_24:                              ;   in Loop: Header=BB74_4 Depth=2
	s_or_b32 exec_lo, exec_lo, s12
	v_lshlrev_b32_e32 v68, s17, v23
	; wave barrier
	s_delay_alu instid0(VALU_DEP_1) | instskip(SKIP_2) | instid1(VALU_DEP_3)
	v_bfe_u32 v69, v68, 28, 1
	v_lshrrev_b32_e32 v70, 28, v68
	v_not_b32_e32 v74, v68
	v_add_co_u32 v69, s12, v69, -1
	s_delay_alu instid0(VALU_DEP_1) | instskip(NEXT) | instid1(VALU_DEP_4)
	v_cndmask_b32_e64 v71, 0, 1, s12
	v_lshlrev_b32_e32 v72, 30, v70
	v_lshlrev_b32_e32 v73, 29, v70
	s_delay_alu instid0(VALU_DEP_3) | instskip(NEXT) | instid1(VALU_DEP_3)
	v_cmp_ne_u32_e32 vcc_lo, 0, v71
	v_not_b32_e32 v71, v72
	v_cmp_gt_i32_e64 s12, 0, v72
	s_delay_alu instid0(VALU_DEP_4) | instskip(SKIP_1) | instid1(VALU_DEP_4)
	v_not_b32_e32 v72, v73
	v_xor_b32_e32 v69, vcc_lo, v69
	v_ashrrev_i32_e32 v71, 31, v71
	v_cmp_gt_i32_e32 vcc_lo, 0, v73
	s_delay_alu instid0(VALU_DEP_4) | instskip(NEXT) | instid1(VALU_DEP_4)
	v_ashrrev_i32_e32 v72, 31, v72
	v_and_b32_e32 v69, exec_lo, v69
	s_delay_alu instid0(VALU_DEP_4)
	v_xor_b32_e32 v71, s12, v71
	v_cmp_gt_i32_e64 s12, 0, v68
	v_mul_u32_u24_e32 v68, 9, v70
	v_ashrrev_i32_e32 v70, 31, v74
	v_xor_b32_e32 v72, vcc_lo, v72
	v_and_b32_e32 v69, v69, v71
	s_delay_alu instid0(VALU_DEP_4) | instskip(NEXT) | instid1(VALU_DEP_4)
	v_add_lshl_u32 v73, v68, v6, 2
	v_xor_b32_e32 v70, s12, v70
	s_delay_alu instid0(VALU_DEP_3) | instskip(SKIP_3) | instid1(VALU_DEP_2)
	v_and_b32_e32 v69, v69, v72
	ds_load_b32 v68, v73 offset:32
	; wave barrier
	v_and_b32_e32 v71, v69, v70
	v_add_nc_u32_e32 v70, 32, v73
	v_mbcnt_lo_u32_b32 v69, v71, 0
	v_cmp_ne_u32_e64 s12, 0, v71
	s_delay_alu instid0(VALU_DEP_2) | instskip(NEXT) | instid1(VALU_DEP_2)
	v_cmp_eq_u32_e32 vcc_lo, 0, v69
	s_and_b32 s20, vcc_lo, s12
	s_delay_alu instid0(SALU_CYCLE_1)
	s_and_saveexec_b32 s12, s20
	s_cbranch_execz .LBB74_26
; %bb.25:                               ;   in Loop: Header=BB74_4 Depth=2
	s_waitcnt lgkmcnt(0)
	v_bcnt_u32_b32 v71, v71, v68
	ds_store_b32 v70, v71
.LBB74_26:                              ;   in Loop: Header=BB74_4 Depth=2
	s_or_b32 exec_lo, exec_lo, s12
	v_lshlrev_b32_e32 v71, s17, v9
	; wave barrier
	s_delay_alu instid0(VALU_DEP_1) | instskip(SKIP_2) | instid1(VALU_DEP_3)
	v_bfe_u32 v72, v71, 28, 1
	v_lshrrev_b32_e32 v73, 28, v71
	v_not_b32_e32 v77, v71
	v_add_co_u32 v72, s12, v72, -1
	s_delay_alu instid0(VALU_DEP_1) | instskip(NEXT) | instid1(VALU_DEP_4)
	v_cndmask_b32_e64 v74, 0, 1, s12
	v_lshlrev_b32_e32 v75, 30, v73
	v_lshlrev_b32_e32 v76, 29, v73
	s_delay_alu instid0(VALU_DEP_3) | instskip(NEXT) | instid1(VALU_DEP_3)
	v_cmp_ne_u32_e32 vcc_lo, 0, v74
	v_not_b32_e32 v74, v75
	v_cmp_gt_i32_e64 s12, 0, v75
	s_delay_alu instid0(VALU_DEP_4) | instskip(SKIP_1) | instid1(VALU_DEP_4)
	v_not_b32_e32 v75, v76
	v_xor_b32_e32 v72, vcc_lo, v72
	v_ashrrev_i32_e32 v74, 31, v74
	v_cmp_gt_i32_e32 vcc_lo, 0, v76
	s_delay_alu instid0(VALU_DEP_4) | instskip(NEXT) | instid1(VALU_DEP_4)
	v_ashrrev_i32_e32 v75, 31, v75
	v_and_b32_e32 v72, exec_lo, v72
	s_delay_alu instid0(VALU_DEP_4)
	v_xor_b32_e32 v74, s12, v74
	v_cmp_gt_i32_e64 s12, 0, v71
	v_mul_u32_u24_e32 v71, 9, v73
	v_ashrrev_i32_e32 v73, 31, v77
	v_xor_b32_e32 v75, vcc_lo, v75
	v_and_b32_e32 v72, v72, v74
	s_delay_alu instid0(VALU_DEP_4) | instskip(NEXT) | instid1(VALU_DEP_4)
	v_add_lshl_u32 v76, v71, v6, 2
	v_xor_b32_e32 v73, s12, v73
	s_delay_alu instid0(VALU_DEP_3) | instskip(SKIP_3) | instid1(VALU_DEP_2)
	v_and_b32_e32 v72, v72, v75
	ds_load_b32 v71, v76 offset:32
	; wave barrier
	v_and_b32_e32 v74, v72, v73
	v_add_nc_u32_e32 v73, 32, v76
	v_mbcnt_lo_u32_b32 v72, v74, 0
	v_cmp_ne_u32_e64 s12, 0, v74
	s_delay_alu instid0(VALU_DEP_2) | instskip(NEXT) | instid1(VALU_DEP_2)
	v_cmp_eq_u32_e32 vcc_lo, 0, v72
	s_and_b32 s20, vcc_lo, s12
	s_delay_alu instid0(SALU_CYCLE_1)
	s_and_saveexec_b32 s12, s20
	s_cbranch_execz .LBB74_28
; %bb.27:                               ;   in Loop: Header=BB74_4 Depth=2
	s_waitcnt lgkmcnt(0)
	v_bcnt_u32_b32 v74, v74, v71
	ds_store_b32 v73, v74
.LBB74_28:                              ;   in Loop: Header=BB74_4 Depth=2
	s_or_b32 exec_lo, exec_lo, s12
	v_lshlrev_b32_e32 v74, s17, v24
	; wave barrier
	s_delay_alu instid0(VALU_DEP_1) | instskip(SKIP_2) | instid1(VALU_DEP_3)
	v_bfe_u32 v75, v74, 28, 1
	v_lshrrev_b32_e32 v76, 28, v74
	v_not_b32_e32 v80, v74
	v_add_co_u32 v75, s12, v75, -1
	s_delay_alu instid0(VALU_DEP_1) | instskip(NEXT) | instid1(VALU_DEP_4)
	v_cndmask_b32_e64 v77, 0, 1, s12
	v_lshlrev_b32_e32 v78, 30, v76
	v_lshlrev_b32_e32 v79, 29, v76
	s_delay_alu instid0(VALU_DEP_3) | instskip(NEXT) | instid1(VALU_DEP_3)
	v_cmp_ne_u32_e32 vcc_lo, 0, v77
	v_not_b32_e32 v77, v78
	v_cmp_gt_i32_e64 s12, 0, v78
	s_delay_alu instid0(VALU_DEP_4) | instskip(SKIP_1) | instid1(VALU_DEP_4)
	v_not_b32_e32 v78, v79
	v_xor_b32_e32 v75, vcc_lo, v75
	v_ashrrev_i32_e32 v77, 31, v77
	v_cmp_gt_i32_e32 vcc_lo, 0, v79
	s_delay_alu instid0(VALU_DEP_4) | instskip(NEXT) | instid1(VALU_DEP_4)
	v_ashrrev_i32_e32 v78, 31, v78
	v_and_b32_e32 v75, exec_lo, v75
	s_delay_alu instid0(VALU_DEP_4)
	v_xor_b32_e32 v77, s12, v77
	v_cmp_gt_i32_e64 s12, 0, v74
	v_mul_u32_u24_e32 v74, 9, v76
	v_ashrrev_i32_e32 v76, 31, v80
	v_xor_b32_e32 v78, vcc_lo, v78
	v_and_b32_e32 v75, v75, v77
	s_delay_alu instid0(VALU_DEP_4) | instskip(NEXT) | instid1(VALU_DEP_4)
	v_add_lshl_u32 v79, v74, v6, 2
	v_xor_b32_e32 v76, s12, v76
	s_delay_alu instid0(VALU_DEP_3) | instskip(SKIP_3) | instid1(VALU_DEP_2)
	v_and_b32_e32 v75, v75, v78
	ds_load_b32 v74, v79 offset:32
	; wave barrier
	v_and_b32_e32 v77, v75, v76
	v_add_nc_u32_e32 v76, 32, v79
	v_mbcnt_lo_u32_b32 v75, v77, 0
	v_cmp_ne_u32_e64 s12, 0, v77
	s_delay_alu instid0(VALU_DEP_2) | instskip(NEXT) | instid1(VALU_DEP_2)
	v_cmp_eq_u32_e32 vcc_lo, 0, v75
	s_and_b32 s20, vcc_lo, s12
	s_delay_alu instid0(SALU_CYCLE_1)
	s_and_saveexec_b32 s12, s20
	s_cbranch_execz .LBB74_30
; %bb.29:                               ;   in Loop: Header=BB74_4 Depth=2
	s_waitcnt lgkmcnt(0)
	v_bcnt_u32_b32 v77, v77, v74
	ds_store_b32 v76, v77
.LBB74_30:                              ;   in Loop: Header=BB74_4 Depth=2
	s_or_b32 exec_lo, exec_lo, s12
	v_lshlrev_b32_e32 v77, s17, v25
	; wave barrier
	s_delay_alu instid0(VALU_DEP_1) | instskip(SKIP_2) | instid1(VALU_DEP_3)
	v_bfe_u32 v78, v77, 28, 1
	v_lshrrev_b32_e32 v79, 28, v77
	v_not_b32_e32 v83, v77
	v_add_co_u32 v78, s12, v78, -1
	s_delay_alu instid0(VALU_DEP_1) | instskip(NEXT) | instid1(VALU_DEP_4)
	v_cndmask_b32_e64 v80, 0, 1, s12
	v_lshlrev_b32_e32 v81, 30, v79
	v_lshlrev_b32_e32 v82, 29, v79
	s_delay_alu instid0(VALU_DEP_3) | instskip(NEXT) | instid1(VALU_DEP_3)
	v_cmp_ne_u32_e32 vcc_lo, 0, v80
	v_not_b32_e32 v80, v81
	v_cmp_gt_i32_e64 s12, 0, v81
	s_delay_alu instid0(VALU_DEP_4) | instskip(SKIP_1) | instid1(VALU_DEP_4)
	v_not_b32_e32 v81, v82
	v_xor_b32_e32 v78, vcc_lo, v78
	v_ashrrev_i32_e32 v80, 31, v80
	v_cmp_gt_i32_e32 vcc_lo, 0, v82
	s_delay_alu instid0(VALU_DEP_4) | instskip(NEXT) | instid1(VALU_DEP_4)
	v_ashrrev_i32_e32 v81, 31, v81
	v_and_b32_e32 v78, exec_lo, v78
	s_delay_alu instid0(VALU_DEP_4)
	v_xor_b32_e32 v80, s12, v80
	v_cmp_gt_i32_e64 s12, 0, v77
	v_mul_u32_u24_e32 v77, 9, v79
	v_ashrrev_i32_e32 v79, 31, v83
	v_xor_b32_e32 v81, vcc_lo, v81
	v_and_b32_e32 v78, v78, v80
	s_delay_alu instid0(VALU_DEP_4) | instskip(NEXT) | instid1(VALU_DEP_4)
	v_add_lshl_u32 v82, v77, v6, 2
	v_xor_b32_e32 v79, s12, v79
	s_delay_alu instid0(VALU_DEP_3) | instskip(SKIP_3) | instid1(VALU_DEP_2)
	v_and_b32_e32 v78, v78, v81
	ds_load_b32 v77, v82 offset:32
	; wave barrier
	v_and_b32_e32 v80, v78, v79
	v_add_nc_u32_e32 v79, 32, v82
	v_mbcnt_lo_u32_b32 v78, v80, 0
	v_cmp_ne_u32_e64 s12, 0, v80
	s_delay_alu instid0(VALU_DEP_2) | instskip(NEXT) | instid1(VALU_DEP_2)
	v_cmp_eq_u32_e32 vcc_lo, 0, v78
	s_and_b32 s20, vcc_lo, s12
	s_delay_alu instid0(SALU_CYCLE_1)
	s_and_saveexec_b32 s12, s20
	s_cbranch_execz .LBB74_32
; %bb.31:                               ;   in Loop: Header=BB74_4 Depth=2
	s_waitcnt lgkmcnt(0)
	v_bcnt_u32_b32 v80, v80, v77
	ds_store_b32 v79, v80
.LBB74_32:                              ;   in Loop: Header=BB74_4 Depth=2
	s_or_b32 exec_lo, exec_lo, s12
	v_lshlrev_b32_e32 v80, s17, v26
	; wave barrier
	s_delay_alu instid0(VALU_DEP_1) | instskip(SKIP_2) | instid1(VALU_DEP_3)
	v_bfe_u32 v81, v80, 28, 1
	v_lshrrev_b32_e32 v82, 28, v80
	v_not_b32_e32 v86, v80
	v_add_co_u32 v81, s12, v81, -1
	s_delay_alu instid0(VALU_DEP_1) | instskip(NEXT) | instid1(VALU_DEP_4)
	v_cndmask_b32_e64 v83, 0, 1, s12
	v_lshlrev_b32_e32 v84, 30, v82
	v_lshlrev_b32_e32 v85, 29, v82
	s_delay_alu instid0(VALU_DEP_3) | instskip(NEXT) | instid1(VALU_DEP_3)
	v_cmp_ne_u32_e32 vcc_lo, 0, v83
	v_not_b32_e32 v83, v84
	v_cmp_gt_i32_e64 s12, 0, v84
	s_delay_alu instid0(VALU_DEP_4) | instskip(SKIP_1) | instid1(VALU_DEP_4)
	v_not_b32_e32 v84, v85
	v_xor_b32_e32 v81, vcc_lo, v81
	v_ashrrev_i32_e32 v83, 31, v83
	v_cmp_gt_i32_e32 vcc_lo, 0, v85
	s_delay_alu instid0(VALU_DEP_4) | instskip(NEXT) | instid1(VALU_DEP_4)
	v_ashrrev_i32_e32 v84, 31, v84
	v_and_b32_e32 v81, exec_lo, v81
	s_delay_alu instid0(VALU_DEP_4)
	v_xor_b32_e32 v83, s12, v83
	v_cmp_gt_i32_e64 s12, 0, v80
	v_mul_u32_u24_e32 v80, 9, v82
	v_ashrrev_i32_e32 v82, 31, v86
	v_xor_b32_e32 v84, vcc_lo, v84
	v_and_b32_e32 v81, v81, v83
	s_delay_alu instid0(VALU_DEP_4) | instskip(NEXT) | instid1(VALU_DEP_4)
	v_add_lshl_u32 v85, v80, v6, 2
	v_xor_b32_e32 v82, s12, v82
	s_delay_alu instid0(VALU_DEP_3) | instskip(SKIP_3) | instid1(VALU_DEP_2)
	v_and_b32_e32 v81, v81, v84
	ds_load_b32 v80, v85 offset:32
	; wave barrier
	v_and_b32_e32 v83, v81, v82
	v_add_nc_u32_e32 v82, 32, v85
	v_mbcnt_lo_u32_b32 v81, v83, 0
	v_cmp_ne_u32_e64 s12, 0, v83
	s_delay_alu instid0(VALU_DEP_2) | instskip(NEXT) | instid1(VALU_DEP_2)
	v_cmp_eq_u32_e32 vcc_lo, 0, v81
	s_and_b32 s20, vcc_lo, s12
	s_delay_alu instid0(SALU_CYCLE_1)
	s_and_saveexec_b32 s12, s20
	s_cbranch_execz .LBB74_34
; %bb.33:                               ;   in Loop: Header=BB74_4 Depth=2
	s_waitcnt lgkmcnt(0)
	v_bcnt_u32_b32 v83, v83, v80
	ds_store_b32 v82, v83
.LBB74_34:                              ;   in Loop: Header=BB74_4 Depth=2
	s_or_b32 exec_lo, exec_lo, s12
	v_lshlrev_b32_e32 v83, s17, v10
	; wave barrier
	s_delay_alu instid0(VALU_DEP_1) | instskip(SKIP_2) | instid1(VALU_DEP_3)
	v_bfe_u32 v84, v83, 28, 1
	v_lshrrev_b32_e32 v85, 28, v83
	v_not_b32_e32 v89, v83
	v_add_co_u32 v84, s12, v84, -1
	s_delay_alu instid0(VALU_DEP_1) | instskip(NEXT) | instid1(VALU_DEP_4)
	v_cndmask_b32_e64 v86, 0, 1, s12
	v_lshlrev_b32_e32 v87, 30, v85
	v_lshlrev_b32_e32 v88, 29, v85
	s_delay_alu instid0(VALU_DEP_3) | instskip(NEXT) | instid1(VALU_DEP_3)
	v_cmp_ne_u32_e32 vcc_lo, 0, v86
	v_not_b32_e32 v86, v87
	v_cmp_gt_i32_e64 s12, 0, v87
	s_delay_alu instid0(VALU_DEP_4) | instskip(SKIP_1) | instid1(VALU_DEP_4)
	v_not_b32_e32 v87, v88
	v_xor_b32_e32 v84, vcc_lo, v84
	v_ashrrev_i32_e32 v86, 31, v86
	v_cmp_gt_i32_e32 vcc_lo, 0, v88
	s_delay_alu instid0(VALU_DEP_4) | instskip(NEXT) | instid1(VALU_DEP_4)
	v_ashrrev_i32_e32 v87, 31, v87
	v_and_b32_e32 v84, exec_lo, v84
	s_delay_alu instid0(VALU_DEP_4)
	v_xor_b32_e32 v86, s12, v86
	v_cmp_gt_i32_e64 s12, 0, v83
	v_mul_u32_u24_e32 v83, 9, v85
	v_ashrrev_i32_e32 v85, 31, v89
	v_xor_b32_e32 v87, vcc_lo, v87
	v_and_b32_e32 v84, v84, v86
	s_delay_alu instid0(VALU_DEP_4) | instskip(NEXT) | instid1(VALU_DEP_4)
	v_add_lshl_u32 v88, v83, v6, 2
	v_xor_b32_e32 v85, s12, v85
	s_delay_alu instid0(VALU_DEP_3) | instskip(SKIP_3) | instid1(VALU_DEP_2)
	v_and_b32_e32 v84, v84, v87
	ds_load_b32 v83, v88 offset:32
	; wave barrier
	v_and_b32_e32 v86, v84, v85
	v_add_nc_u32_e32 v85, 32, v88
	v_mbcnt_lo_u32_b32 v84, v86, 0
	v_cmp_ne_u32_e64 s12, 0, v86
	s_delay_alu instid0(VALU_DEP_2) | instskip(NEXT) | instid1(VALU_DEP_2)
	v_cmp_eq_u32_e32 vcc_lo, 0, v84
	s_and_b32 s20, vcc_lo, s12
	s_delay_alu instid0(SALU_CYCLE_1)
	s_and_saveexec_b32 s12, s20
	s_cbranch_execz .LBB74_36
; %bb.35:                               ;   in Loop: Header=BB74_4 Depth=2
	s_waitcnt lgkmcnt(0)
	v_bcnt_u32_b32 v86, v86, v83
	ds_store_b32 v85, v86
.LBB74_36:                              ;   in Loop: Header=BB74_4 Depth=2
	s_or_b32 exec_lo, exec_lo, s12
	v_lshlrev_b32_e32 v86, s17, v27
	; wave barrier
	s_delay_alu instid0(VALU_DEP_1) | instskip(SKIP_2) | instid1(VALU_DEP_3)
	v_bfe_u32 v87, v86, 28, 1
	v_lshrrev_b32_e32 v88, 28, v86
	v_not_b32_e32 v92, v86
	v_add_co_u32 v87, s12, v87, -1
	s_delay_alu instid0(VALU_DEP_1) | instskip(NEXT) | instid1(VALU_DEP_4)
	v_cndmask_b32_e64 v89, 0, 1, s12
	v_lshlrev_b32_e32 v90, 30, v88
	v_lshlrev_b32_e32 v91, 29, v88
	s_delay_alu instid0(VALU_DEP_3) | instskip(NEXT) | instid1(VALU_DEP_3)
	v_cmp_ne_u32_e32 vcc_lo, 0, v89
	v_not_b32_e32 v89, v90
	v_cmp_gt_i32_e64 s12, 0, v90
	s_delay_alu instid0(VALU_DEP_4) | instskip(SKIP_1) | instid1(VALU_DEP_4)
	v_not_b32_e32 v90, v91
	v_xor_b32_e32 v87, vcc_lo, v87
	v_ashrrev_i32_e32 v89, 31, v89
	v_cmp_gt_i32_e32 vcc_lo, 0, v91
	s_delay_alu instid0(VALU_DEP_4) | instskip(NEXT) | instid1(VALU_DEP_4)
	v_ashrrev_i32_e32 v90, 31, v90
	v_and_b32_e32 v87, exec_lo, v87
	s_delay_alu instid0(VALU_DEP_4)
	v_xor_b32_e32 v89, s12, v89
	v_cmp_gt_i32_e64 s12, 0, v86
	v_mul_u32_u24_e32 v86, 9, v88
	v_ashrrev_i32_e32 v88, 31, v92
	v_xor_b32_e32 v90, vcc_lo, v90
	v_and_b32_e32 v87, v87, v89
	s_delay_alu instid0(VALU_DEP_4) | instskip(NEXT) | instid1(VALU_DEP_4)
	v_add_lshl_u32 v91, v86, v6, 2
	v_xor_b32_e32 v88, s12, v88
	s_delay_alu instid0(VALU_DEP_3) | instskip(SKIP_3) | instid1(VALU_DEP_2)
	v_and_b32_e32 v87, v87, v90
	ds_load_b32 v86, v91 offset:32
	; wave barrier
	v_and_b32_e32 v89, v87, v88
	v_add_nc_u32_e32 v88, 32, v91
	v_mbcnt_lo_u32_b32 v87, v89, 0
	v_cmp_ne_u32_e64 s12, 0, v89
	s_delay_alu instid0(VALU_DEP_2) | instskip(NEXT) | instid1(VALU_DEP_2)
	v_cmp_eq_u32_e32 vcc_lo, 0, v87
	s_and_b32 s20, vcc_lo, s12
	s_delay_alu instid0(SALU_CYCLE_1)
	s_and_saveexec_b32 s12, s20
	s_cbranch_execz .LBB74_38
; %bb.37:                               ;   in Loop: Header=BB74_4 Depth=2
	s_waitcnt lgkmcnt(0)
	v_bcnt_u32_b32 v89, v89, v86
	ds_store_b32 v88, v89
.LBB74_38:                              ;   in Loop: Header=BB74_4 Depth=2
	s_or_b32 exec_lo, exec_lo, s12
	v_lshlrev_b32_e32 v89, s17, v28
	; wave barrier
	s_delay_alu instid0(VALU_DEP_1) | instskip(SKIP_2) | instid1(VALU_DEP_3)
	v_bfe_u32 v90, v89, 28, 1
	v_lshrrev_b32_e32 v91, 28, v89
	v_not_b32_e32 v95, v89
	v_add_co_u32 v90, s12, v90, -1
	s_delay_alu instid0(VALU_DEP_1) | instskip(NEXT) | instid1(VALU_DEP_4)
	v_cndmask_b32_e64 v92, 0, 1, s12
	v_lshlrev_b32_e32 v93, 30, v91
	v_lshlrev_b32_e32 v94, 29, v91
	s_delay_alu instid0(VALU_DEP_3) | instskip(NEXT) | instid1(VALU_DEP_3)
	v_cmp_ne_u32_e32 vcc_lo, 0, v92
	v_not_b32_e32 v92, v93
	v_cmp_gt_i32_e64 s12, 0, v93
	s_delay_alu instid0(VALU_DEP_4) | instskip(SKIP_1) | instid1(VALU_DEP_4)
	v_not_b32_e32 v93, v94
	v_xor_b32_e32 v90, vcc_lo, v90
	v_ashrrev_i32_e32 v92, 31, v92
	v_cmp_gt_i32_e32 vcc_lo, 0, v94
	s_delay_alu instid0(VALU_DEP_4) | instskip(NEXT) | instid1(VALU_DEP_4)
	v_ashrrev_i32_e32 v93, 31, v93
	v_and_b32_e32 v90, exec_lo, v90
	s_delay_alu instid0(VALU_DEP_4)
	v_xor_b32_e32 v92, s12, v92
	v_cmp_gt_i32_e64 s12, 0, v89
	v_mul_u32_u24_e32 v89, 9, v91
	v_ashrrev_i32_e32 v91, 31, v95
	v_xor_b32_e32 v93, vcc_lo, v93
	v_and_b32_e32 v90, v90, v92
	s_delay_alu instid0(VALU_DEP_4) | instskip(NEXT) | instid1(VALU_DEP_4)
	v_add_lshl_u32 v94, v89, v6, 2
	v_xor_b32_e32 v91, s12, v91
	s_delay_alu instid0(VALU_DEP_3) | instskip(SKIP_3) | instid1(VALU_DEP_2)
	v_and_b32_e32 v90, v90, v93
	ds_load_b32 v89, v94 offset:32
	; wave barrier
	v_and_b32_e32 v92, v90, v91
	v_add_nc_u32_e32 v91, 32, v94
	v_mbcnt_lo_u32_b32 v90, v92, 0
	v_cmp_ne_u32_e64 s12, 0, v92
	s_delay_alu instid0(VALU_DEP_2) | instskip(NEXT) | instid1(VALU_DEP_2)
	v_cmp_eq_u32_e32 vcc_lo, 0, v90
	s_and_b32 s20, vcc_lo, s12
	s_delay_alu instid0(SALU_CYCLE_1)
	s_and_saveexec_b32 s12, s20
	s_cbranch_execz .LBB74_40
; %bb.39:                               ;   in Loop: Header=BB74_4 Depth=2
	s_waitcnt lgkmcnt(0)
	v_bcnt_u32_b32 v92, v92, v89
	ds_store_b32 v91, v92
.LBB74_40:                              ;   in Loop: Header=BB74_4 Depth=2
	s_or_b32 exec_lo, exec_lo, s12
	v_lshlrev_b32_e32 v92, s17, v29
	; wave barrier
	s_delay_alu instid0(VALU_DEP_1) | instskip(SKIP_2) | instid1(VALU_DEP_3)
	v_bfe_u32 v93, v92, 28, 1
	v_lshrrev_b32_e32 v94, 28, v92
	v_not_b32_e32 v98, v92
	v_add_co_u32 v93, s12, v93, -1
	s_delay_alu instid0(VALU_DEP_1) | instskip(NEXT) | instid1(VALU_DEP_4)
	v_cndmask_b32_e64 v95, 0, 1, s12
	v_lshlrev_b32_e32 v96, 30, v94
	v_lshlrev_b32_e32 v97, 29, v94
	s_delay_alu instid0(VALU_DEP_3) | instskip(NEXT) | instid1(VALU_DEP_3)
	v_cmp_ne_u32_e32 vcc_lo, 0, v95
	v_not_b32_e32 v95, v96
	v_cmp_gt_i32_e64 s12, 0, v96
	s_delay_alu instid0(VALU_DEP_4) | instskip(SKIP_1) | instid1(VALU_DEP_4)
	v_not_b32_e32 v96, v97
	v_xor_b32_e32 v93, vcc_lo, v93
	v_ashrrev_i32_e32 v95, 31, v95
	v_cmp_gt_i32_e32 vcc_lo, 0, v97
	s_delay_alu instid0(VALU_DEP_4) | instskip(NEXT) | instid1(VALU_DEP_4)
	v_ashrrev_i32_e32 v96, 31, v96
	v_and_b32_e32 v93, exec_lo, v93
	s_delay_alu instid0(VALU_DEP_4)
	v_xor_b32_e32 v95, s12, v95
	v_cmp_gt_i32_e64 s12, 0, v92
	v_mul_u32_u24_e32 v92, 9, v94
	v_ashrrev_i32_e32 v94, 31, v98
	v_xor_b32_e32 v96, vcc_lo, v96
	v_and_b32_e32 v93, v93, v95
	s_delay_alu instid0(VALU_DEP_4) | instskip(NEXT) | instid1(VALU_DEP_4)
	v_add_lshl_u32 v97, v92, v6, 2
	v_xor_b32_e32 v94, s12, v94
	s_delay_alu instid0(VALU_DEP_3) | instskip(SKIP_3) | instid1(VALU_DEP_2)
	v_and_b32_e32 v93, v93, v96
	ds_load_b32 v92, v97 offset:32
	; wave barrier
	v_and_b32_e32 v95, v93, v94
	v_add_nc_u32_e32 v94, 32, v97
	v_mbcnt_lo_u32_b32 v93, v95, 0
	v_cmp_ne_u32_e64 s12, 0, v95
	s_delay_alu instid0(VALU_DEP_2) | instskip(NEXT) | instid1(VALU_DEP_2)
	v_cmp_eq_u32_e32 vcc_lo, 0, v93
	s_and_b32 s20, vcc_lo, s12
	s_delay_alu instid0(SALU_CYCLE_1)
	s_and_saveexec_b32 s12, s20
	s_cbranch_execz .LBB74_42
; %bb.41:                               ;   in Loop: Header=BB74_4 Depth=2
	s_waitcnt lgkmcnt(0)
	v_bcnt_u32_b32 v95, v95, v92
	ds_store_b32 v94, v95
.LBB74_42:                              ;   in Loop: Header=BB74_4 Depth=2
	s_or_b32 exec_lo, exec_lo, s12
	v_lshlrev_b32_e32 v95, s17, v11
	; wave barrier
	s_delay_alu instid0(VALU_DEP_1) | instskip(SKIP_2) | instid1(VALU_DEP_3)
	v_bfe_u32 v96, v95, 28, 1
	v_lshrrev_b32_e32 v97, 28, v95
	v_not_b32_e32 v101, v95
	v_add_co_u32 v96, s12, v96, -1
	s_delay_alu instid0(VALU_DEP_1) | instskip(NEXT) | instid1(VALU_DEP_4)
	v_cndmask_b32_e64 v98, 0, 1, s12
	v_lshlrev_b32_e32 v99, 30, v97
	v_lshlrev_b32_e32 v100, 29, v97
	s_delay_alu instid0(VALU_DEP_3) | instskip(NEXT) | instid1(VALU_DEP_3)
	v_cmp_ne_u32_e32 vcc_lo, 0, v98
	v_not_b32_e32 v98, v99
	v_cmp_gt_i32_e64 s12, 0, v99
	s_delay_alu instid0(VALU_DEP_4) | instskip(SKIP_1) | instid1(VALU_DEP_4)
	v_not_b32_e32 v99, v100
	v_xor_b32_e32 v96, vcc_lo, v96
	v_ashrrev_i32_e32 v98, 31, v98
	v_cmp_gt_i32_e32 vcc_lo, 0, v100
	s_delay_alu instid0(VALU_DEP_4) | instskip(NEXT) | instid1(VALU_DEP_4)
	v_ashrrev_i32_e32 v99, 31, v99
	v_and_b32_e32 v96, exec_lo, v96
	s_delay_alu instid0(VALU_DEP_4)
	v_xor_b32_e32 v98, s12, v98
	v_cmp_gt_i32_e64 s12, 0, v95
	v_mul_u32_u24_e32 v95, 9, v97
	v_ashrrev_i32_e32 v97, 31, v101
	v_xor_b32_e32 v99, vcc_lo, v99
	v_and_b32_e32 v96, v96, v98
	s_delay_alu instid0(VALU_DEP_4) | instskip(NEXT) | instid1(VALU_DEP_4)
	v_add_lshl_u32 v100, v95, v6, 2
	v_xor_b32_e32 v97, s12, v97
	s_delay_alu instid0(VALU_DEP_3) | instskip(SKIP_3) | instid1(VALU_DEP_2)
	v_and_b32_e32 v96, v96, v99
	ds_load_b32 v95, v100 offset:32
	; wave barrier
	v_and_b32_e32 v98, v96, v97
	v_add_nc_u32_e32 v97, 32, v100
	v_mbcnt_lo_u32_b32 v96, v98, 0
	v_cmp_ne_u32_e64 s12, 0, v98
	s_delay_alu instid0(VALU_DEP_2) | instskip(NEXT) | instid1(VALU_DEP_2)
	v_cmp_eq_u32_e32 vcc_lo, 0, v96
	s_and_b32 s20, vcc_lo, s12
	s_delay_alu instid0(SALU_CYCLE_1)
	s_and_saveexec_b32 s12, s20
	s_cbranch_execz .LBB74_44
; %bb.43:                               ;   in Loop: Header=BB74_4 Depth=2
	s_waitcnt lgkmcnt(0)
	v_bcnt_u32_b32 v98, v98, v95
	ds_store_b32 v97, v98
.LBB74_44:                              ;   in Loop: Header=BB74_4 Depth=2
	s_or_b32 exec_lo, exec_lo, s12
	v_lshlrev_b32_e32 v98, s17, v30
	; wave barrier
	s_delay_alu instid0(VALU_DEP_1) | instskip(SKIP_2) | instid1(VALU_DEP_3)
	v_bfe_u32 v99, v98, 28, 1
	v_lshrrev_b32_e32 v100, 28, v98
	v_not_b32_e32 v104, v98
	v_add_co_u32 v99, s12, v99, -1
	s_delay_alu instid0(VALU_DEP_1) | instskip(NEXT) | instid1(VALU_DEP_4)
	v_cndmask_b32_e64 v101, 0, 1, s12
	v_lshlrev_b32_e32 v102, 30, v100
	v_lshlrev_b32_e32 v103, 29, v100
	s_delay_alu instid0(VALU_DEP_3) | instskip(NEXT) | instid1(VALU_DEP_3)
	v_cmp_ne_u32_e32 vcc_lo, 0, v101
	v_not_b32_e32 v101, v102
	v_cmp_gt_i32_e64 s12, 0, v102
	s_delay_alu instid0(VALU_DEP_4) | instskip(SKIP_1) | instid1(VALU_DEP_4)
	v_not_b32_e32 v102, v103
	v_xor_b32_e32 v99, vcc_lo, v99
	v_ashrrev_i32_e32 v101, 31, v101
	v_cmp_gt_i32_e32 vcc_lo, 0, v103
	s_delay_alu instid0(VALU_DEP_4) | instskip(NEXT) | instid1(VALU_DEP_4)
	v_ashrrev_i32_e32 v102, 31, v102
	v_and_b32_e32 v99, exec_lo, v99
	s_delay_alu instid0(VALU_DEP_4)
	v_xor_b32_e32 v101, s12, v101
	v_cmp_gt_i32_e64 s12, 0, v98
	v_mul_u32_u24_e32 v98, 9, v100
	v_ashrrev_i32_e32 v100, 31, v104
	v_xor_b32_e32 v102, vcc_lo, v102
	v_and_b32_e32 v99, v99, v101
	s_delay_alu instid0(VALU_DEP_4) | instskip(NEXT) | instid1(VALU_DEP_4)
	v_add_lshl_u32 v103, v98, v6, 2
	v_xor_b32_e32 v100, s12, v100
	s_delay_alu instid0(VALU_DEP_3) | instskip(SKIP_3) | instid1(VALU_DEP_2)
	v_and_b32_e32 v99, v99, v102
	ds_load_b32 v98, v103 offset:32
	; wave barrier
	v_and_b32_e32 v101, v99, v100
	v_add_nc_u32_e32 v100, 32, v103
	v_mbcnt_lo_u32_b32 v99, v101, 0
	v_cmp_ne_u32_e64 s12, 0, v101
	s_delay_alu instid0(VALU_DEP_2) | instskip(NEXT) | instid1(VALU_DEP_2)
	v_cmp_eq_u32_e32 vcc_lo, 0, v99
	s_and_b32 s20, vcc_lo, s12
	s_delay_alu instid0(SALU_CYCLE_1)
	s_and_saveexec_b32 s12, s20
	s_cbranch_execz .LBB74_46
; %bb.45:                               ;   in Loop: Header=BB74_4 Depth=2
	s_waitcnt lgkmcnt(0)
	v_bcnt_u32_b32 v101, v101, v98
	ds_store_b32 v100, v101
.LBB74_46:                              ;   in Loop: Header=BB74_4 Depth=2
	s_or_b32 exec_lo, exec_lo, s12
	v_lshlrev_b32_e32 v101, s17, v31
	; wave barrier
	s_delay_alu instid0(VALU_DEP_1) | instskip(SKIP_2) | instid1(VALU_DEP_3)
	v_bfe_u32 v102, v101, 28, 1
	v_lshrrev_b32_e32 v103, 28, v101
	v_not_b32_e32 v107, v101
	v_add_co_u32 v102, s12, v102, -1
	s_delay_alu instid0(VALU_DEP_1) | instskip(NEXT) | instid1(VALU_DEP_4)
	v_cndmask_b32_e64 v104, 0, 1, s12
	v_lshlrev_b32_e32 v105, 30, v103
	v_lshlrev_b32_e32 v106, 29, v103
	s_delay_alu instid0(VALU_DEP_3) | instskip(NEXT) | instid1(VALU_DEP_3)
	v_cmp_ne_u32_e32 vcc_lo, 0, v104
	v_not_b32_e32 v104, v105
	v_cmp_gt_i32_e64 s12, 0, v105
	s_delay_alu instid0(VALU_DEP_4) | instskip(SKIP_1) | instid1(VALU_DEP_4)
	v_not_b32_e32 v105, v106
	v_xor_b32_e32 v102, vcc_lo, v102
	v_ashrrev_i32_e32 v104, 31, v104
	v_cmp_gt_i32_e32 vcc_lo, 0, v106
	s_delay_alu instid0(VALU_DEP_4) | instskip(NEXT) | instid1(VALU_DEP_4)
	v_ashrrev_i32_e32 v105, 31, v105
	v_and_b32_e32 v102, exec_lo, v102
	s_delay_alu instid0(VALU_DEP_4)
	v_xor_b32_e32 v104, s12, v104
	v_cmp_gt_i32_e64 s12, 0, v101
	v_mul_u32_u24_e32 v101, 9, v103
	v_ashrrev_i32_e32 v103, 31, v107
	v_xor_b32_e32 v105, vcc_lo, v105
	v_and_b32_e32 v102, v102, v104
	s_delay_alu instid0(VALU_DEP_4) | instskip(NEXT) | instid1(VALU_DEP_4)
	v_add_lshl_u32 v106, v101, v6, 2
	v_xor_b32_e32 v103, s12, v103
	s_delay_alu instid0(VALU_DEP_3) | instskip(SKIP_3) | instid1(VALU_DEP_2)
	v_and_b32_e32 v102, v102, v105
	ds_load_b32 v101, v106 offset:32
	; wave barrier
	v_and_b32_e32 v104, v102, v103
	v_add_nc_u32_e32 v103, 32, v106
	v_mbcnt_lo_u32_b32 v102, v104, 0
	v_cmp_ne_u32_e64 s12, 0, v104
	s_delay_alu instid0(VALU_DEP_2) | instskip(NEXT) | instid1(VALU_DEP_2)
	v_cmp_eq_u32_e32 vcc_lo, 0, v102
	s_and_b32 s20, vcc_lo, s12
	s_delay_alu instid0(SALU_CYCLE_1)
	s_and_saveexec_b32 s12, s20
	s_cbranch_execz .LBB74_48
; %bb.47:                               ;   in Loop: Header=BB74_4 Depth=2
	s_waitcnt lgkmcnt(0)
	v_bcnt_u32_b32 v104, v104, v101
	ds_store_b32 v103, v104
.LBB74_48:                              ;   in Loop: Header=BB74_4 Depth=2
	s_or_b32 exec_lo, exec_lo, s12
	v_lshlrev_b32_e32 v104, s17, v32
	; wave barrier
	s_delay_alu instid0(VALU_DEP_1) | instskip(SKIP_2) | instid1(VALU_DEP_3)
	v_bfe_u32 v105, v104, 28, 1
	v_lshrrev_b32_e32 v106, 28, v104
	v_not_b32_e32 v110, v104
	v_add_co_u32 v105, s12, v105, -1
	s_delay_alu instid0(VALU_DEP_1) | instskip(NEXT) | instid1(VALU_DEP_4)
	v_cndmask_b32_e64 v107, 0, 1, s12
	v_lshlrev_b32_e32 v108, 30, v106
	v_lshlrev_b32_e32 v109, 29, v106
	s_delay_alu instid0(VALU_DEP_3) | instskip(NEXT) | instid1(VALU_DEP_3)
	v_cmp_ne_u32_e32 vcc_lo, 0, v107
	v_not_b32_e32 v107, v108
	v_cmp_gt_i32_e64 s12, 0, v108
	s_delay_alu instid0(VALU_DEP_4) | instskip(SKIP_1) | instid1(VALU_DEP_4)
	v_not_b32_e32 v108, v109
	v_xor_b32_e32 v105, vcc_lo, v105
	v_ashrrev_i32_e32 v107, 31, v107
	v_cmp_gt_i32_e32 vcc_lo, 0, v109
	s_delay_alu instid0(VALU_DEP_4) | instskip(NEXT) | instid1(VALU_DEP_4)
	v_ashrrev_i32_e32 v108, 31, v108
	v_and_b32_e32 v105, exec_lo, v105
	s_delay_alu instid0(VALU_DEP_4)
	v_xor_b32_e32 v107, s12, v107
	v_cmp_gt_i32_e64 s12, 0, v104
	v_mul_u32_u24_e32 v104, 9, v106
	v_ashrrev_i32_e32 v106, 31, v110
	v_xor_b32_e32 v108, vcc_lo, v108
	v_and_b32_e32 v105, v105, v107
	s_delay_alu instid0(VALU_DEP_4) | instskip(NEXT) | instid1(VALU_DEP_4)
	v_add_lshl_u32 v109, v104, v6, 2
	v_xor_b32_e32 v106, s12, v106
	s_delay_alu instid0(VALU_DEP_3) | instskip(SKIP_3) | instid1(VALU_DEP_2)
	v_and_b32_e32 v105, v105, v108
	ds_load_b32 v104, v109 offset:32
	; wave barrier
	v_and_b32_e32 v107, v105, v106
	v_add_nc_u32_e32 v106, 32, v109
	v_mbcnt_lo_u32_b32 v105, v107, 0
	v_cmp_ne_u32_e64 s12, 0, v107
	s_delay_alu instid0(VALU_DEP_2) | instskip(NEXT) | instid1(VALU_DEP_2)
	v_cmp_eq_u32_e32 vcc_lo, 0, v105
	s_and_b32 s20, vcc_lo, s12
	s_delay_alu instid0(SALU_CYCLE_1)
	s_and_saveexec_b32 s12, s20
	s_cbranch_execz .LBB74_50
; %bb.49:                               ;   in Loop: Header=BB74_4 Depth=2
	s_waitcnt lgkmcnt(0)
	v_bcnt_u32_b32 v107, v107, v104
	ds_store_b32 v106, v107
.LBB74_50:                              ;   in Loop: Header=BB74_4 Depth=2
	s_or_b32 exec_lo, exec_lo, s12
	v_lshlrev_b32_e32 v107, s17, v12
	; wave barrier
	s_delay_alu instid0(VALU_DEP_1) | instskip(SKIP_2) | instid1(VALU_DEP_3)
	v_bfe_u32 v108, v107, 28, 1
	v_lshrrev_b32_e32 v109, 28, v107
	v_not_b32_e32 v113, v107
	v_add_co_u32 v108, s12, v108, -1
	s_delay_alu instid0(VALU_DEP_1) | instskip(NEXT) | instid1(VALU_DEP_4)
	v_cndmask_b32_e64 v110, 0, 1, s12
	v_lshlrev_b32_e32 v111, 30, v109
	v_lshlrev_b32_e32 v112, 29, v109
	s_delay_alu instid0(VALU_DEP_3) | instskip(NEXT) | instid1(VALU_DEP_3)
	v_cmp_ne_u32_e32 vcc_lo, 0, v110
	v_not_b32_e32 v110, v111
	v_cmp_gt_i32_e64 s12, 0, v111
	s_delay_alu instid0(VALU_DEP_4) | instskip(SKIP_1) | instid1(VALU_DEP_4)
	v_not_b32_e32 v111, v112
	v_xor_b32_e32 v108, vcc_lo, v108
	v_ashrrev_i32_e32 v110, 31, v110
	v_cmp_gt_i32_e32 vcc_lo, 0, v112
	s_delay_alu instid0(VALU_DEP_4) | instskip(NEXT) | instid1(VALU_DEP_4)
	v_ashrrev_i32_e32 v111, 31, v111
	v_and_b32_e32 v108, exec_lo, v108
	s_delay_alu instid0(VALU_DEP_4)
	v_xor_b32_e32 v110, s12, v110
	v_cmp_gt_i32_e64 s12, 0, v107
	v_mul_u32_u24_e32 v107, 9, v109
	v_ashrrev_i32_e32 v109, 31, v113
	v_xor_b32_e32 v111, vcc_lo, v111
	v_and_b32_e32 v108, v108, v110
	s_delay_alu instid0(VALU_DEP_4) | instskip(NEXT) | instid1(VALU_DEP_4)
	v_add_lshl_u32 v112, v107, v6, 2
	v_xor_b32_e32 v109, s12, v109
	s_delay_alu instid0(VALU_DEP_3) | instskip(SKIP_3) | instid1(VALU_DEP_2)
	v_and_b32_e32 v108, v108, v111
	ds_load_b32 v107, v112 offset:32
	; wave barrier
	v_and_b32_e32 v110, v108, v109
	v_add_nc_u32_e32 v109, 32, v112
	v_mbcnt_lo_u32_b32 v108, v110, 0
	v_cmp_ne_u32_e64 s12, 0, v110
	s_delay_alu instid0(VALU_DEP_2) | instskip(NEXT) | instid1(VALU_DEP_2)
	v_cmp_eq_u32_e32 vcc_lo, 0, v108
	s_and_b32 s20, vcc_lo, s12
	s_delay_alu instid0(SALU_CYCLE_1)
	s_and_saveexec_b32 s12, s20
	s_cbranch_execz .LBB74_52
; %bb.51:                               ;   in Loop: Header=BB74_4 Depth=2
	s_waitcnt lgkmcnt(0)
	v_bcnt_u32_b32 v110, v110, v107
	ds_store_b32 v109, v110
.LBB74_52:                              ;   in Loop: Header=BB74_4 Depth=2
	s_or_b32 exec_lo, exec_lo, s12
	v_lshlrev_b32_e32 v110, s17, v33
	; wave barrier
	s_delay_alu instid0(VALU_DEP_1) | instskip(SKIP_2) | instid1(VALU_DEP_3)
	v_bfe_u32 v111, v110, 28, 1
	v_lshrrev_b32_e32 v112, 28, v110
	v_not_b32_e32 v116, v110
	v_add_co_u32 v111, s12, v111, -1
	s_delay_alu instid0(VALU_DEP_1) | instskip(NEXT) | instid1(VALU_DEP_4)
	v_cndmask_b32_e64 v113, 0, 1, s12
	v_lshlrev_b32_e32 v114, 30, v112
	v_lshlrev_b32_e32 v115, 29, v112
	s_delay_alu instid0(VALU_DEP_3) | instskip(NEXT) | instid1(VALU_DEP_3)
	v_cmp_ne_u32_e32 vcc_lo, 0, v113
	v_not_b32_e32 v113, v114
	v_cmp_gt_i32_e64 s12, 0, v114
	s_delay_alu instid0(VALU_DEP_4) | instskip(SKIP_1) | instid1(VALU_DEP_4)
	v_not_b32_e32 v114, v115
	v_xor_b32_e32 v111, vcc_lo, v111
	v_ashrrev_i32_e32 v113, 31, v113
	v_cmp_gt_i32_e32 vcc_lo, 0, v115
	s_delay_alu instid0(VALU_DEP_4) | instskip(NEXT) | instid1(VALU_DEP_4)
	v_ashrrev_i32_e32 v114, 31, v114
	v_and_b32_e32 v111, exec_lo, v111
	s_delay_alu instid0(VALU_DEP_4)
	v_xor_b32_e32 v113, s12, v113
	v_cmp_gt_i32_e64 s12, 0, v110
	v_mul_u32_u24_e32 v110, 9, v112
	v_ashrrev_i32_e32 v112, 31, v116
	v_xor_b32_e32 v114, vcc_lo, v114
	v_and_b32_e32 v111, v111, v113
	s_delay_alu instid0(VALU_DEP_4) | instskip(NEXT) | instid1(VALU_DEP_4)
	v_add_lshl_u32 v115, v110, v6, 2
	v_xor_b32_e32 v112, s12, v112
	s_delay_alu instid0(VALU_DEP_3) | instskip(SKIP_3) | instid1(VALU_DEP_2)
	v_and_b32_e32 v111, v111, v114
	ds_load_b32 v110, v115 offset:32
	; wave barrier
	v_and_b32_e32 v113, v111, v112
	v_add_nc_u32_e32 v112, 32, v115
	v_mbcnt_lo_u32_b32 v111, v113, 0
	v_cmp_ne_u32_e64 s12, 0, v113
	s_delay_alu instid0(VALU_DEP_2) | instskip(NEXT) | instid1(VALU_DEP_2)
	v_cmp_eq_u32_e32 vcc_lo, 0, v111
	s_and_b32 s20, vcc_lo, s12
	s_delay_alu instid0(SALU_CYCLE_1)
	s_and_saveexec_b32 s12, s20
	s_cbranch_execz .LBB74_54
; %bb.53:                               ;   in Loop: Header=BB74_4 Depth=2
	s_waitcnt lgkmcnt(0)
	v_bcnt_u32_b32 v113, v113, v110
	ds_store_b32 v112, v113
.LBB74_54:                              ;   in Loop: Header=BB74_4 Depth=2
	s_or_b32 exec_lo, exec_lo, s12
	v_lshlrev_b32_e32 v113, s17, v34
	; wave barrier
	s_delay_alu instid0(VALU_DEP_1) | instskip(SKIP_2) | instid1(VALU_DEP_3)
	v_bfe_u32 v114, v113, 28, 1
	v_lshrrev_b32_e32 v115, 28, v113
	v_not_b32_e32 v119, v113
	v_add_co_u32 v114, s12, v114, -1
	s_delay_alu instid0(VALU_DEP_1) | instskip(NEXT) | instid1(VALU_DEP_4)
	v_cndmask_b32_e64 v116, 0, 1, s12
	v_lshlrev_b32_e32 v117, 30, v115
	v_lshlrev_b32_e32 v118, 29, v115
	s_delay_alu instid0(VALU_DEP_3) | instskip(NEXT) | instid1(VALU_DEP_3)
	v_cmp_ne_u32_e32 vcc_lo, 0, v116
	v_not_b32_e32 v116, v117
	v_cmp_gt_i32_e64 s12, 0, v117
	s_delay_alu instid0(VALU_DEP_4) | instskip(SKIP_1) | instid1(VALU_DEP_4)
	v_not_b32_e32 v117, v118
	v_xor_b32_e32 v114, vcc_lo, v114
	v_ashrrev_i32_e32 v116, 31, v116
	v_cmp_gt_i32_e32 vcc_lo, 0, v118
	s_delay_alu instid0(VALU_DEP_4) | instskip(NEXT) | instid1(VALU_DEP_4)
	v_ashrrev_i32_e32 v117, 31, v117
	v_and_b32_e32 v114, exec_lo, v114
	s_delay_alu instid0(VALU_DEP_4)
	v_xor_b32_e32 v116, s12, v116
	v_cmp_gt_i32_e64 s12, 0, v113
	v_mul_u32_u24_e32 v113, 9, v115
	v_ashrrev_i32_e32 v115, 31, v119
	v_xor_b32_e32 v117, vcc_lo, v117
	v_and_b32_e32 v114, v114, v116
	s_delay_alu instid0(VALU_DEP_4) | instskip(NEXT) | instid1(VALU_DEP_4)
	v_add_lshl_u32 v118, v113, v6, 2
	v_xor_b32_e32 v115, s12, v115
	s_delay_alu instid0(VALU_DEP_3) | instskip(SKIP_3) | instid1(VALU_DEP_2)
	v_and_b32_e32 v114, v114, v117
	ds_load_b32 v113, v118 offset:32
	; wave barrier
	v_and_b32_e32 v116, v114, v115
	v_add_nc_u32_e32 v115, 32, v118
	v_mbcnt_lo_u32_b32 v114, v116, 0
	v_cmp_ne_u32_e64 s12, 0, v116
	s_delay_alu instid0(VALU_DEP_2) | instskip(NEXT) | instid1(VALU_DEP_2)
	v_cmp_eq_u32_e32 vcc_lo, 0, v114
	s_and_b32 s20, vcc_lo, s12
	s_delay_alu instid0(SALU_CYCLE_1)
	s_and_saveexec_b32 s12, s20
	s_cbranch_execz .LBB74_56
; %bb.55:                               ;   in Loop: Header=BB74_4 Depth=2
	s_waitcnt lgkmcnt(0)
	v_bcnt_u32_b32 v116, v116, v113
	ds_store_b32 v115, v116
.LBB74_56:                              ;   in Loop: Header=BB74_4 Depth=2
	s_or_b32 exec_lo, exec_lo, s12
	v_lshlrev_b32_e32 v116, s17, v35
	; wave barrier
	s_delay_alu instid0(VALU_DEP_1) | instskip(SKIP_2) | instid1(VALU_DEP_3)
	v_bfe_u32 v117, v116, 28, 1
	v_lshrrev_b32_e32 v118, 28, v116
	v_not_b32_e32 v122, v116
	v_add_co_u32 v117, s12, v117, -1
	s_delay_alu instid0(VALU_DEP_1) | instskip(NEXT) | instid1(VALU_DEP_4)
	v_cndmask_b32_e64 v119, 0, 1, s12
	v_lshlrev_b32_e32 v120, 30, v118
	v_lshlrev_b32_e32 v121, 29, v118
	s_delay_alu instid0(VALU_DEP_3) | instskip(NEXT) | instid1(VALU_DEP_3)
	v_cmp_ne_u32_e32 vcc_lo, 0, v119
	v_not_b32_e32 v119, v120
	v_cmp_gt_i32_e64 s12, 0, v120
	s_delay_alu instid0(VALU_DEP_4) | instskip(SKIP_1) | instid1(VALU_DEP_4)
	v_not_b32_e32 v120, v121
	v_xor_b32_e32 v117, vcc_lo, v117
	v_ashrrev_i32_e32 v119, 31, v119
	v_cmp_gt_i32_e32 vcc_lo, 0, v121
	s_delay_alu instid0(VALU_DEP_4) | instskip(NEXT) | instid1(VALU_DEP_4)
	v_ashrrev_i32_e32 v120, 31, v120
	v_and_b32_e32 v117, exec_lo, v117
	s_delay_alu instid0(VALU_DEP_4)
	v_xor_b32_e32 v119, s12, v119
	v_cmp_gt_i32_e64 s12, 0, v116
	v_mul_u32_u24_e32 v116, 9, v118
	v_ashrrev_i32_e32 v118, 31, v122
	v_xor_b32_e32 v120, vcc_lo, v120
	v_and_b32_e32 v117, v117, v119
	s_delay_alu instid0(VALU_DEP_4) | instskip(NEXT) | instid1(VALU_DEP_4)
	v_add_lshl_u32 v121, v116, v6, 2
	v_xor_b32_e32 v118, s12, v118
	s_delay_alu instid0(VALU_DEP_3) | instskip(SKIP_3) | instid1(VALU_DEP_2)
	v_and_b32_e32 v117, v117, v120
	ds_load_b32 v116, v121 offset:32
	; wave barrier
	v_and_b32_e32 v119, v117, v118
	v_add_nc_u32_e32 v118, 32, v121
	v_mbcnt_lo_u32_b32 v117, v119, 0
	v_cmp_ne_u32_e64 s12, 0, v119
	s_delay_alu instid0(VALU_DEP_2) | instskip(NEXT) | instid1(VALU_DEP_2)
	v_cmp_eq_u32_e32 vcc_lo, 0, v117
	s_and_b32 s20, vcc_lo, s12
	s_delay_alu instid0(SALU_CYCLE_1)
	s_and_saveexec_b32 s12, s20
	s_cbranch_execz .LBB74_58
; %bb.57:                               ;   in Loop: Header=BB74_4 Depth=2
	s_waitcnt lgkmcnt(0)
	v_bcnt_u32_b32 v119, v119, v116
	ds_store_b32 v118, v119
.LBB74_58:                              ;   in Loop: Header=BB74_4 Depth=2
	s_or_b32 exec_lo, exec_lo, s12
	v_lshlrev_b32_e32 v119, s17, v13
	; wave barrier
	s_delay_alu instid0(VALU_DEP_1) | instskip(SKIP_2) | instid1(VALU_DEP_3)
	v_bfe_u32 v120, v119, 28, 1
	v_lshrrev_b32_e32 v121, 28, v119
	v_not_b32_e32 v125, v119
	v_add_co_u32 v120, s12, v120, -1
	s_delay_alu instid0(VALU_DEP_1) | instskip(NEXT) | instid1(VALU_DEP_4)
	v_cndmask_b32_e64 v122, 0, 1, s12
	v_lshlrev_b32_e32 v123, 30, v121
	v_lshlrev_b32_e32 v124, 29, v121
	s_delay_alu instid0(VALU_DEP_3) | instskip(NEXT) | instid1(VALU_DEP_3)
	v_cmp_ne_u32_e32 vcc_lo, 0, v122
	v_not_b32_e32 v122, v123
	v_cmp_gt_i32_e64 s12, 0, v123
	s_delay_alu instid0(VALU_DEP_4) | instskip(SKIP_1) | instid1(VALU_DEP_4)
	v_not_b32_e32 v123, v124
	v_xor_b32_e32 v120, vcc_lo, v120
	v_ashrrev_i32_e32 v122, 31, v122
	v_cmp_gt_i32_e32 vcc_lo, 0, v124
	s_delay_alu instid0(VALU_DEP_4) | instskip(NEXT) | instid1(VALU_DEP_4)
	v_ashrrev_i32_e32 v123, 31, v123
	v_and_b32_e32 v120, exec_lo, v120
	s_delay_alu instid0(VALU_DEP_4)
	v_xor_b32_e32 v122, s12, v122
	v_cmp_gt_i32_e64 s12, 0, v119
	v_mul_u32_u24_e32 v119, 9, v121
	v_ashrrev_i32_e32 v121, 31, v125
	v_xor_b32_e32 v123, vcc_lo, v123
	v_and_b32_e32 v120, v120, v122
	s_delay_alu instid0(VALU_DEP_4) | instskip(NEXT) | instid1(VALU_DEP_4)
	v_add_lshl_u32 v124, v119, v6, 2
	v_xor_b32_e32 v121, s12, v121
	s_delay_alu instid0(VALU_DEP_3) | instskip(SKIP_3) | instid1(VALU_DEP_2)
	v_and_b32_e32 v120, v120, v123
	ds_load_b32 v119, v124 offset:32
	; wave barrier
	v_and_b32_e32 v122, v120, v121
	v_add_nc_u32_e32 v121, 32, v124
	v_mbcnt_lo_u32_b32 v120, v122, 0
	v_cmp_ne_u32_e64 s12, 0, v122
	s_delay_alu instid0(VALU_DEP_2) | instskip(NEXT) | instid1(VALU_DEP_2)
	v_cmp_eq_u32_e32 vcc_lo, 0, v120
	s_and_b32 s20, vcc_lo, s12
	s_delay_alu instid0(SALU_CYCLE_1)
	s_and_saveexec_b32 s12, s20
	s_cbranch_execz .LBB74_60
; %bb.59:                               ;   in Loop: Header=BB74_4 Depth=2
	s_waitcnt lgkmcnt(0)
	v_bcnt_u32_b32 v122, v122, v119
	ds_store_b32 v121, v122
.LBB74_60:                              ;   in Loop: Header=BB74_4 Depth=2
	s_or_b32 exec_lo, exec_lo, s12
	v_lshlrev_b32_e32 v122, s17, v36
	; wave barrier
	s_delay_alu instid0(VALU_DEP_1) | instskip(SKIP_2) | instid1(VALU_DEP_3)
	v_bfe_u32 v123, v122, 28, 1
	v_lshrrev_b32_e32 v124, 28, v122
	v_not_b32_e32 v128, v122
	v_add_co_u32 v123, s12, v123, -1
	s_delay_alu instid0(VALU_DEP_1) | instskip(NEXT) | instid1(VALU_DEP_4)
	v_cndmask_b32_e64 v125, 0, 1, s12
	v_lshlrev_b32_e32 v126, 30, v124
	v_lshlrev_b32_e32 v127, 29, v124
	s_delay_alu instid0(VALU_DEP_3) | instskip(NEXT) | instid1(VALU_DEP_3)
	v_cmp_ne_u32_e32 vcc_lo, 0, v125
	v_not_b32_e32 v125, v126
	v_cmp_gt_i32_e64 s12, 0, v126
	s_delay_alu instid0(VALU_DEP_4) | instskip(SKIP_1) | instid1(VALU_DEP_4)
	v_not_b32_e32 v126, v127
	v_xor_b32_e32 v123, vcc_lo, v123
	v_ashrrev_i32_e32 v125, 31, v125
	v_cmp_gt_i32_e32 vcc_lo, 0, v127
	s_delay_alu instid0(VALU_DEP_4) | instskip(NEXT) | instid1(VALU_DEP_4)
	v_ashrrev_i32_e32 v126, 31, v126
	v_and_b32_e32 v123, exec_lo, v123
	s_delay_alu instid0(VALU_DEP_4)
	v_xor_b32_e32 v125, s12, v125
	v_cmp_gt_i32_e64 s12, 0, v122
	v_mul_u32_u24_e32 v122, 9, v124
	v_ashrrev_i32_e32 v124, 31, v128
	v_xor_b32_e32 v126, vcc_lo, v126
	v_and_b32_e32 v123, v123, v125
	s_delay_alu instid0(VALU_DEP_4) | instskip(NEXT) | instid1(VALU_DEP_4)
	v_add_lshl_u32 v127, v122, v6, 2
	v_xor_b32_e32 v124, s12, v124
	s_delay_alu instid0(VALU_DEP_3) | instskip(SKIP_3) | instid1(VALU_DEP_2)
	v_and_b32_e32 v123, v123, v126
	ds_load_b32 v122, v127 offset:32
	; wave barrier
	v_and_b32_e32 v125, v123, v124
	v_add_nc_u32_e32 v124, 32, v127
	v_mbcnt_lo_u32_b32 v123, v125, 0
	v_cmp_ne_u32_e64 s12, 0, v125
	s_delay_alu instid0(VALU_DEP_2) | instskip(NEXT) | instid1(VALU_DEP_2)
	v_cmp_eq_u32_e32 vcc_lo, 0, v123
	s_and_b32 s20, vcc_lo, s12
	s_delay_alu instid0(SALU_CYCLE_1)
	s_and_saveexec_b32 s12, s20
	s_cbranch_execz .LBB74_62
; %bb.61:                               ;   in Loop: Header=BB74_4 Depth=2
	s_waitcnt lgkmcnt(0)
	v_bcnt_u32_b32 v125, v125, v122
	ds_store_b32 v124, v125
.LBB74_62:                              ;   in Loop: Header=BB74_4 Depth=2
	s_or_b32 exec_lo, exec_lo, s12
	v_lshlrev_b32_e32 v125, s17, v37
	; wave barrier
	s_delay_alu instid0(VALU_DEP_1) | instskip(SKIP_2) | instid1(VALU_DEP_3)
	v_bfe_u32 v126, v125, 28, 1
	v_lshrrev_b32_e32 v127, 28, v125
	v_not_b32_e32 v131, v125
	v_add_co_u32 v126, s12, v126, -1
	s_delay_alu instid0(VALU_DEP_1) | instskip(NEXT) | instid1(VALU_DEP_4)
	v_cndmask_b32_e64 v128, 0, 1, s12
	v_lshlrev_b32_e32 v129, 30, v127
	v_lshlrev_b32_e32 v130, 29, v127
	s_delay_alu instid0(VALU_DEP_3) | instskip(NEXT) | instid1(VALU_DEP_3)
	v_cmp_ne_u32_e32 vcc_lo, 0, v128
	v_not_b32_e32 v128, v129
	v_cmp_gt_i32_e64 s12, 0, v129
	s_delay_alu instid0(VALU_DEP_4) | instskip(SKIP_1) | instid1(VALU_DEP_4)
	v_not_b32_e32 v129, v130
	v_xor_b32_e32 v126, vcc_lo, v126
	v_ashrrev_i32_e32 v128, 31, v128
	v_cmp_gt_i32_e32 vcc_lo, 0, v130
	s_delay_alu instid0(VALU_DEP_4) | instskip(NEXT) | instid1(VALU_DEP_4)
	v_ashrrev_i32_e32 v129, 31, v129
	v_and_b32_e32 v126, exec_lo, v126
	s_delay_alu instid0(VALU_DEP_4)
	v_xor_b32_e32 v128, s12, v128
	v_cmp_gt_i32_e64 s12, 0, v125
	v_mul_u32_u24_e32 v125, 9, v127
	v_ashrrev_i32_e32 v127, 31, v131
	v_xor_b32_e32 v129, vcc_lo, v129
	v_and_b32_e32 v126, v126, v128
	s_delay_alu instid0(VALU_DEP_4) | instskip(NEXT) | instid1(VALU_DEP_4)
	v_add_lshl_u32 v130, v125, v6, 2
	v_xor_b32_e32 v127, s12, v127
	s_delay_alu instid0(VALU_DEP_3) | instskip(SKIP_3) | instid1(VALU_DEP_2)
	v_and_b32_e32 v126, v126, v129
	ds_load_b32 v125, v130 offset:32
	; wave barrier
	v_and_b32_e32 v128, v126, v127
	v_add_nc_u32_e32 v127, 32, v130
	v_mbcnt_lo_u32_b32 v126, v128, 0
	v_cmp_ne_u32_e64 s12, 0, v128
	s_delay_alu instid0(VALU_DEP_2) | instskip(NEXT) | instid1(VALU_DEP_2)
	v_cmp_eq_u32_e32 vcc_lo, 0, v126
	s_and_b32 s20, vcc_lo, s12
	s_delay_alu instid0(SALU_CYCLE_1)
	s_and_saveexec_b32 s12, s20
	s_cbranch_execz .LBB74_64
; %bb.63:                               ;   in Loop: Header=BB74_4 Depth=2
	s_waitcnt lgkmcnt(0)
	v_bcnt_u32_b32 v128, v128, v125
	ds_store_b32 v127, v128
.LBB74_64:                              ;   in Loop: Header=BB74_4 Depth=2
	s_or_b32 exec_lo, exec_lo, s12
	v_lshlrev_b32_e32 v128, s17, v38
	; wave barrier
	s_delay_alu instid0(VALU_DEP_1) | instskip(SKIP_2) | instid1(VALU_DEP_3)
	v_bfe_u32 v129, v128, 28, 1
	v_lshrrev_b32_e32 v130, 28, v128
	v_not_b32_e32 v134, v128
	v_add_co_u32 v129, s12, v129, -1
	s_delay_alu instid0(VALU_DEP_1) | instskip(NEXT) | instid1(VALU_DEP_4)
	v_cndmask_b32_e64 v131, 0, 1, s12
	v_lshlrev_b32_e32 v132, 30, v130
	v_lshlrev_b32_e32 v133, 29, v130
	s_delay_alu instid0(VALU_DEP_3) | instskip(NEXT) | instid1(VALU_DEP_3)
	v_cmp_ne_u32_e32 vcc_lo, 0, v131
	v_not_b32_e32 v131, v132
	v_cmp_gt_i32_e64 s12, 0, v132
	s_delay_alu instid0(VALU_DEP_4) | instskip(SKIP_1) | instid1(VALU_DEP_4)
	v_not_b32_e32 v132, v133
	v_xor_b32_e32 v129, vcc_lo, v129
	v_ashrrev_i32_e32 v131, 31, v131
	v_cmp_gt_i32_e32 vcc_lo, 0, v133
	s_delay_alu instid0(VALU_DEP_4) | instskip(NEXT) | instid1(VALU_DEP_4)
	v_ashrrev_i32_e32 v132, 31, v132
	v_and_b32_e32 v129, exec_lo, v129
	s_delay_alu instid0(VALU_DEP_4)
	v_xor_b32_e32 v131, s12, v131
	v_cmp_gt_i32_e64 s12, 0, v128
	v_mul_u32_u24_e32 v128, 9, v130
	v_ashrrev_i32_e32 v130, 31, v134
	v_xor_b32_e32 v132, vcc_lo, v132
	v_and_b32_e32 v129, v129, v131
	s_delay_alu instid0(VALU_DEP_4) | instskip(NEXT) | instid1(VALU_DEP_4)
	v_add_lshl_u32 v133, v128, v6, 2
	v_xor_b32_e32 v130, s12, v130
	s_delay_alu instid0(VALU_DEP_3) | instskip(SKIP_3) | instid1(VALU_DEP_2)
	v_and_b32_e32 v129, v129, v132
	ds_load_b32 v128, v133 offset:32
	; wave barrier
	v_and_b32_e32 v131, v129, v130
	v_add_nc_u32_e32 v130, 32, v133
	v_mbcnt_lo_u32_b32 v129, v131, 0
	v_cmp_ne_u32_e64 s12, 0, v131
	s_delay_alu instid0(VALU_DEP_2) | instskip(NEXT) | instid1(VALU_DEP_2)
	v_cmp_eq_u32_e32 vcc_lo, 0, v129
	s_and_b32 s20, vcc_lo, s12
	s_delay_alu instid0(SALU_CYCLE_1)
	s_and_saveexec_b32 s12, s20
	s_cbranch_execz .LBB74_66
; %bb.65:                               ;   in Loop: Header=BB74_4 Depth=2
	s_waitcnt lgkmcnt(0)
	v_bcnt_u32_b32 v131, v131, v128
	ds_store_b32 v130, v131
.LBB74_66:                              ;   in Loop: Header=BB74_4 Depth=2
	s_or_b32 exec_lo, exec_lo, s12
	v_lshlrev_b32_e32 v131, s17, v14
	; wave barrier
	s_delay_alu instid0(VALU_DEP_1) | instskip(SKIP_2) | instid1(VALU_DEP_3)
	v_bfe_u32 v132, v131, 28, 1
	v_lshrrev_b32_e32 v133, 28, v131
	v_not_b32_e32 v137, v131
	v_add_co_u32 v132, s12, v132, -1
	s_delay_alu instid0(VALU_DEP_1) | instskip(NEXT) | instid1(VALU_DEP_4)
	v_cndmask_b32_e64 v134, 0, 1, s12
	v_lshlrev_b32_e32 v135, 30, v133
	v_lshlrev_b32_e32 v136, 29, v133
	s_delay_alu instid0(VALU_DEP_3) | instskip(NEXT) | instid1(VALU_DEP_3)
	v_cmp_ne_u32_e32 vcc_lo, 0, v134
	v_not_b32_e32 v134, v135
	v_cmp_gt_i32_e64 s12, 0, v135
	s_delay_alu instid0(VALU_DEP_4) | instskip(SKIP_1) | instid1(VALU_DEP_4)
	v_not_b32_e32 v135, v136
	v_xor_b32_e32 v132, vcc_lo, v132
	v_ashrrev_i32_e32 v134, 31, v134
	v_cmp_gt_i32_e32 vcc_lo, 0, v136
	s_delay_alu instid0(VALU_DEP_4) | instskip(NEXT) | instid1(VALU_DEP_4)
	v_ashrrev_i32_e32 v135, 31, v135
	v_and_b32_e32 v132, exec_lo, v132
	s_delay_alu instid0(VALU_DEP_4)
	v_xor_b32_e32 v134, s12, v134
	v_cmp_gt_i32_e64 s12, 0, v131
	v_mul_u32_u24_e32 v131, 9, v133
	v_ashrrev_i32_e32 v133, 31, v137
	v_xor_b32_e32 v135, vcc_lo, v135
	v_and_b32_e32 v132, v132, v134
	s_delay_alu instid0(VALU_DEP_4) | instskip(NEXT) | instid1(VALU_DEP_4)
	v_add_lshl_u32 v136, v131, v6, 2
	v_xor_b32_e32 v133, s12, v133
	s_delay_alu instid0(VALU_DEP_3) | instskip(SKIP_3) | instid1(VALU_DEP_2)
	v_and_b32_e32 v132, v132, v135
	ds_load_b32 v131, v136 offset:32
	; wave barrier
	v_and_b32_e32 v134, v132, v133
	v_add_nc_u32_e32 v133, 32, v136
	v_mbcnt_lo_u32_b32 v132, v134, 0
	v_cmp_ne_u32_e64 s12, 0, v134
	s_delay_alu instid0(VALU_DEP_2) | instskip(NEXT) | instid1(VALU_DEP_2)
	v_cmp_eq_u32_e32 vcc_lo, 0, v132
	s_and_b32 s17, vcc_lo, s12
	s_delay_alu instid0(SALU_CYCLE_1)
	s_and_saveexec_b32 s12, s17
	s_cbranch_execz .LBB74_68
; %bb.67:                               ;   in Loop: Header=BB74_4 Depth=2
	s_waitcnt lgkmcnt(0)
	v_bcnt_u32_b32 v134, v134, v131
	ds_store_b32 v133, v134
.LBB74_68:                              ;   in Loop: Header=BB74_4 Depth=2
	s_or_b32 exec_lo, exec_lo, s12
	; wave barrier
	s_waitcnt lgkmcnt(0)
	s_barrier
	buffer_gl0_inv
	ds_load_b32 v134, v0 offset:32
	s_waitcnt lgkmcnt(0)
	v_mov_b32_dpp v135, v134 row_shr:1 row_mask:0xf bank_mask:0xf
	s_delay_alu instid0(VALU_DEP_1) | instskip(NEXT) | instid1(VALU_DEP_1)
	v_cndmask_b32_e64 v135, v135, 0, s1
	v_add_nc_u32_e32 v134, v135, v134
	s_delay_alu instid0(VALU_DEP_1) | instskip(NEXT) | instid1(VALU_DEP_1)
	v_mov_b32_dpp v135, v134 row_shr:2 row_mask:0xf bank_mask:0xf
	v_cndmask_b32_e64 v135, 0, v135, s2
	s_delay_alu instid0(VALU_DEP_1) | instskip(NEXT) | instid1(VALU_DEP_1)
	v_add_nc_u32_e32 v134, v134, v135
	v_mov_b32_dpp v135, v134 row_shr:4 row_mask:0xf bank_mask:0xf
	s_delay_alu instid0(VALU_DEP_1) | instskip(NEXT) | instid1(VALU_DEP_1)
	v_cndmask_b32_e64 v135, 0, v135, s3
	v_add_nc_u32_e32 v134, v134, v135
	s_delay_alu instid0(VALU_DEP_1) | instskip(NEXT) | instid1(VALU_DEP_1)
	v_mov_b32_dpp v135, v134 row_shr:8 row_mask:0xf bank_mask:0xf
	v_cndmask_b32_e64 v135, 0, v135, s4
	s_delay_alu instid0(VALU_DEP_1) | instskip(SKIP_3) | instid1(VALU_DEP_1)
	v_add_nc_u32_e32 v134, v134, v135
	ds_swizzle_b32 v135, v134 offset:swizzle(BROADCAST,32,15)
	s_waitcnt lgkmcnt(0)
	v_cndmask_b32_e64 v135, v135, 0, s5
	v_add_nc_u32_e32 v134, v134, v135
	s_and_saveexec_b32 s12, s11
	s_delay_alu instid0(SALU_CYCLE_1)
	s_xor_b32 s12, exec_lo, s12
	s_cbranch_execz .LBB74_70
; %bb.69:                               ;   in Loop: Header=BB74_4 Depth=2
	ds_store_b32 v3, v134
.LBB74_70:                              ;   in Loop: Header=BB74_4 Depth=2
	s_or_b32 exec_lo, exec_lo, s12
	s_waitcnt lgkmcnt(0)
	s_barrier
	buffer_gl0_inv
	s_and_saveexec_b32 s12, s6
	s_cbranch_execz .LBB74_72
; %bb.71:                               ;   in Loop: Header=BB74_4 Depth=2
	ds_load_b32 v135, v0
	s_waitcnt lgkmcnt(0)
	v_mov_b32_dpp v136, v135 row_shr:1 row_mask:0xf bank_mask:0xf
	s_delay_alu instid0(VALU_DEP_1) | instskip(NEXT) | instid1(VALU_DEP_1)
	v_cndmask_b32_e64 v136, v136, 0, s8
	v_add_nc_u32_e32 v135, v136, v135
	s_delay_alu instid0(VALU_DEP_1) | instskip(NEXT) | instid1(VALU_DEP_1)
	v_mov_b32_dpp v136, v135 row_shr:2 row_mask:0xf bank_mask:0xf
	v_cndmask_b32_e64 v136, 0, v136, s9
	s_delay_alu instid0(VALU_DEP_1) | instskip(NEXT) | instid1(VALU_DEP_1)
	v_add_nc_u32_e32 v135, v135, v136
	v_mov_b32_dpp v136, v135 row_shr:4 row_mask:0xf bank_mask:0xf
	s_delay_alu instid0(VALU_DEP_1) | instskip(NEXT) | instid1(VALU_DEP_1)
	v_cndmask_b32_e64 v136, 0, v136, s10
	v_add_nc_u32_e32 v135, v135, v136
	ds_store_b32 v0, v135
.LBB74_72:                              ;   in Loop: Header=BB74_4 Depth=2
	s_or_b32 exec_lo, exec_lo, s12
	v_mov_b32_e32 v135, 0
	s_waitcnt lgkmcnt(0)
	s_barrier
	buffer_gl0_inv
	s_and_saveexec_b32 s12, s7
	s_cbranch_execz .LBB74_3
; %bb.73:                               ;   in Loop: Header=BB74_4 Depth=2
	ds_load_b32 v135, v5
	s_branch .LBB74_3
.LBB74_74:
	ds_load_b32 v0, v43
	ds_load_b32 v2, v46
	;; [unrolled: 1-line block ×16, first 2 shown]
	s_lshl_b64 s[0:1], s[14:15], 2
	s_delay_alu instid0(SALU_CYCLE_1)
	s_add_u32 s0, s18, s0
	s_addc_u32 s1, s19, s1
	s_waitcnt lgkmcnt(15)
	v_add3_u32 v3, v42, v41, v0
	ds_load_b32 v0, v109
	ds_load_b32 v24, v106
	ds_load_b32 v23, v103
	ds_load_b32 v22, v100
	ds_load_b32 v21, v97
	ds_load_b32 v20, v94
	ds_load_b32 v19, v91
	ds_load_b32 v25, v88
	ds_load_b32 v33, v133
	ds_load_b32 v32, v130
	ds_load_b32 v31, v127
	ds_load_b32 v30, v124
	ds_load_b32 v29, v121
	ds_load_b32 v28, v118
	ds_load_b32 v27, v115
	ds_load_b32 v26, v112
	s_waitcnt lgkmcnt(30)
	v_add3_u32 v4, v45, v44, v2
	s_waitcnt lgkmcnt(28)
	v_add_nc_u32_e32 v2, v6, v39
	v_add3_u32 v5, v48, v47, v5
	s_waitcnt lgkmcnt(26)
	v_add3_u32 v8, v57, v56, v8
	s_waitcnt lgkmcnt(25)
	v_add3_u32 v7, v54, v53, v7
	s_waitcnt lgkmcnt(24)
	v_add3_u32 v6, v51, v50, v10
	v_add3_u32 v9, v60, v59, v9
	s_waitcnt lgkmcnt(22)
	v_add3_u32 v16, v81, v80, v16
	s_waitcnt lgkmcnt(21)
	;; [unrolled: 2-line block ×8, first 2 shown]
	v_add3_u32 v18, v87, v86, v25
	v_add3_u32 v25, v108, v107, v0
	v_lshlrev_b32_e32 v0, 2, v1
	v_add3_u32 v17, v84, v83, v17
	v_add3_u32 v19, v90, v89, v19
	;; [unrolled: 1-line block ×7, first 2 shown]
	s_waitcnt lgkmcnt(0)
	v_add3_u32 v26, v111, v110, v26
	v_add3_u32 v27, v114, v113, v27
	;; [unrolled: 1-line block ×8, first 2 shown]
	s_clause 0x7
	global_store_b128 v0, v[2:5], s[0:1]
	global_store_b128 v0, v[6:9], s[0:1] offset:16
	global_store_b128 v0, v[10:13], s[0:1] offset:32
	;; [unrolled: 1-line block ×7, first 2 shown]
	s_nop 0
	s_sendmsg sendmsg(MSG_DEALLOC_VGPRS)
	s_endpgm
	.section	.rodata,"a",@progbits
	.p2align	6, 0x0
	.amdhsa_kernel _Z11rank_kernelIhLj4ELb0EL18RadixRankAlgorithm2ELj256ELj32ELj10EEvPKT_Pi
		.amdhsa_group_segment_fixed_size 1056
		.amdhsa_private_segment_fixed_size 0
		.amdhsa_kernarg_size 272
		.amdhsa_user_sgpr_count 15
		.amdhsa_user_sgpr_dispatch_ptr 0
		.amdhsa_user_sgpr_queue_ptr 0
		.amdhsa_user_sgpr_kernarg_segment_ptr 1
		.amdhsa_user_sgpr_dispatch_id 0
		.amdhsa_user_sgpr_private_segment_size 0
		.amdhsa_wavefront_size32 1
		.amdhsa_uses_dynamic_stack 0
		.amdhsa_enable_private_segment 0
		.amdhsa_system_sgpr_workgroup_id_x 1
		.amdhsa_system_sgpr_workgroup_id_y 0
		.amdhsa_system_sgpr_workgroup_id_z 0
		.amdhsa_system_sgpr_workgroup_info 0
		.amdhsa_system_vgpr_workitem_id 2
		.amdhsa_next_free_vgpr 138
		.amdhsa_next_free_sgpr 21
		.amdhsa_reserve_vcc 1
		.amdhsa_float_round_mode_32 0
		.amdhsa_float_round_mode_16_64 0
		.amdhsa_float_denorm_mode_32 3
		.amdhsa_float_denorm_mode_16_64 3
		.amdhsa_dx10_clamp 1
		.amdhsa_ieee_mode 1
		.amdhsa_fp16_overflow 0
		.amdhsa_workgroup_processor_mode 1
		.amdhsa_memory_ordered 1
		.amdhsa_forward_progress 0
		.amdhsa_shared_vgpr_count 0
		.amdhsa_exception_fp_ieee_invalid_op 0
		.amdhsa_exception_fp_denorm_src 0
		.amdhsa_exception_fp_ieee_div_zero 0
		.amdhsa_exception_fp_ieee_overflow 0
		.amdhsa_exception_fp_ieee_underflow 0
		.amdhsa_exception_fp_ieee_inexact 0
		.amdhsa_exception_int_div_zero 0
	.end_amdhsa_kernel
	.section	.text._Z11rank_kernelIhLj4ELb0EL18RadixRankAlgorithm2ELj256ELj32ELj10EEvPKT_Pi,"axG",@progbits,_Z11rank_kernelIhLj4ELb0EL18RadixRankAlgorithm2ELj256ELj32ELj10EEvPKT_Pi,comdat
.Lfunc_end74:
	.size	_Z11rank_kernelIhLj4ELb0EL18RadixRankAlgorithm2ELj256ELj32ELj10EEvPKT_Pi, .Lfunc_end74-_Z11rank_kernelIhLj4ELb0EL18RadixRankAlgorithm2ELj256ELj32ELj10EEvPKT_Pi
                                        ; -- End function
	.section	.AMDGPU.csdata,"",@progbits
; Kernel info:
; codeLenInByte = 9328
; NumSgprs: 23
; NumVgprs: 138
; ScratchSize: 0
; MemoryBound: 0
; FloatMode: 240
; IeeeMode: 1
; LDSByteSize: 1056 bytes/workgroup (compile time only)
; SGPRBlocks: 2
; VGPRBlocks: 17
; NumSGPRsForWavesPerEU: 23
; NumVGPRsForWavesPerEU: 138
; Occupancy: 10
; WaveLimiterHint : 0
; COMPUTE_PGM_RSRC2:SCRATCH_EN: 0
; COMPUTE_PGM_RSRC2:USER_SGPR: 15
; COMPUTE_PGM_RSRC2:TRAP_HANDLER: 0
; COMPUTE_PGM_RSRC2:TGID_X_EN: 1
; COMPUTE_PGM_RSRC2:TGID_Y_EN: 0
; COMPUTE_PGM_RSRC2:TGID_Z_EN: 0
; COMPUTE_PGM_RSRC2:TIDIG_COMP_CNT: 2
	.section	.text._Z11rank_kernelIhLj4ELb0EL18RadixRankAlgorithm0ELj512ELj1ELj10EEvPKT_Pi,"axG",@progbits,_Z11rank_kernelIhLj4ELb0EL18RadixRankAlgorithm0ELj512ELj1ELj10EEvPKT_Pi,comdat
	.protected	_Z11rank_kernelIhLj4ELb0EL18RadixRankAlgorithm0ELj512ELj1ELj10EEvPKT_Pi ; -- Begin function _Z11rank_kernelIhLj4ELb0EL18RadixRankAlgorithm0ELj512ELj1ELj10EEvPKT_Pi
	.globl	_Z11rank_kernelIhLj4ELb0EL18RadixRankAlgorithm0ELj512ELj1ELj10EEvPKT_Pi
	.p2align	8
	.type	_Z11rank_kernelIhLj4ELb0EL18RadixRankAlgorithm0ELj512ELj1ELj10EEvPKT_Pi,@function
_Z11rank_kernelIhLj4ELb0EL18RadixRankAlgorithm0ELj512ELj1ELj10EEvPKT_Pi: ; @_Z11rank_kernelIhLj4ELb0EL18RadixRankAlgorithm0ELj512ELj1ELj10EEvPKT_Pi
; %bb.0:
	s_load_b128 s[8:11], s[0:1], 0x0
	s_lshl_b32 s12, s15, 9
	v_mbcnt_lo_u32_b32 v5, -1, 0
	v_or_b32_e32 v8, 31, v0
	v_lshrrev_b32_e32 v10, 3, v0
	v_dual_mov_b32 v1, 0 :: v_dual_lshlrev_b32 v2, 5, v0
	s_delay_alu instid0(VALU_DEP_4)
	v_and_b32_e32 v6, 15, v5
	v_and_b32_e32 v7, 16, v5
	v_add_nc_u32_e32 v9, -1, v5
	v_cmp_gt_u32_e32 vcc_lo, 16, v0
	v_lshlrev_b32_e32 v3, 2, v0
	v_cmp_eq_u32_e64 s2, 0, v6
	v_cmp_lt_u32_e64 s3, 1, v6
	v_cmp_lt_u32_e64 s4, 3, v6
	;; [unrolled: 1-line block ×3, first 2 shown]
	v_cmp_eq_u32_e64 s6, 0, v7
	v_cmp_gt_i32_e64 s7, 0, v9
	s_mov_b32 s13, 0
	s_waitcnt lgkmcnt(0)
	s_add_u32 s0, s8, s12
	s_addc_u32 s1, s9, 0
	v_cndmask_b32_e64 v9, v9, v5, s7
	global_load_u8 v4, v0, s[0:1]
	v_cmp_lt_u32_e64 s0, 31, v0
	v_cmp_eq_u32_e64 s1, 0, v5
	v_cmp_eq_u32_e64 s7, v8, v0
	v_and_b32_e32 v5, 60, v10
	v_or_b32_e32 v8, 0xfffffe00, v0
	s_mov_b32 s9, s13
	s_waitcnt vmcnt(0)
	v_lshlrev_b32_e32 v6, 5, v4
	v_lshrrev_b32_e32 v7, 6, v4
	v_lshlrev_b32_e32 v11, 9, v4
	v_lshrrev_b32_e32 v4, 2, v4
	s_delay_alu instid0(VALU_DEP_4) | instskip(NEXT) | instid1(VALU_DEP_4)
	v_and_or_b32 v12, 0xe00, v6, v0
	v_and_b32_e32 v7, 2, v7
	s_delay_alu instid0(VALU_DEP_4) | instskip(NEXT) | instid1(VALU_DEP_4)
	v_and_or_b32 v11, 0xe00, v11, v0
	v_and_b32_e32 v13, 2, v4
	v_lshlrev_b32_e32 v6, 2, v9
	s_delay_alu instid0(VALU_DEP_4) | instskip(NEXT) | instid1(VALU_DEP_3)
	v_lshl_or_b32 v4, v12, 2, v7
	v_lshl_or_b32 v7, v11, 2, v13
	s_branch .LBB75_2
.LBB75_1:                               ;   in Loop: Header=BB75_2 Depth=1
	s_or_b32 exec_lo, exec_lo, s8
	s_waitcnt lgkmcnt(0)
	v_add_nc_u32_e32 v10, v11, v10
	ds_load_b32 v14, v1 offset:16444
	ds_load_2addr_b32 v[12:13], v2 offset1:1
	s_add_i32 s9, s9, 1
	s_delay_alu instid0(SALU_CYCLE_1)
	s_cmp_eq_u32 s9, 10
	ds_bpermute_b32 v10, v6, v10
	s_waitcnt lgkmcnt(0)
	v_cndmask_b32_e64 v15, v10, v11, s1
	ds_load_2addr_b32 v[10:11], v2 offset0:2 offset1:3
	v_lshl_add_u32 v16, v14, 16, v15
	ds_load_2addr_b32 v[14:15], v2 offset0:4 offset1:5
	ds_load_b32 v17, v2 offset:24
	v_add_nc_u32_e32 v12, v16, v12
	s_delay_alu instid0(VALU_DEP_1) | instskip(SKIP_1) | instid1(VALU_DEP_1)
	v_add_nc_u32_e32 v13, v13, v12
	s_waitcnt lgkmcnt(2)
	v_add_nc_u32_e32 v10, v10, v13
	s_delay_alu instid0(VALU_DEP_1) | instskip(SKIP_1) | instid1(VALU_DEP_1)
	v_add_nc_u32_e32 v11, v11, v10
	s_waitcnt lgkmcnt(1)
	;; [unrolled: 4-line block ×3, first 2 shown]
	v_add_nc_u32_e32 v17, v17, v15
	ds_store_2addr_b32 v2, v16, v12 offset1:1
	ds_store_2addr_b32 v2, v13, v10 offset0:2 offset1:3
	ds_store_2addr_b32 v2, v11, v14 offset0:4 offset1:5
	;; [unrolled: 1-line block ×3, first 2 shown]
	s_waitcnt lgkmcnt(0)
	s_barrier
	buffer_gl0_inv
	s_cbranch_scc1 .LBB75_18
.LBB75_2:                               ; =>This Loop Header: Depth=1
                                        ;     Child Loop BB75_3 Depth 2
                                        ;     Child Loop BB75_11 Depth 2
	v_dual_mov_b32 v9, v8 :: v_dual_mov_b32 v10, v3
	s_mov_b32 s14, 0
.LBB75_3:                               ;   Parent Loop BB75_2 Depth=1
                                        ; =>  This Inner Loop Header: Depth=2
	s_delay_alu instid0(VALU_DEP_1) | instskip(SKIP_3) | instid1(VALU_DEP_1)
	v_add_nc_u32_e32 v9, 0x200, v9
	ds_store_b32 v10, v1
	v_add_nc_u32_e32 v10, 0x800, v10
	v_cmp_lt_u32_e64 s8, 0xdff, v9
	s_or_b32 s14, s8, s14
	s_delay_alu instid0(SALU_CYCLE_1)
	s_and_not1_b32 exec_lo, exec_lo, s14
	s_cbranch_execnz .LBB75_3
; %bb.4:                                ;   in Loop: Header=BB75_2 Depth=1
	s_or_b32 exec_lo, exec_lo, s14
	ds_load_u16 v9, v7
	s_waitcnt lgkmcnt(0)
	v_add_nc_u16 v9, v9, 1
	ds_store_b16 v7, v9
	s_waitcnt lgkmcnt(0)
	s_barrier
	buffer_gl0_inv
	ds_load_2addr_b32 v[9:10], v2 offset1:1
	ds_load_2addr_b32 v[11:12], v2 offset0:2 offset1:3
	ds_load_2addr_b32 v[13:14], v2 offset0:4 offset1:5
	ds_load_2addr_b32 v[15:16], v2 offset0:6 offset1:7
	s_waitcnt lgkmcnt(3)
	v_add_nc_u32_e32 v9, v10, v9
	s_waitcnt lgkmcnt(2)
	s_delay_alu instid0(VALU_DEP_1) | instskip(SKIP_1) | instid1(VALU_DEP_1)
	v_add3_u32 v9, v9, v11, v12
	s_waitcnt lgkmcnt(1)
	v_add3_u32 v9, v9, v13, v14
	s_waitcnt lgkmcnt(0)
	s_delay_alu instid0(VALU_DEP_1) | instskip(NEXT) | instid1(VALU_DEP_1)
	v_add3_u32 v9, v9, v15, v16
	v_mov_b32_dpp v10, v9 row_shr:1 row_mask:0xf bank_mask:0xf
	s_delay_alu instid0(VALU_DEP_1) | instskip(NEXT) | instid1(VALU_DEP_1)
	v_cndmask_b32_e64 v10, v10, 0, s2
	v_add_nc_u32_e32 v9, v10, v9
	s_delay_alu instid0(VALU_DEP_1) | instskip(NEXT) | instid1(VALU_DEP_1)
	v_mov_b32_dpp v10, v9 row_shr:2 row_mask:0xf bank_mask:0xf
	v_cndmask_b32_e64 v10, 0, v10, s3
	s_delay_alu instid0(VALU_DEP_1) | instskip(NEXT) | instid1(VALU_DEP_1)
	v_add_nc_u32_e32 v9, v9, v10
	v_mov_b32_dpp v10, v9 row_shr:4 row_mask:0xf bank_mask:0xf
	s_delay_alu instid0(VALU_DEP_1) | instskip(NEXT) | instid1(VALU_DEP_1)
	v_cndmask_b32_e64 v10, 0, v10, s4
	v_add_nc_u32_e32 v9, v9, v10
	s_delay_alu instid0(VALU_DEP_1) | instskip(NEXT) | instid1(VALU_DEP_1)
	v_mov_b32_dpp v10, v9 row_shr:8 row_mask:0xf bank_mask:0xf
	v_cndmask_b32_e64 v10, 0, v10, s5
	s_delay_alu instid0(VALU_DEP_1) | instskip(SKIP_3) | instid1(VALU_DEP_1)
	v_add_nc_u32_e32 v9, v9, v10
	ds_swizzle_b32 v10, v9 offset:swizzle(BROADCAST,32,15)
	s_waitcnt lgkmcnt(0)
	v_cndmask_b32_e64 v10, v10, 0, s6
	v_add_nc_u32_e32 v9, v9, v10
	s_and_saveexec_b32 s8, s7
	s_cbranch_execz .LBB75_6
; %bb.5:                                ;   in Loop: Header=BB75_2 Depth=1
	ds_store_b32 v5, v9 offset:16384
.LBB75_6:                               ;   in Loop: Header=BB75_2 Depth=1
	s_or_b32 exec_lo, exec_lo, s8
	s_waitcnt lgkmcnt(0)
	s_barrier
	buffer_gl0_inv
	s_and_saveexec_b32 s8, vcc_lo
	s_cbranch_execz .LBB75_8
; %bb.7:                                ;   in Loop: Header=BB75_2 Depth=1
	ds_load_b32 v10, v3 offset:16384
	s_waitcnt lgkmcnt(0)
	v_mov_b32_dpp v11, v10 row_shr:1 row_mask:0xf bank_mask:0xf
	s_delay_alu instid0(VALU_DEP_1) | instskip(NEXT) | instid1(VALU_DEP_1)
	v_cndmask_b32_e64 v11, v11, 0, s2
	v_add_nc_u32_e32 v10, v11, v10
	s_delay_alu instid0(VALU_DEP_1) | instskip(NEXT) | instid1(VALU_DEP_1)
	v_mov_b32_dpp v11, v10 row_shr:2 row_mask:0xf bank_mask:0xf
	v_cndmask_b32_e64 v11, 0, v11, s3
	s_delay_alu instid0(VALU_DEP_1) | instskip(NEXT) | instid1(VALU_DEP_1)
	v_add_nc_u32_e32 v10, v10, v11
	v_mov_b32_dpp v11, v10 row_shr:4 row_mask:0xf bank_mask:0xf
	s_delay_alu instid0(VALU_DEP_1) | instskip(NEXT) | instid1(VALU_DEP_1)
	v_cndmask_b32_e64 v11, 0, v11, s4
	v_add_nc_u32_e32 v10, v10, v11
	s_delay_alu instid0(VALU_DEP_1) | instskip(NEXT) | instid1(VALU_DEP_1)
	v_mov_b32_dpp v11, v10 row_shr:8 row_mask:0xf bank_mask:0xf
	v_cndmask_b32_e64 v11, 0, v11, s5
	s_delay_alu instid0(VALU_DEP_1)
	v_add_nc_u32_e32 v10, v10, v11
	ds_store_b32 v3, v10 offset:16384
.LBB75_8:                               ;   in Loop: Header=BB75_2 Depth=1
	s_or_b32 exec_lo, exec_lo, s8
	v_mov_b32_e32 v10, 0
	s_waitcnt lgkmcnt(0)
	s_barrier
	buffer_gl0_inv
	s_and_saveexec_b32 s8, s0
	s_cbranch_execz .LBB75_10
; %bb.9:                                ;   in Loop: Header=BB75_2 Depth=1
	ds_load_b32 v10, v5 offset:16380
.LBB75_10:                              ;   in Loop: Header=BB75_2 Depth=1
	s_or_b32 exec_lo, exec_lo, s8
	s_waitcnt lgkmcnt(0)
	v_add_nc_u32_e32 v9, v10, v9
	ds_load_b32 v13, v1 offset:16444
	ds_load_2addr_b32 v[11:12], v2 offset1:1
	s_mov_b32 s14, 0
	ds_bpermute_b32 v9, v6, v9
	s_waitcnt lgkmcnt(0)
	v_cndmask_b32_e64 v14, v9, v10, s1
	ds_load_2addr_b32 v[9:10], v2 offset0:2 offset1:3
	v_lshl_add_u32 v15, v13, 16, v14
	ds_load_2addr_b32 v[13:14], v2 offset0:4 offset1:5
	ds_load_b32 v16, v2 offset:24
	v_add_nc_u32_e32 v11, v15, v11
	s_delay_alu instid0(VALU_DEP_1) | instskip(SKIP_1) | instid1(VALU_DEP_1)
	v_add_nc_u32_e32 v12, v12, v11
	s_waitcnt lgkmcnt(2)
	v_add_nc_u32_e32 v17, v9, v12
	s_delay_alu instid0(VALU_DEP_1) | instskip(SKIP_1) | instid1(VALU_DEP_1)
	v_dual_mov_b32 v9, v8 :: v_dual_add_nc_u32 v18, v10, v17
	s_waitcnt lgkmcnt(1)
	v_dual_mov_b32 v10, v3 :: v_dual_add_nc_u32 v13, v13, v18
	s_delay_alu instid0(VALU_DEP_1) | instskip(SKIP_1) | instid1(VALU_DEP_1)
	v_add_nc_u32_e32 v14, v14, v13
	s_waitcnt lgkmcnt(0)
	v_add_nc_u32_e32 v16, v16, v14
	ds_store_2addr_b32 v2, v15, v11 offset1:1
	ds_store_2addr_b32 v2, v12, v17 offset0:2 offset1:3
	ds_store_2addr_b32 v2, v18, v13 offset0:4 offset1:5
	;; [unrolled: 1-line block ×3, first 2 shown]
	s_waitcnt lgkmcnt(0)
	s_barrier
	buffer_gl0_inv
.LBB75_11:                              ;   Parent Loop BB75_2 Depth=1
                                        ; =>  This Inner Loop Header: Depth=2
	v_add_nc_u32_e32 v9, 0x200, v9
	ds_store_b32 v10, v1
	v_add_nc_u32_e32 v10, 0x800, v10
	v_cmp_lt_u32_e64 s8, 0xdff, v9
	s_delay_alu instid0(VALU_DEP_1) | instskip(NEXT) | instid1(SALU_CYCLE_1)
	s_or_b32 s14, s8, s14
	s_and_not1_b32 exec_lo, exec_lo, s14
	s_cbranch_execnz .LBB75_11
; %bb.12:                               ;   in Loop: Header=BB75_2 Depth=1
	s_or_b32 exec_lo, exec_lo, s14
	ds_load_u16 v9, v4
	s_waitcnt lgkmcnt(0)
	v_add_nc_u16 v10, v9, 1
	ds_store_b16 v4, v10
	s_waitcnt lgkmcnt(0)
	s_barrier
	buffer_gl0_inv
	ds_load_2addr_b32 v[10:11], v2 offset1:1
	ds_load_2addr_b32 v[12:13], v2 offset0:2 offset1:3
	ds_load_2addr_b32 v[14:15], v2 offset0:4 offset1:5
	;; [unrolled: 1-line block ×3, first 2 shown]
	s_waitcnt lgkmcnt(3)
	v_add_nc_u32_e32 v10, v11, v10
	s_waitcnt lgkmcnt(2)
	s_delay_alu instid0(VALU_DEP_1) | instskip(SKIP_1) | instid1(VALU_DEP_1)
	v_add3_u32 v10, v10, v12, v13
	s_waitcnt lgkmcnt(1)
	v_add3_u32 v10, v10, v14, v15
	s_waitcnt lgkmcnt(0)
	s_delay_alu instid0(VALU_DEP_1) | instskip(NEXT) | instid1(VALU_DEP_1)
	v_add3_u32 v10, v10, v16, v17
	v_mov_b32_dpp v11, v10 row_shr:1 row_mask:0xf bank_mask:0xf
	s_delay_alu instid0(VALU_DEP_1) | instskip(NEXT) | instid1(VALU_DEP_1)
	v_cndmask_b32_e64 v11, v11, 0, s2
	v_add_nc_u32_e32 v10, v11, v10
	s_delay_alu instid0(VALU_DEP_1) | instskip(NEXT) | instid1(VALU_DEP_1)
	v_mov_b32_dpp v11, v10 row_shr:2 row_mask:0xf bank_mask:0xf
	v_cndmask_b32_e64 v11, 0, v11, s3
	s_delay_alu instid0(VALU_DEP_1) | instskip(NEXT) | instid1(VALU_DEP_1)
	v_add_nc_u32_e32 v10, v10, v11
	v_mov_b32_dpp v11, v10 row_shr:4 row_mask:0xf bank_mask:0xf
	s_delay_alu instid0(VALU_DEP_1) | instskip(NEXT) | instid1(VALU_DEP_1)
	v_cndmask_b32_e64 v11, 0, v11, s4
	v_add_nc_u32_e32 v10, v10, v11
	s_delay_alu instid0(VALU_DEP_1) | instskip(NEXT) | instid1(VALU_DEP_1)
	v_mov_b32_dpp v11, v10 row_shr:8 row_mask:0xf bank_mask:0xf
	v_cndmask_b32_e64 v11, 0, v11, s5
	s_delay_alu instid0(VALU_DEP_1) | instskip(SKIP_3) | instid1(VALU_DEP_1)
	v_add_nc_u32_e32 v10, v10, v11
	ds_swizzle_b32 v11, v10 offset:swizzle(BROADCAST,32,15)
	s_waitcnt lgkmcnt(0)
	v_cndmask_b32_e64 v11, v11, 0, s6
	v_add_nc_u32_e32 v10, v10, v11
	s_and_saveexec_b32 s8, s7
	s_cbranch_execz .LBB75_14
; %bb.13:                               ;   in Loop: Header=BB75_2 Depth=1
	ds_store_b32 v5, v10 offset:16384
.LBB75_14:                              ;   in Loop: Header=BB75_2 Depth=1
	s_or_b32 exec_lo, exec_lo, s8
	s_waitcnt lgkmcnt(0)
	s_barrier
	buffer_gl0_inv
	s_and_saveexec_b32 s8, vcc_lo
	s_cbranch_execz .LBB75_16
; %bb.15:                               ;   in Loop: Header=BB75_2 Depth=1
	ds_load_b32 v11, v3 offset:16384
	s_waitcnt lgkmcnt(0)
	v_mov_b32_dpp v12, v11 row_shr:1 row_mask:0xf bank_mask:0xf
	s_delay_alu instid0(VALU_DEP_1) | instskip(NEXT) | instid1(VALU_DEP_1)
	v_cndmask_b32_e64 v12, v12, 0, s2
	v_add_nc_u32_e32 v11, v12, v11
	s_delay_alu instid0(VALU_DEP_1) | instskip(NEXT) | instid1(VALU_DEP_1)
	v_mov_b32_dpp v12, v11 row_shr:2 row_mask:0xf bank_mask:0xf
	v_cndmask_b32_e64 v12, 0, v12, s3
	s_delay_alu instid0(VALU_DEP_1) | instskip(NEXT) | instid1(VALU_DEP_1)
	v_add_nc_u32_e32 v11, v11, v12
	v_mov_b32_dpp v12, v11 row_shr:4 row_mask:0xf bank_mask:0xf
	s_delay_alu instid0(VALU_DEP_1) | instskip(NEXT) | instid1(VALU_DEP_1)
	v_cndmask_b32_e64 v12, 0, v12, s4
	v_add_nc_u32_e32 v11, v11, v12
	s_delay_alu instid0(VALU_DEP_1) | instskip(NEXT) | instid1(VALU_DEP_1)
	v_mov_b32_dpp v12, v11 row_shr:8 row_mask:0xf bank_mask:0xf
	v_cndmask_b32_e64 v12, 0, v12, s5
	s_delay_alu instid0(VALU_DEP_1)
	v_add_nc_u32_e32 v11, v11, v12
	ds_store_b32 v3, v11 offset:16384
.LBB75_16:                              ;   in Loop: Header=BB75_2 Depth=1
	s_or_b32 exec_lo, exec_lo, s8
	v_mov_b32_e32 v11, 0
	s_waitcnt lgkmcnt(0)
	s_barrier
	buffer_gl0_inv
	s_and_saveexec_b32 s8, s0
	s_cbranch_execz .LBB75_1
; %bb.17:                               ;   in Loop: Header=BB75_2 Depth=1
	ds_load_b32 v11, v5 offset:16380
	s_branch .LBB75_1
.LBB75_18:
	ds_load_u16 v1, v4
	v_and_b32_e32 v2, 0xffff, v9
	s_lshl_b64 s[0:1], s[12:13], 2
	v_lshlrev_b32_e32 v0, 2, v0
	s_add_u32 s0, s10, s0
	s_addc_u32 s1, s11, s1
	s_waitcnt lgkmcnt(0)
	v_add_nc_u32_e32 v1, v1, v2
	global_store_b32 v0, v1, s[0:1]
	s_nop 0
	s_sendmsg sendmsg(MSG_DEALLOC_VGPRS)
	s_endpgm
	.section	.rodata,"a",@progbits
	.p2align	6, 0x0
	.amdhsa_kernel _Z11rank_kernelIhLj4ELb0EL18RadixRankAlgorithm0ELj512ELj1ELj10EEvPKT_Pi
		.amdhsa_group_segment_fixed_size 16448
		.amdhsa_private_segment_fixed_size 0
		.amdhsa_kernarg_size 16
		.amdhsa_user_sgpr_count 15
		.amdhsa_user_sgpr_dispatch_ptr 0
		.amdhsa_user_sgpr_queue_ptr 0
		.amdhsa_user_sgpr_kernarg_segment_ptr 1
		.amdhsa_user_sgpr_dispatch_id 0
		.amdhsa_user_sgpr_private_segment_size 0
		.amdhsa_wavefront_size32 1
		.amdhsa_uses_dynamic_stack 0
		.amdhsa_enable_private_segment 0
		.amdhsa_system_sgpr_workgroup_id_x 1
		.amdhsa_system_sgpr_workgroup_id_y 0
		.amdhsa_system_sgpr_workgroup_id_z 0
		.amdhsa_system_sgpr_workgroup_info 0
		.amdhsa_system_vgpr_workitem_id 0
		.amdhsa_next_free_vgpr 19
		.amdhsa_next_free_sgpr 16
		.amdhsa_reserve_vcc 1
		.amdhsa_float_round_mode_32 0
		.amdhsa_float_round_mode_16_64 0
		.amdhsa_float_denorm_mode_32 3
		.amdhsa_float_denorm_mode_16_64 3
		.amdhsa_dx10_clamp 1
		.amdhsa_ieee_mode 1
		.amdhsa_fp16_overflow 0
		.amdhsa_workgroup_processor_mode 1
		.amdhsa_memory_ordered 1
		.amdhsa_forward_progress 0
		.amdhsa_shared_vgpr_count 0
		.amdhsa_exception_fp_ieee_invalid_op 0
		.amdhsa_exception_fp_denorm_src 0
		.amdhsa_exception_fp_ieee_div_zero 0
		.amdhsa_exception_fp_ieee_overflow 0
		.amdhsa_exception_fp_ieee_underflow 0
		.amdhsa_exception_fp_ieee_inexact 0
		.amdhsa_exception_int_div_zero 0
	.end_amdhsa_kernel
	.section	.text._Z11rank_kernelIhLj4ELb0EL18RadixRankAlgorithm0ELj512ELj1ELj10EEvPKT_Pi,"axG",@progbits,_Z11rank_kernelIhLj4ELb0EL18RadixRankAlgorithm0ELj512ELj1ELj10EEvPKT_Pi,comdat
.Lfunc_end75:
	.size	_Z11rank_kernelIhLj4ELb0EL18RadixRankAlgorithm0ELj512ELj1ELj10EEvPKT_Pi, .Lfunc_end75-_Z11rank_kernelIhLj4ELb0EL18RadixRankAlgorithm0ELj512ELj1ELj10EEvPKT_Pi
                                        ; -- End function
	.section	.AMDGPU.csdata,"",@progbits
; Kernel info:
; codeLenInByte = 1776
; NumSgprs: 18
; NumVgprs: 19
; ScratchSize: 0
; MemoryBound: 0
; FloatMode: 240
; IeeeMode: 1
; LDSByteSize: 16448 bytes/workgroup (compile time only)
; SGPRBlocks: 2
; VGPRBlocks: 2
; NumSGPRsForWavesPerEU: 18
; NumVGPRsForWavesPerEU: 19
; Occupancy: 16
; WaveLimiterHint : 0
; COMPUTE_PGM_RSRC2:SCRATCH_EN: 0
; COMPUTE_PGM_RSRC2:USER_SGPR: 15
; COMPUTE_PGM_RSRC2:TRAP_HANDLER: 0
; COMPUTE_PGM_RSRC2:TGID_X_EN: 1
; COMPUTE_PGM_RSRC2:TGID_Y_EN: 0
; COMPUTE_PGM_RSRC2:TGID_Z_EN: 0
; COMPUTE_PGM_RSRC2:TIDIG_COMP_CNT: 0
	.section	.text._Z11rank_kernelIhLj4ELb0EL18RadixRankAlgorithm1ELj512ELj1ELj10EEvPKT_Pi,"axG",@progbits,_Z11rank_kernelIhLj4ELb0EL18RadixRankAlgorithm1ELj512ELj1ELj10EEvPKT_Pi,comdat
	.protected	_Z11rank_kernelIhLj4ELb0EL18RadixRankAlgorithm1ELj512ELj1ELj10EEvPKT_Pi ; -- Begin function _Z11rank_kernelIhLj4ELb0EL18RadixRankAlgorithm1ELj512ELj1ELj10EEvPKT_Pi
	.globl	_Z11rank_kernelIhLj4ELb0EL18RadixRankAlgorithm1ELj512ELj1ELj10EEvPKT_Pi
	.p2align	8
	.type	_Z11rank_kernelIhLj4ELb0EL18RadixRankAlgorithm1ELj512ELj1ELj10EEvPKT_Pi,@function
_Z11rank_kernelIhLj4ELb0EL18RadixRankAlgorithm1ELj512ELj1ELj10EEvPKT_Pi: ; @_Z11rank_kernelIhLj4ELb0EL18RadixRankAlgorithm1ELj512ELj1ELj10EEvPKT_Pi
; %bb.0:
	s_load_b128 s[8:11], s[0:1], 0x0
	s_lshl_b32 s12, s15, 9
	v_mbcnt_lo_u32_b32 v2, -1, 0
	v_or_b32_e32 v5, 31, v0
	v_lshrrev_b32_e32 v7, 3, v0
	v_dual_mov_b32 v9, 0 :: v_dual_lshlrev_b32 v10, 5, v0
	s_delay_alu instid0(VALU_DEP_4)
	v_and_b32_e32 v3, 15, v2
	v_and_b32_e32 v4, 16, v2
	v_add_nc_u32_e32 v6, -1, v2
	v_cmp_gt_u32_e32 vcc_lo, 16, v0
	v_lshlrev_b32_e32 v11, 2, v0
	v_cmp_eq_u32_e64 s2, 0, v3
	v_cmp_lt_u32_e64 s3, 1, v3
	v_cmp_lt_u32_e64 s4, 3, v3
	;; [unrolled: 1-line block ×3, first 2 shown]
	v_cmp_eq_u32_e64 s6, 0, v4
	v_cmp_gt_i32_e64 s7, 0, v6
	v_and_b32_e32 v13, 60, v7
	v_or_b32_e32 v16, 0xfffffe00, v0
	s_waitcnt lgkmcnt(0)
	s_add_u32 s0, s8, s12
	s_addc_u32 s1, s9, 0
	s_mov_b32 s13, 0
	global_load_u8 v1, v0, s[0:1]
	v_cmp_eq_u32_e64 s1, 0, v2
	v_cndmask_b32_e64 v2, v6, v2, s7
	v_cmp_lt_u32_e64 s0, 31, v0
	v_cmp_eq_u32_e64 s7, v5, v0
	s_mov_b32 s9, s13
	s_delay_alu instid0(VALU_DEP_3)
	v_lshlrev_b32_e32 v14, 2, v2
	s_waitcnt vmcnt(0)
	v_lshlrev_b32_e32 v3, 5, v1
	v_lshrrev_b32_e32 v4, 6, v1
	v_lshlrev_b32_e32 v8, 9, v1
	v_lshrrev_b32_e32 v1, 2, v1
	s_delay_alu instid0(VALU_DEP_4) | instskip(NEXT) | instid1(VALU_DEP_4)
	v_and_or_b32 v3, 0xe00, v3, v0
	v_and_b32_e32 v4, 2, v4
	s_delay_alu instid0(VALU_DEP_4) | instskip(NEXT) | instid1(VALU_DEP_4)
	v_and_or_b32 v6, 0xe00, v8, v0
	v_and_b32_e32 v1, 2, v1
	s_delay_alu instid0(VALU_DEP_3) | instskip(NEXT) | instid1(VALU_DEP_2)
	v_lshl_or_b32 v12, v3, 2, v4
	v_lshl_or_b32 v15, v6, 2, v1
	s_branch .LBB76_2
.LBB76_1:                               ;   in Loop: Header=BB76_2 Depth=1
	s_or_b32 exec_lo, exec_lo, s8
	s_waitcnt lgkmcnt(0)
	v_add_nc_u32_e32 v2, v18, v2
	ds_load_b32 v19, v9 offset:16444
	s_add_i32 s9, s9, 1
	s_delay_alu instid0(SALU_CYCLE_1) | instskip(SKIP_3) | instid1(VALU_DEP_1)
	s_cmp_eq_u32 s9, 10
	ds_bpermute_b32 v2, v14, v2
	s_waitcnt lgkmcnt(0)
	v_cndmask_b32_e64 v2, v2, v18, s1
	v_lshl_add_u32 v2, v19, 16, v2
	s_delay_alu instid0(VALU_DEP_1) | instskip(NEXT) | instid1(VALU_DEP_1)
	v_add_nc_u32_e32 v7, v2, v7
	v_add_nc_u32_e32 v8, v7, v8
	s_delay_alu instid0(VALU_DEP_1) | instskip(NEXT) | instid1(VALU_DEP_1)
	v_add_nc_u32_e32 v5, v8, v5
	v_add_nc_u32_e32 v6, v5, v6
	;; [unrolled: 3-line block ×3, first 2 shown]
	s_delay_alu instid0(VALU_DEP_1)
	v_add_nc_u32_e32 v1, v4, v1
	ds_store_2addr_b32 v10, v2, v7 offset1:1
	ds_store_2addr_b32 v10, v8, v5 offset0:2 offset1:3
	ds_store_2addr_b32 v10, v6, v3 offset0:4 offset1:5
	;; [unrolled: 1-line block ×3, first 2 shown]
	s_waitcnt lgkmcnt(0)
	s_barrier
	buffer_gl0_inv
	s_cbranch_scc1 .LBB76_18
.LBB76_2:                               ; =>This Loop Header: Depth=1
                                        ;     Child Loop BB76_3 Depth 2
                                        ;     Child Loop BB76_11 Depth 2
	v_dual_mov_b32 v1, v16 :: v_dual_mov_b32 v2, v11
	s_mov_b32 s14, 0
.LBB76_3:                               ;   Parent Loop BB76_2 Depth=1
                                        ; =>  This Inner Loop Header: Depth=2
	s_delay_alu instid0(VALU_DEP_1) | instskip(SKIP_3) | instid1(VALU_DEP_1)
	v_add_nc_u32_e32 v1, 0x200, v1
	ds_store_b32 v2, v9
	v_add_nc_u32_e32 v2, 0x800, v2
	v_cmp_lt_u32_e64 s8, 0xdff, v1
	s_or_b32 s14, s8, s14
	s_delay_alu instid0(SALU_CYCLE_1)
	s_and_not1_b32 exec_lo, exec_lo, s14
	s_cbranch_execnz .LBB76_3
; %bb.4:                                ;   in Loop: Header=BB76_2 Depth=1
	s_or_b32 exec_lo, exec_lo, s14
	ds_load_u16 v1, v15
	s_waitcnt lgkmcnt(0)
	v_add_nc_u16 v1, v1, 1
	ds_store_b16 v15, v1
	s_waitcnt lgkmcnt(0)
	s_barrier
	buffer_gl0_inv
	ds_load_2addr_b32 v[7:8], v10 offset1:1
	ds_load_2addr_b32 v[5:6], v10 offset0:2 offset1:3
	ds_load_2addr_b32 v[3:4], v10 offset0:4 offset1:5
	ds_load_2addr_b32 v[1:2], v10 offset0:6 offset1:7
	s_waitcnt lgkmcnt(3)
	v_add_nc_u32_e32 v17, v8, v7
	s_waitcnt lgkmcnt(2)
	s_delay_alu instid0(VALU_DEP_1) | instskip(SKIP_1) | instid1(VALU_DEP_1)
	v_add3_u32 v17, v17, v5, v6
	s_waitcnt lgkmcnt(1)
	v_add3_u32 v17, v17, v3, v4
	s_waitcnt lgkmcnt(0)
	s_delay_alu instid0(VALU_DEP_1) | instskip(NEXT) | instid1(VALU_DEP_1)
	v_add3_u32 v2, v17, v1, v2
	v_mov_b32_dpp v17, v2 row_shr:1 row_mask:0xf bank_mask:0xf
	s_delay_alu instid0(VALU_DEP_1) | instskip(NEXT) | instid1(VALU_DEP_1)
	v_cndmask_b32_e64 v17, v17, 0, s2
	v_add_nc_u32_e32 v2, v17, v2
	s_delay_alu instid0(VALU_DEP_1) | instskip(NEXT) | instid1(VALU_DEP_1)
	v_mov_b32_dpp v17, v2 row_shr:2 row_mask:0xf bank_mask:0xf
	v_cndmask_b32_e64 v17, 0, v17, s3
	s_delay_alu instid0(VALU_DEP_1) | instskip(NEXT) | instid1(VALU_DEP_1)
	v_add_nc_u32_e32 v2, v2, v17
	v_mov_b32_dpp v17, v2 row_shr:4 row_mask:0xf bank_mask:0xf
	s_delay_alu instid0(VALU_DEP_1) | instskip(NEXT) | instid1(VALU_DEP_1)
	v_cndmask_b32_e64 v17, 0, v17, s4
	v_add_nc_u32_e32 v2, v2, v17
	s_delay_alu instid0(VALU_DEP_1) | instskip(NEXT) | instid1(VALU_DEP_1)
	v_mov_b32_dpp v17, v2 row_shr:8 row_mask:0xf bank_mask:0xf
	v_cndmask_b32_e64 v17, 0, v17, s5
	s_delay_alu instid0(VALU_DEP_1) | instskip(SKIP_3) | instid1(VALU_DEP_1)
	v_add_nc_u32_e32 v2, v2, v17
	ds_swizzle_b32 v17, v2 offset:swizzle(BROADCAST,32,15)
	s_waitcnt lgkmcnt(0)
	v_cndmask_b32_e64 v17, v17, 0, s6
	v_add_nc_u32_e32 v2, v2, v17
	s_and_saveexec_b32 s8, s7
	s_cbranch_execz .LBB76_6
; %bb.5:                                ;   in Loop: Header=BB76_2 Depth=1
	ds_store_b32 v13, v2 offset:16384
.LBB76_6:                               ;   in Loop: Header=BB76_2 Depth=1
	s_or_b32 exec_lo, exec_lo, s8
	s_waitcnt lgkmcnt(0)
	s_barrier
	buffer_gl0_inv
	s_and_saveexec_b32 s8, vcc_lo
	s_cbranch_execz .LBB76_8
; %bb.7:                                ;   in Loop: Header=BB76_2 Depth=1
	ds_load_b32 v17, v11 offset:16384
	s_waitcnt lgkmcnt(0)
	v_mov_b32_dpp v18, v17 row_shr:1 row_mask:0xf bank_mask:0xf
	s_delay_alu instid0(VALU_DEP_1) | instskip(NEXT) | instid1(VALU_DEP_1)
	v_cndmask_b32_e64 v18, v18, 0, s2
	v_add_nc_u32_e32 v17, v18, v17
	s_delay_alu instid0(VALU_DEP_1) | instskip(NEXT) | instid1(VALU_DEP_1)
	v_mov_b32_dpp v18, v17 row_shr:2 row_mask:0xf bank_mask:0xf
	v_cndmask_b32_e64 v18, 0, v18, s3
	s_delay_alu instid0(VALU_DEP_1) | instskip(NEXT) | instid1(VALU_DEP_1)
	v_add_nc_u32_e32 v17, v17, v18
	v_mov_b32_dpp v18, v17 row_shr:4 row_mask:0xf bank_mask:0xf
	s_delay_alu instid0(VALU_DEP_1) | instskip(NEXT) | instid1(VALU_DEP_1)
	v_cndmask_b32_e64 v18, 0, v18, s4
	v_add_nc_u32_e32 v17, v17, v18
	s_delay_alu instid0(VALU_DEP_1) | instskip(NEXT) | instid1(VALU_DEP_1)
	v_mov_b32_dpp v18, v17 row_shr:8 row_mask:0xf bank_mask:0xf
	v_cndmask_b32_e64 v18, 0, v18, s5
	s_delay_alu instid0(VALU_DEP_1)
	v_add_nc_u32_e32 v17, v17, v18
	ds_store_b32 v11, v17 offset:16384
.LBB76_8:                               ;   in Loop: Header=BB76_2 Depth=1
	s_or_b32 exec_lo, exec_lo, s8
	v_mov_b32_e32 v17, 0
	s_waitcnt lgkmcnt(0)
	s_barrier
	buffer_gl0_inv
	s_and_saveexec_b32 s8, s0
	s_cbranch_execz .LBB76_10
; %bb.9:                                ;   in Loop: Header=BB76_2 Depth=1
	ds_load_b32 v17, v13 offset:16380
.LBB76_10:                              ;   in Loop: Header=BB76_2 Depth=1
	s_or_b32 exec_lo, exec_lo, s8
	s_waitcnt lgkmcnt(0)
	v_add_nc_u32_e32 v2, v17, v2
	ds_load_b32 v18, v9 offset:16444
	s_mov_b32 s14, 0
	ds_bpermute_b32 v2, v14, v2
	s_waitcnt lgkmcnt(0)
	v_cndmask_b32_e64 v2, v2, v17, s1
	s_delay_alu instid0(VALU_DEP_1) | instskip(NEXT) | instid1(VALU_DEP_1)
	v_lshl_add_u32 v17, v18, 16, v2
	v_dual_mov_b32 v2, v16 :: v_dual_add_nc_u32 v7, v17, v7
	s_delay_alu instid0(VALU_DEP_1) | instskip(NEXT) | instid1(VALU_DEP_1)
	v_add_nc_u32_e32 v8, v7, v8
	v_add_nc_u32_e32 v5, v8, v5
	s_delay_alu instid0(VALU_DEP_1) | instskip(NEXT) | instid1(VALU_DEP_1)
	v_add_nc_u32_e32 v6, v5, v6
	v_add_nc_u32_e32 v3, v6, v3
	s_delay_alu instid0(VALU_DEP_1) | instskip(NEXT) | instid1(VALU_DEP_1)
	v_add_nc_u32_e32 v4, v3, v4
	v_dual_mov_b32 v1, v11 :: v_dual_add_nc_u32 v18, v4, v1
	ds_store_2addr_b32 v10, v17, v7 offset1:1
	ds_store_2addr_b32 v10, v8, v5 offset0:2 offset1:3
	ds_store_2addr_b32 v10, v6, v3 offset0:4 offset1:5
	;; [unrolled: 1-line block ×3, first 2 shown]
	s_waitcnt lgkmcnt(0)
	s_barrier
	buffer_gl0_inv
.LBB76_11:                              ;   Parent Loop BB76_2 Depth=1
                                        ; =>  This Inner Loop Header: Depth=2
	v_add_nc_u32_e32 v2, 0x200, v2
	ds_store_b32 v1, v9
	v_add_nc_u32_e32 v1, 0x800, v1
	v_cmp_lt_u32_e64 s8, 0xdff, v2
	s_delay_alu instid0(VALU_DEP_1) | instskip(NEXT) | instid1(SALU_CYCLE_1)
	s_or_b32 s14, s8, s14
	s_and_not1_b32 exec_lo, exec_lo, s14
	s_cbranch_execnz .LBB76_11
; %bb.12:                               ;   in Loop: Header=BB76_2 Depth=1
	s_or_b32 exec_lo, exec_lo, s14
	ds_load_u16 v17, v12
	s_waitcnt lgkmcnt(0)
	v_add_nc_u16 v1, v17, 1
	ds_store_b16 v12, v1
	s_waitcnt lgkmcnt(0)
	s_barrier
	buffer_gl0_inv
	ds_load_2addr_b32 v[7:8], v10 offset1:1
	ds_load_2addr_b32 v[5:6], v10 offset0:2 offset1:3
	ds_load_2addr_b32 v[3:4], v10 offset0:4 offset1:5
	;; [unrolled: 1-line block ×3, first 2 shown]
	s_waitcnt lgkmcnt(3)
	v_add_nc_u32_e32 v18, v8, v7
	s_waitcnt lgkmcnt(2)
	s_delay_alu instid0(VALU_DEP_1) | instskip(SKIP_1) | instid1(VALU_DEP_1)
	v_add3_u32 v18, v18, v5, v6
	s_waitcnt lgkmcnt(1)
	v_add3_u32 v18, v18, v3, v4
	s_waitcnt lgkmcnt(0)
	s_delay_alu instid0(VALU_DEP_1) | instskip(NEXT) | instid1(VALU_DEP_1)
	v_add3_u32 v2, v18, v1, v2
	v_mov_b32_dpp v18, v2 row_shr:1 row_mask:0xf bank_mask:0xf
	s_delay_alu instid0(VALU_DEP_1) | instskip(NEXT) | instid1(VALU_DEP_1)
	v_cndmask_b32_e64 v18, v18, 0, s2
	v_add_nc_u32_e32 v2, v18, v2
	s_delay_alu instid0(VALU_DEP_1) | instskip(NEXT) | instid1(VALU_DEP_1)
	v_mov_b32_dpp v18, v2 row_shr:2 row_mask:0xf bank_mask:0xf
	v_cndmask_b32_e64 v18, 0, v18, s3
	s_delay_alu instid0(VALU_DEP_1) | instskip(NEXT) | instid1(VALU_DEP_1)
	v_add_nc_u32_e32 v2, v2, v18
	v_mov_b32_dpp v18, v2 row_shr:4 row_mask:0xf bank_mask:0xf
	s_delay_alu instid0(VALU_DEP_1) | instskip(NEXT) | instid1(VALU_DEP_1)
	v_cndmask_b32_e64 v18, 0, v18, s4
	v_add_nc_u32_e32 v2, v2, v18
	s_delay_alu instid0(VALU_DEP_1) | instskip(NEXT) | instid1(VALU_DEP_1)
	v_mov_b32_dpp v18, v2 row_shr:8 row_mask:0xf bank_mask:0xf
	v_cndmask_b32_e64 v18, 0, v18, s5
	s_delay_alu instid0(VALU_DEP_1) | instskip(SKIP_3) | instid1(VALU_DEP_1)
	v_add_nc_u32_e32 v2, v2, v18
	ds_swizzle_b32 v18, v2 offset:swizzle(BROADCAST,32,15)
	s_waitcnt lgkmcnt(0)
	v_cndmask_b32_e64 v18, v18, 0, s6
	v_add_nc_u32_e32 v2, v2, v18
	s_and_saveexec_b32 s8, s7
	s_cbranch_execz .LBB76_14
; %bb.13:                               ;   in Loop: Header=BB76_2 Depth=1
	ds_store_b32 v13, v2 offset:16384
.LBB76_14:                              ;   in Loop: Header=BB76_2 Depth=1
	s_or_b32 exec_lo, exec_lo, s8
	s_waitcnt lgkmcnt(0)
	s_barrier
	buffer_gl0_inv
	s_and_saveexec_b32 s8, vcc_lo
	s_cbranch_execz .LBB76_16
; %bb.15:                               ;   in Loop: Header=BB76_2 Depth=1
	ds_load_b32 v18, v11 offset:16384
	s_waitcnt lgkmcnt(0)
	v_mov_b32_dpp v19, v18 row_shr:1 row_mask:0xf bank_mask:0xf
	s_delay_alu instid0(VALU_DEP_1) | instskip(NEXT) | instid1(VALU_DEP_1)
	v_cndmask_b32_e64 v19, v19, 0, s2
	v_add_nc_u32_e32 v18, v19, v18
	s_delay_alu instid0(VALU_DEP_1) | instskip(NEXT) | instid1(VALU_DEP_1)
	v_mov_b32_dpp v19, v18 row_shr:2 row_mask:0xf bank_mask:0xf
	v_cndmask_b32_e64 v19, 0, v19, s3
	s_delay_alu instid0(VALU_DEP_1) | instskip(NEXT) | instid1(VALU_DEP_1)
	v_add_nc_u32_e32 v18, v18, v19
	v_mov_b32_dpp v19, v18 row_shr:4 row_mask:0xf bank_mask:0xf
	s_delay_alu instid0(VALU_DEP_1) | instskip(NEXT) | instid1(VALU_DEP_1)
	v_cndmask_b32_e64 v19, 0, v19, s4
	v_add_nc_u32_e32 v18, v18, v19
	s_delay_alu instid0(VALU_DEP_1) | instskip(NEXT) | instid1(VALU_DEP_1)
	v_mov_b32_dpp v19, v18 row_shr:8 row_mask:0xf bank_mask:0xf
	v_cndmask_b32_e64 v19, 0, v19, s5
	s_delay_alu instid0(VALU_DEP_1)
	v_add_nc_u32_e32 v18, v18, v19
	ds_store_b32 v11, v18 offset:16384
.LBB76_16:                              ;   in Loop: Header=BB76_2 Depth=1
	s_or_b32 exec_lo, exec_lo, s8
	v_mov_b32_e32 v18, 0
	s_waitcnt lgkmcnt(0)
	s_barrier
	buffer_gl0_inv
	s_and_saveexec_b32 s8, s0
	s_cbranch_execz .LBB76_1
; %bb.17:                               ;   in Loop: Header=BB76_2 Depth=1
	ds_load_b32 v18, v13 offset:16380
	s_branch .LBB76_1
.LBB76_18:
	ds_load_u16 v1, v12
	v_and_b32_e32 v2, 0xffff, v17
	s_lshl_b64 s[0:1], s[12:13], 2
	v_lshlrev_b32_e32 v0, 2, v0
	s_add_u32 s0, s10, s0
	s_addc_u32 s1, s11, s1
	s_waitcnt lgkmcnt(0)
	v_add_nc_u32_e32 v1, v1, v2
	global_store_b32 v0, v1, s[0:1]
	s_nop 0
	s_sendmsg sendmsg(MSG_DEALLOC_VGPRS)
	s_endpgm
	.section	.rodata,"a",@progbits
	.p2align	6, 0x0
	.amdhsa_kernel _Z11rank_kernelIhLj4ELb0EL18RadixRankAlgorithm1ELj512ELj1ELj10EEvPKT_Pi
		.amdhsa_group_segment_fixed_size 16448
		.amdhsa_private_segment_fixed_size 0
		.amdhsa_kernarg_size 16
		.amdhsa_user_sgpr_count 15
		.amdhsa_user_sgpr_dispatch_ptr 0
		.amdhsa_user_sgpr_queue_ptr 0
		.amdhsa_user_sgpr_kernarg_segment_ptr 1
		.amdhsa_user_sgpr_dispatch_id 0
		.amdhsa_user_sgpr_private_segment_size 0
		.amdhsa_wavefront_size32 1
		.amdhsa_uses_dynamic_stack 0
		.amdhsa_enable_private_segment 0
		.amdhsa_system_sgpr_workgroup_id_x 1
		.amdhsa_system_sgpr_workgroup_id_y 0
		.amdhsa_system_sgpr_workgroup_id_z 0
		.amdhsa_system_sgpr_workgroup_info 0
		.amdhsa_system_vgpr_workitem_id 0
		.amdhsa_next_free_vgpr 20
		.amdhsa_next_free_sgpr 16
		.amdhsa_reserve_vcc 1
		.amdhsa_float_round_mode_32 0
		.amdhsa_float_round_mode_16_64 0
		.amdhsa_float_denorm_mode_32 3
		.amdhsa_float_denorm_mode_16_64 3
		.amdhsa_dx10_clamp 1
		.amdhsa_ieee_mode 1
		.amdhsa_fp16_overflow 0
		.amdhsa_workgroup_processor_mode 1
		.amdhsa_memory_ordered 1
		.amdhsa_forward_progress 0
		.amdhsa_shared_vgpr_count 0
		.amdhsa_exception_fp_ieee_invalid_op 0
		.amdhsa_exception_fp_denorm_src 0
		.amdhsa_exception_fp_ieee_div_zero 0
		.amdhsa_exception_fp_ieee_overflow 0
		.amdhsa_exception_fp_ieee_underflow 0
		.amdhsa_exception_fp_ieee_inexact 0
		.amdhsa_exception_int_div_zero 0
	.end_amdhsa_kernel
	.section	.text._Z11rank_kernelIhLj4ELb0EL18RadixRankAlgorithm1ELj512ELj1ELj10EEvPKT_Pi,"axG",@progbits,_Z11rank_kernelIhLj4ELb0EL18RadixRankAlgorithm1ELj512ELj1ELj10EEvPKT_Pi,comdat
.Lfunc_end76:
	.size	_Z11rank_kernelIhLj4ELb0EL18RadixRankAlgorithm1ELj512ELj1ELj10EEvPKT_Pi, .Lfunc_end76-_Z11rank_kernelIhLj4ELb0EL18RadixRankAlgorithm1ELj512ELj1ELj10EEvPKT_Pi
                                        ; -- End function
	.section	.AMDGPU.csdata,"",@progbits
; Kernel info:
; codeLenInByte = 1700
; NumSgprs: 18
; NumVgprs: 20
; ScratchSize: 0
; MemoryBound: 0
; FloatMode: 240
; IeeeMode: 1
; LDSByteSize: 16448 bytes/workgroup (compile time only)
; SGPRBlocks: 2
; VGPRBlocks: 2
; NumSGPRsForWavesPerEU: 18
; NumVGPRsForWavesPerEU: 20
; Occupancy: 16
; WaveLimiterHint : 0
; COMPUTE_PGM_RSRC2:SCRATCH_EN: 0
; COMPUTE_PGM_RSRC2:USER_SGPR: 15
; COMPUTE_PGM_RSRC2:TRAP_HANDLER: 0
; COMPUTE_PGM_RSRC2:TGID_X_EN: 1
; COMPUTE_PGM_RSRC2:TGID_Y_EN: 0
; COMPUTE_PGM_RSRC2:TGID_Z_EN: 0
; COMPUTE_PGM_RSRC2:TIDIG_COMP_CNT: 0
	.section	.text._Z11rank_kernelIhLj4ELb0EL18RadixRankAlgorithm2ELj512ELj1ELj10EEvPKT_Pi,"axG",@progbits,_Z11rank_kernelIhLj4ELb0EL18RadixRankAlgorithm2ELj512ELj1ELj10EEvPKT_Pi,comdat
	.protected	_Z11rank_kernelIhLj4ELb0EL18RadixRankAlgorithm2ELj512ELj1ELj10EEvPKT_Pi ; -- Begin function _Z11rank_kernelIhLj4ELb0EL18RadixRankAlgorithm2ELj512ELj1ELj10EEvPKT_Pi
	.globl	_Z11rank_kernelIhLj4ELb0EL18RadixRankAlgorithm2ELj512ELj1ELj10EEvPKT_Pi
	.p2align	8
	.type	_Z11rank_kernelIhLj4ELb0EL18RadixRankAlgorithm2ELj512ELj1ELj10EEvPKT_Pi,@function
_Z11rank_kernelIhLj4ELb0EL18RadixRankAlgorithm2ELj512ELj1ELj10EEvPKT_Pi: ; @_Z11rank_kernelIhLj4ELb0EL18RadixRankAlgorithm2ELj512ELj1ELj10EEvPKT_Pi
; %bb.0:
	s_clause 0x1
	s_load_b128 s[8:11], s[0:1], 0x0
	s_load_b32 s5, s[0:1], 0x1c
	s_lshl_b32 s12, s15, 9
	v_dual_mov_b32 v2, 0 :: v_dual_and_b32 v1, 0x3ff, v0
	v_mbcnt_lo_u32_b32 v3, -1, 0
	v_bfe_u32 v4, v0, 10, 10
	v_bfe_u32 v5, v0, 20, 10
	s_delay_alu instid0(VALU_DEP_4)
	v_lshrrev_b32_e32 v10, 3, v1
	v_lshlrev_b32_e32 v0, 2, v1
	v_and_b32_e32 v6, 15, v3
	v_and_b32_e32 v7, 16, v3
	v_add_nc_u32_e32 v9, -1, v3
	v_cmp_eq_u32_e32 vcc_lo, 0, v3
	s_mov_b32 s13, 0
	v_cmp_lt_u32_e64 s2, 3, v6
	v_cmp_lt_u32_e64 s3, 7, v6
	v_cmp_eq_u32_e64 s4, 0, v7
	s_mov_b32 s14, 10
	s_waitcnt lgkmcnt(0)
	s_add_u32 s0, s8, s12
	s_addc_u32 s1, s9, 0
	s_lshr_b32 s6, s5, 16
	global_load_u8 v8, v1, s[0:1]
	v_mad_u32_u24 v4, v5, s6, v4
	s_and_b32 s5, s5, 0xffff
	v_cmp_eq_u32_e64 s0, 0, v6
	v_cmp_lt_u32_e64 s1, 1, v6
	v_or_b32_e32 v5, 31, v1
	v_mad_u64_u32 v[6:7], null, v4, s5, v[1:2]
	v_cmp_gt_i32_e64 s5, 0, v9
	v_cmp_lt_u32_e64 s6, 31, v1
	s_delay_alu instid0(VALU_DEP_4) | instskip(NEXT) | instid1(VALU_DEP_3)
	v_cmp_eq_u32_e64 s7, v5, v1
	v_cndmask_b32_e64 v4, v9, v3, s5
	v_lshrrev_b32_e32 v17, 5, v6
	v_and_b32_e32 v3, 60, v10
	v_cmp_gt_u32_e64 s5, 16, v1
	s_delay_alu instid0(VALU_DEP_4) | instskip(NEXT) | instid1(VALU_DEP_3)
	v_lshlrev_b32_e32 v4, 2, v4
	v_add_nc_u32_e32 v5, -4, v3
	s_waitcnt vmcnt(0)
	v_lshrrev_b32_e32 v6, 4, v8
	v_and_b32_e32 v9, 1, v8
	v_and_b32_e32 v7, 15, v8
	v_lshlrev_b32_e32 v10, 30, v8
	v_lshlrev_b32_e32 v11, 29, v8
	v_mul_u32_u24_e32 v14, 17, v6
	v_lshlrev_b32_e32 v20, 30, v6
	v_lshlrev_b32_e32 v21, 29, v6
	;; [unrolled: 1-line block ×3, first 2 shown]
	v_add_co_u32 v6, s8, v9, -1
	v_mul_u32_u24_e32 v19, 17, v7
	v_cndmask_b32_e64 v7, 0, 1, s8
	v_cmp_gt_i32_e64 s8, 0, v10
	v_lshlrev_b32_e32 v12, 28, v8
	v_bfe_u32 v13, v8, 4, 1
	v_not_b32_e32 v15, v10
	v_not_b32_e32 v16, v11
	v_cndmask_b32_e64 v8, 0, 1, s8
	v_cmp_gt_i32_e64 s8, 0, v11
	v_not_b32_e32 v18, v12
	v_not_b32_e32 v22, v20
	;; [unrolled: 1-line block ×4, first 2 shown]
	v_cndmask_b32_e64 v9, 0, 1, s8
	v_cmp_gt_i32_e64 s8, 0, v12
	v_add_lshl_u32 v12, v17, v14, 2
	v_ashrrev_i32_e32 v14, 31, v15
	v_ashrrev_i32_e32 v15, 31, v16
	v_ashrrev_i32_e32 v16, 31, v18
	v_cndmask_b32_e64 v10, 0, 1, s8
	v_add_co_u32 v11, s8, v13, -1
	s_delay_alu instid0(VALU_DEP_1) | instskip(SKIP_4) | instid1(VALU_DEP_4)
	v_cndmask_b32_e64 v13, 0, 1, s8
	v_cmp_gt_i32_e64 s8, 0, v20
	v_add_lshl_u32 v17, v17, v19, 2
	v_ashrrev_i32_e32 v20, 31, v22
	v_ashrrev_i32_e32 v22, 31, v25
	v_cndmask_b32_e64 v18, 0, 1, s8
	v_cmp_gt_i32_e64 s8, 0, v21
	v_ashrrev_i32_e32 v21, 31, v24
	s_delay_alu instid0(VALU_DEP_2) | instskip(SKIP_1) | instid1(VALU_DEP_1)
	v_cndmask_b32_e64 v19, 0, 1, s8
	v_cmp_gt_i32_e64 s8, 0, v23
	v_cndmask_b32_e64 v23, 0, 1, s8
	s_branch .LBB77_2
.LBB77_1:                               ;   in Loop: Header=BB77_2 Depth=1
	s_or_b32 exec_lo, exec_lo, s8
	s_waitcnt lgkmcnt(0)
	v_add_nc_u32_e32 v25, v26, v25
	s_add_i32 s14, s14, -1
	s_delay_alu instid0(SALU_CYCLE_1)
	s_cmp_eq_u32 s14, 0
	ds_bpermute_b32 v25, v4, v25
	s_waitcnt lgkmcnt(0)
	v_cndmask_b32_e32 v25, v25, v26, vcc_lo
	ds_store_b32 v0, v25 offset:64
	s_waitcnt lgkmcnt(0)
	s_barrier
	buffer_gl0_inv
	s_cbranch_scc1 .LBB77_18
.LBB77_2:                               ; =>This Inner Loop Header: Depth=1
	v_cmp_ne_u32_e64 s8, 0, v7
	v_cmp_ne_u32_e64 s9, 0, v8
	ds_store_b32 v0, v2 offset:64
	s_waitcnt lgkmcnt(0)
	s_barrier
	v_xor_b32_e32 v24, s8, v6
	v_cmp_ne_u32_e64 s8, 0, v9
	v_xor_b32_e32 v25, s9, v14
	v_cmp_ne_u32_e64 s9, 0, v10
	buffer_gl0_inv
	v_and_b32_e32 v24, exec_lo, v24
	v_xor_b32_e32 v26, s8, v15
	; wave barrier
	s_delay_alu instid0(VALU_DEP_2) | instskip(SKIP_1) | instid1(VALU_DEP_2)
	v_and_b32_e32 v24, v24, v25
	v_xor_b32_e32 v25, s9, v16
	v_and_b32_e32 v24, v24, v26
	s_delay_alu instid0(VALU_DEP_1) | instskip(NEXT) | instid1(VALU_DEP_1)
	v_and_b32_e32 v24, v24, v25
	v_mbcnt_lo_u32_b32 v25, v24, 0
	v_cmp_ne_u32_e64 s9, 0, v24
	s_delay_alu instid0(VALU_DEP_2) | instskip(NEXT) | instid1(VALU_DEP_1)
	v_cmp_eq_u32_e64 s8, 0, v25
	s_and_b32 s9, s9, s8
	s_delay_alu instid0(SALU_CYCLE_1)
	s_and_saveexec_b32 s8, s9
	s_cbranch_execz .LBB77_4
; %bb.3:                                ;   in Loop: Header=BB77_2 Depth=1
	v_bcnt_u32_b32 v24, v24, 0
	ds_store_b32 v17, v24 offset:64
.LBB77_4:                               ;   in Loop: Header=BB77_2 Depth=1
	s_or_b32 exec_lo, exec_lo, s8
	; wave barrier
	s_waitcnt lgkmcnt(0)
	s_barrier
	buffer_gl0_inv
	ds_load_b32 v24, v0 offset:64
	s_waitcnt lgkmcnt(0)
	v_mov_b32_dpp v25, v24 row_shr:1 row_mask:0xf bank_mask:0xf
	s_delay_alu instid0(VALU_DEP_1) | instskip(NEXT) | instid1(VALU_DEP_1)
	v_cndmask_b32_e64 v25, v25, 0, s0
	v_add_nc_u32_e32 v24, v25, v24
	s_delay_alu instid0(VALU_DEP_1) | instskip(NEXT) | instid1(VALU_DEP_1)
	v_mov_b32_dpp v25, v24 row_shr:2 row_mask:0xf bank_mask:0xf
	v_cndmask_b32_e64 v25, 0, v25, s1
	s_delay_alu instid0(VALU_DEP_1) | instskip(NEXT) | instid1(VALU_DEP_1)
	v_add_nc_u32_e32 v24, v24, v25
	v_mov_b32_dpp v25, v24 row_shr:4 row_mask:0xf bank_mask:0xf
	s_delay_alu instid0(VALU_DEP_1) | instskip(NEXT) | instid1(VALU_DEP_1)
	v_cndmask_b32_e64 v25, 0, v25, s2
	v_add_nc_u32_e32 v24, v24, v25
	s_delay_alu instid0(VALU_DEP_1) | instskip(NEXT) | instid1(VALU_DEP_1)
	v_mov_b32_dpp v25, v24 row_shr:8 row_mask:0xf bank_mask:0xf
	v_cndmask_b32_e64 v25, 0, v25, s3
	s_delay_alu instid0(VALU_DEP_1) | instskip(SKIP_3) | instid1(VALU_DEP_1)
	v_add_nc_u32_e32 v24, v24, v25
	ds_swizzle_b32 v25, v24 offset:swizzle(BROADCAST,32,15)
	s_waitcnt lgkmcnt(0)
	v_cndmask_b32_e64 v25, v25, 0, s4
	v_add_nc_u32_e32 v24, v24, v25
	s_and_saveexec_b32 s8, s7
	s_cbranch_execz .LBB77_6
; %bb.5:                                ;   in Loop: Header=BB77_2 Depth=1
	ds_store_b32 v3, v24
.LBB77_6:                               ;   in Loop: Header=BB77_2 Depth=1
	s_or_b32 exec_lo, exec_lo, s8
	s_waitcnt lgkmcnt(0)
	s_barrier
	buffer_gl0_inv
	s_and_saveexec_b32 s8, s5
	s_cbranch_execz .LBB77_8
; %bb.7:                                ;   in Loop: Header=BB77_2 Depth=1
	ds_load_b32 v25, v0
	s_waitcnt lgkmcnt(0)
	v_mov_b32_dpp v26, v25 row_shr:1 row_mask:0xf bank_mask:0xf
	s_delay_alu instid0(VALU_DEP_1) | instskip(NEXT) | instid1(VALU_DEP_1)
	v_cndmask_b32_e64 v26, v26, 0, s0
	v_add_nc_u32_e32 v25, v26, v25
	s_delay_alu instid0(VALU_DEP_1) | instskip(NEXT) | instid1(VALU_DEP_1)
	v_mov_b32_dpp v26, v25 row_shr:2 row_mask:0xf bank_mask:0xf
	v_cndmask_b32_e64 v26, 0, v26, s1
	s_delay_alu instid0(VALU_DEP_1) | instskip(NEXT) | instid1(VALU_DEP_1)
	v_add_nc_u32_e32 v25, v25, v26
	v_mov_b32_dpp v26, v25 row_shr:4 row_mask:0xf bank_mask:0xf
	s_delay_alu instid0(VALU_DEP_1) | instskip(NEXT) | instid1(VALU_DEP_1)
	v_cndmask_b32_e64 v26, 0, v26, s2
	v_add_nc_u32_e32 v25, v25, v26
	s_delay_alu instid0(VALU_DEP_1) | instskip(NEXT) | instid1(VALU_DEP_1)
	v_mov_b32_dpp v26, v25 row_shr:8 row_mask:0xf bank_mask:0xf
	v_cndmask_b32_e64 v26, 0, v26, s3
	s_delay_alu instid0(VALU_DEP_1)
	v_add_nc_u32_e32 v25, v25, v26
	ds_store_b32 v0, v25
.LBB77_8:                               ;   in Loop: Header=BB77_2 Depth=1
	s_or_b32 exec_lo, exec_lo, s8
	v_mov_b32_e32 v25, 0
	s_waitcnt lgkmcnt(0)
	s_barrier
	buffer_gl0_inv
	s_and_saveexec_b32 s8, s6
	s_cbranch_execz .LBB77_10
; %bb.9:                                ;   in Loop: Header=BB77_2 Depth=1
	ds_load_b32 v25, v5
.LBB77_10:                              ;   in Loop: Header=BB77_2 Depth=1
	s_or_b32 exec_lo, exec_lo, s8
	s_waitcnt lgkmcnt(0)
	v_add_nc_u32_e32 v24, v25, v24
	v_cmp_ne_u32_e64 s8, 0, v13
	v_cmp_ne_u32_e64 s9, 0, v18
	ds_bpermute_b32 v24, v4, v24
	v_xor_b32_e32 v26, s8, v11
	v_cmp_ne_u32_e64 s8, 0, v19
	v_xor_b32_e32 v27, s9, v20
	v_cmp_ne_u32_e64 s9, 0, v23
	s_delay_alu instid0(VALU_DEP_4) | instskip(NEXT) | instid1(VALU_DEP_4)
	v_and_b32_e32 v26, exec_lo, v26
	v_xor_b32_e32 v28, s8, v21
	s_delay_alu instid0(VALU_DEP_2) | instskip(NEXT) | instid1(VALU_DEP_4)
	v_and_b32_e32 v26, v26, v27
	v_xor_b32_e32 v27, s9, v22
	s_delay_alu instid0(VALU_DEP_2) | instskip(SKIP_1) | instid1(VALU_DEP_1)
	v_and_b32_e32 v26, v26, v28
	s_waitcnt lgkmcnt(0)
	v_dual_cndmask_b32 v24, v24, v25 :: v_dual_and_b32 v25, v26, v27
	ds_store_b32 v0, v24 offset:64
	v_mbcnt_lo_u32_b32 v24, v25, 0
	v_cmp_ne_u32_e64 s9, 0, v25
	s_waitcnt lgkmcnt(0)
	s_barrier
	buffer_gl0_inv
	v_cmp_eq_u32_e64 s8, 0, v24
	ds_store_b32 v0, v2 offset:64
	s_waitcnt lgkmcnt(0)
	s_barrier
	buffer_gl0_inv
	s_and_b32 s9, s9, s8
	; wave barrier
	s_delay_alu instid0(SALU_CYCLE_1)
	s_and_saveexec_b32 s8, s9
	s_cbranch_execz .LBB77_12
; %bb.11:                               ;   in Loop: Header=BB77_2 Depth=1
	v_bcnt_u32_b32 v25, v25, 0
	ds_store_b32 v12, v25 offset:64
.LBB77_12:                              ;   in Loop: Header=BB77_2 Depth=1
	s_or_b32 exec_lo, exec_lo, s8
	; wave barrier
	s_waitcnt lgkmcnt(0)
	s_barrier
	buffer_gl0_inv
	ds_load_b32 v25, v0 offset:64
	s_waitcnt lgkmcnt(0)
	v_mov_b32_dpp v26, v25 row_shr:1 row_mask:0xf bank_mask:0xf
	s_delay_alu instid0(VALU_DEP_1) | instskip(NEXT) | instid1(VALU_DEP_1)
	v_cndmask_b32_e64 v26, v26, 0, s0
	v_add_nc_u32_e32 v25, v26, v25
	s_delay_alu instid0(VALU_DEP_1) | instskip(NEXT) | instid1(VALU_DEP_1)
	v_mov_b32_dpp v26, v25 row_shr:2 row_mask:0xf bank_mask:0xf
	v_cndmask_b32_e64 v26, 0, v26, s1
	s_delay_alu instid0(VALU_DEP_1) | instskip(NEXT) | instid1(VALU_DEP_1)
	v_add_nc_u32_e32 v25, v25, v26
	v_mov_b32_dpp v26, v25 row_shr:4 row_mask:0xf bank_mask:0xf
	s_delay_alu instid0(VALU_DEP_1) | instskip(NEXT) | instid1(VALU_DEP_1)
	v_cndmask_b32_e64 v26, 0, v26, s2
	v_add_nc_u32_e32 v25, v25, v26
	s_delay_alu instid0(VALU_DEP_1) | instskip(NEXT) | instid1(VALU_DEP_1)
	v_mov_b32_dpp v26, v25 row_shr:8 row_mask:0xf bank_mask:0xf
	v_cndmask_b32_e64 v26, 0, v26, s3
	s_delay_alu instid0(VALU_DEP_1) | instskip(SKIP_3) | instid1(VALU_DEP_1)
	v_add_nc_u32_e32 v25, v25, v26
	ds_swizzle_b32 v26, v25 offset:swizzle(BROADCAST,32,15)
	s_waitcnt lgkmcnt(0)
	v_cndmask_b32_e64 v26, v26, 0, s4
	v_add_nc_u32_e32 v25, v25, v26
	s_and_saveexec_b32 s8, s7
	s_cbranch_execz .LBB77_14
; %bb.13:                               ;   in Loop: Header=BB77_2 Depth=1
	ds_store_b32 v3, v25
.LBB77_14:                              ;   in Loop: Header=BB77_2 Depth=1
	s_or_b32 exec_lo, exec_lo, s8
	s_waitcnt lgkmcnt(0)
	s_barrier
	buffer_gl0_inv
	s_and_saveexec_b32 s8, s5
	s_cbranch_execz .LBB77_16
; %bb.15:                               ;   in Loop: Header=BB77_2 Depth=1
	ds_load_b32 v26, v0
	s_waitcnt lgkmcnt(0)
	v_mov_b32_dpp v27, v26 row_shr:1 row_mask:0xf bank_mask:0xf
	s_delay_alu instid0(VALU_DEP_1) | instskip(NEXT) | instid1(VALU_DEP_1)
	v_cndmask_b32_e64 v27, v27, 0, s0
	v_add_nc_u32_e32 v26, v27, v26
	s_delay_alu instid0(VALU_DEP_1) | instskip(NEXT) | instid1(VALU_DEP_1)
	v_mov_b32_dpp v27, v26 row_shr:2 row_mask:0xf bank_mask:0xf
	v_cndmask_b32_e64 v27, 0, v27, s1
	s_delay_alu instid0(VALU_DEP_1) | instskip(NEXT) | instid1(VALU_DEP_1)
	v_add_nc_u32_e32 v26, v26, v27
	v_mov_b32_dpp v27, v26 row_shr:4 row_mask:0xf bank_mask:0xf
	s_delay_alu instid0(VALU_DEP_1) | instskip(NEXT) | instid1(VALU_DEP_1)
	v_cndmask_b32_e64 v27, 0, v27, s2
	v_add_nc_u32_e32 v26, v26, v27
	s_delay_alu instid0(VALU_DEP_1) | instskip(NEXT) | instid1(VALU_DEP_1)
	v_mov_b32_dpp v27, v26 row_shr:8 row_mask:0xf bank_mask:0xf
	v_cndmask_b32_e64 v27, 0, v27, s3
	s_delay_alu instid0(VALU_DEP_1)
	v_add_nc_u32_e32 v26, v26, v27
	ds_store_b32 v0, v26
.LBB77_16:                              ;   in Loop: Header=BB77_2 Depth=1
	s_or_b32 exec_lo, exec_lo, s8
	v_mov_b32_e32 v26, 0
	s_waitcnt lgkmcnt(0)
	s_barrier
	buffer_gl0_inv
	s_and_saveexec_b32 s8, s6
	s_cbranch_execz .LBB77_1
; %bb.17:                               ;   in Loop: Header=BB77_2 Depth=1
	ds_load_b32 v26, v5
	s_branch .LBB77_1
.LBB77_18:
	ds_load_b32 v0, v12 offset:64
	s_lshl_b64 s[0:1], s[12:13], 2
	v_lshlrev_b32_e32 v1, 2, v1
	s_add_u32 s0, s10, s0
	s_addc_u32 s1, s11, s1
	s_waitcnt lgkmcnt(0)
	v_add_nc_u32_e32 v0, v0, v24
	global_store_b32 v1, v0, s[0:1]
	s_nop 0
	s_sendmsg sendmsg(MSG_DEALLOC_VGPRS)
	s_endpgm
	.section	.rodata,"a",@progbits
	.p2align	6, 0x0
	.amdhsa_kernel _Z11rank_kernelIhLj4ELb0EL18RadixRankAlgorithm2ELj512ELj1ELj10EEvPKT_Pi
		.amdhsa_group_segment_fixed_size 2112
		.amdhsa_private_segment_fixed_size 0
		.amdhsa_kernarg_size 272
		.amdhsa_user_sgpr_count 15
		.amdhsa_user_sgpr_dispatch_ptr 0
		.amdhsa_user_sgpr_queue_ptr 0
		.amdhsa_user_sgpr_kernarg_segment_ptr 1
		.amdhsa_user_sgpr_dispatch_id 0
		.amdhsa_user_sgpr_private_segment_size 0
		.amdhsa_wavefront_size32 1
		.amdhsa_uses_dynamic_stack 0
		.amdhsa_enable_private_segment 0
		.amdhsa_system_sgpr_workgroup_id_x 1
		.amdhsa_system_sgpr_workgroup_id_y 0
		.amdhsa_system_sgpr_workgroup_id_z 0
		.amdhsa_system_sgpr_workgroup_info 0
		.amdhsa_system_vgpr_workitem_id 2
		.amdhsa_next_free_vgpr 29
		.amdhsa_next_free_sgpr 16
		.amdhsa_reserve_vcc 1
		.amdhsa_float_round_mode_32 0
		.amdhsa_float_round_mode_16_64 0
		.amdhsa_float_denorm_mode_32 3
		.amdhsa_float_denorm_mode_16_64 3
		.amdhsa_dx10_clamp 1
		.amdhsa_ieee_mode 1
		.amdhsa_fp16_overflow 0
		.amdhsa_workgroup_processor_mode 1
		.amdhsa_memory_ordered 1
		.amdhsa_forward_progress 0
		.amdhsa_shared_vgpr_count 0
		.amdhsa_exception_fp_ieee_invalid_op 0
		.amdhsa_exception_fp_denorm_src 0
		.amdhsa_exception_fp_ieee_div_zero 0
		.amdhsa_exception_fp_ieee_overflow 0
		.amdhsa_exception_fp_ieee_underflow 0
		.amdhsa_exception_fp_ieee_inexact 0
		.amdhsa_exception_int_div_zero 0
	.end_amdhsa_kernel
	.section	.text._Z11rank_kernelIhLj4ELb0EL18RadixRankAlgorithm2ELj512ELj1ELj10EEvPKT_Pi,"axG",@progbits,_Z11rank_kernelIhLj4ELb0EL18RadixRankAlgorithm2ELj512ELj1ELj10EEvPKT_Pi,comdat
.Lfunc_end77:
	.size	_Z11rank_kernelIhLj4ELb0EL18RadixRankAlgorithm2ELj512ELj1ELj10EEvPKT_Pi, .Lfunc_end77-_Z11rank_kernelIhLj4ELb0EL18RadixRankAlgorithm2ELj512ELj1ELj10EEvPKT_Pi
                                        ; -- End function
	.section	.AMDGPU.csdata,"",@progbits
; Kernel info:
; codeLenInByte = 1736
; NumSgprs: 18
; NumVgprs: 29
; ScratchSize: 0
; MemoryBound: 0
; FloatMode: 240
; IeeeMode: 1
; LDSByteSize: 2112 bytes/workgroup (compile time only)
; SGPRBlocks: 2
; VGPRBlocks: 3
; NumSGPRsForWavesPerEU: 18
; NumVGPRsForWavesPerEU: 29
; Occupancy: 16
; WaveLimiterHint : 0
; COMPUTE_PGM_RSRC2:SCRATCH_EN: 0
; COMPUTE_PGM_RSRC2:USER_SGPR: 15
; COMPUTE_PGM_RSRC2:TRAP_HANDLER: 0
; COMPUTE_PGM_RSRC2:TGID_X_EN: 1
; COMPUTE_PGM_RSRC2:TGID_Y_EN: 0
; COMPUTE_PGM_RSRC2:TGID_Z_EN: 0
; COMPUTE_PGM_RSRC2:TIDIG_COMP_CNT: 2
	.section	.text._Z11rank_kernelIhLj4ELb0EL18RadixRankAlgorithm0ELj512ELj4ELj10EEvPKT_Pi,"axG",@progbits,_Z11rank_kernelIhLj4ELb0EL18RadixRankAlgorithm0ELj512ELj4ELj10EEvPKT_Pi,comdat
	.protected	_Z11rank_kernelIhLj4ELb0EL18RadixRankAlgorithm0ELj512ELj4ELj10EEvPKT_Pi ; -- Begin function _Z11rank_kernelIhLj4ELb0EL18RadixRankAlgorithm0ELj512ELj4ELj10EEvPKT_Pi
	.globl	_Z11rank_kernelIhLj4ELb0EL18RadixRankAlgorithm0ELj512ELj4ELj10EEvPKT_Pi
	.p2align	8
	.type	_Z11rank_kernelIhLj4ELb0EL18RadixRankAlgorithm0ELj512ELj4ELj10EEvPKT_Pi,@function
_Z11rank_kernelIhLj4ELb0EL18RadixRankAlgorithm0ELj512ELj4ELj10EEvPKT_Pi: ; @_Z11rank_kernelIhLj4ELb0EL18RadixRankAlgorithm0ELj512ELj4ELj10EEvPKT_Pi
; %bb.0:
	s_load_b128 s[8:11], s[0:1], 0x0
	s_lshl_b32 s12, s15, 11
	v_dual_mov_b32 v2, 0 :: v_dual_lshlrev_b32 v1, 2, v0
	v_mbcnt_lo_u32_b32 v4, -1, 0
	v_lshrrev_b32_e32 v10, 3, v0
	v_or_b32_e32 v8, 31, v0
	v_lshlrev_b32_e32 v3, 5, v0
	v_cmp_gt_u32_e32 vcc_lo, 16, v0
	v_add_nc_u32_e32 v9, -1, v4
	v_and_b32_e32 v5, 15, v4
	v_and_b32_e32 v6, 16, v4
	v_cmp_eq_u32_e64 s7, v8, v0
	s_mov_b32 s13, 0
	v_cmp_gt_i32_e64 s5, 0, v9
	v_cmp_eq_u32_e64 s2, 0, v5
	v_cmp_lt_u32_e64 s3, 1, v5
	v_cmp_lt_u32_e64 s4, 3, v5
	v_cmp_eq_u32_e64 s6, 0, v6
	v_cndmask_b32_e64 v9, v9, v4, s5
	s_waitcnt lgkmcnt(0)
	s_add_u32 s0, s8, s12
	s_addc_u32 s1, s9, 0
	v_cmp_lt_u32_e64 s5, 7, v5
	global_load_b32 v7, v1, s[0:1]
	v_cmp_eq_u32_e64 s1, 0, v4
	v_and_b32_e32 v4, 60, v10
	v_lshlrev_b32_e32 v5, 2, v9
	v_cmp_lt_u32_e64 s0, 31, v0
	s_mov_b32 s9, s13
	s_waitcnt vmcnt(0)
	v_lshlrev_b32_e32 v9, 9, v7
	v_lshrrev_b32_e32 v10, 2, v7
	v_lshrrev_b32_e32 v21, 19, v7
	v_lshlrev_b32_e32 v6, 5, v7
	v_lshrrev_b32_e32 v8, 6, v7
	v_lshlrev_b32_e32 v11, 1, v7
	v_lshrrev_b32_e32 v12, 10, v7
	v_lshrrev_b32_e32 v13, 7, v7
	;; [unrolled: 1-line block ×9, first 2 shown]
	v_and_or_b32 v9, 0xe00, v9, v0
	v_and_b32_e32 v10, 2, v10
	v_and_or_b32 v21, 0xe00, v21, v0
	v_and_or_b32 v6, 0xe00, v6, v0
	v_and_b32_e32 v8, 2, v8
	v_and_or_b32 v11, 0xe00, v11, v0
	v_and_b32_e32 v12, 2, v12
	;; [unrolled: 2-line block ×6, first 2 shown]
	v_lshl_or_b32 v10, v9, 2, v10
	v_alignbit_b32 v9, v21, v7, 30
	v_lshl_or_b32 v6, v6, 2, v8
	v_lshl_or_b32 v11, v11, 2, v12
	;; [unrolled: 1-line block ×6, first 2 shown]
	v_and_b32_e32 v9, 0x3ffe, v9
	v_or_b32_e32 v0, 0xfffffe00, v0
	s_branch .LBB78_2
.LBB78_1:                               ;   in Loop: Header=BB78_2 Depth=1
	s_or_b32 exec_lo, exec_lo, s8
	s_waitcnt lgkmcnt(0)
	v_add_nc_u32_e32 v18, v19, v18
	ds_load_b32 v22, v2 offset:16444
	ds_load_2addr_b32 v[20:21], v3 offset1:1
	s_add_i32 s9, s9, 1
	s_delay_alu instid0(SALU_CYCLE_1)
	s_cmp_eq_u32 s9, 10
	ds_bpermute_b32 v18, v5, v18
	s_waitcnt lgkmcnt(0)
	v_cndmask_b32_e64 v23, v18, v19, s1
	ds_load_2addr_b32 v[18:19], v3 offset0:2 offset1:3
	v_lshl_add_u32 v24, v22, 16, v23
	ds_load_2addr_b32 v[22:23], v3 offset0:4 offset1:5
	ds_load_b32 v25, v3 offset:24
	v_add_nc_u32_e32 v20, v24, v20
	s_delay_alu instid0(VALU_DEP_1) | instskip(SKIP_1) | instid1(VALU_DEP_1)
	v_add_nc_u32_e32 v21, v21, v20
	s_waitcnt lgkmcnt(2)
	v_add_nc_u32_e32 v18, v18, v21
	s_delay_alu instid0(VALU_DEP_1) | instskip(SKIP_1) | instid1(VALU_DEP_1)
	v_add_nc_u32_e32 v19, v19, v18
	s_waitcnt lgkmcnt(1)
	;; [unrolled: 4-line block ×3, first 2 shown]
	v_add_nc_u32_e32 v25, v25, v23
	ds_store_2addr_b32 v3, v24, v20 offset1:1
	ds_store_2addr_b32 v3, v21, v18 offset0:2 offset1:3
	ds_store_2addr_b32 v3, v19, v22 offset0:4 offset1:5
	;; [unrolled: 1-line block ×3, first 2 shown]
	s_waitcnt lgkmcnt(0)
	s_barrier
	buffer_gl0_inv
	s_cbranch_scc1 .LBB78_18
.LBB78_2:                               ; =>This Loop Header: Depth=1
                                        ;     Child Loop BB78_3 Depth 2
                                        ;     Child Loop BB78_11 Depth 2
	s_delay_alu instid0(VALU_DEP_1)
	v_dual_mov_b32 v14, v0 :: v_dual_mov_b32 v15, v1
	s_mov_b32 s14, 0
.LBB78_3:                               ;   Parent Loop BB78_2 Depth=1
                                        ; =>  This Inner Loop Header: Depth=2
	s_delay_alu instid0(VALU_DEP_1) | instskip(SKIP_3) | instid1(VALU_DEP_1)
	v_add_nc_u32_e32 v14, 0x200, v14
	ds_store_b32 v15, v2
	v_add_nc_u32_e32 v15, 0x800, v15
	v_cmp_lt_u32_e64 s8, 0xdff, v14
	s_or_b32 s14, s8, s14
	s_delay_alu instid0(SALU_CYCLE_1)
	s_and_not1_b32 exec_lo, exec_lo, s14
	s_cbranch_execnz .LBB78_3
; %bb.4:                                ;   in Loop: Header=BB78_2 Depth=1
	s_or_b32 exec_lo, exec_lo, s14
	ds_load_u16 v14, v10
	s_waitcnt lgkmcnt(0)
	v_add_nc_u16 v14, v14, 1
	ds_store_b16 v10, v14
	ds_load_u16 v14, v11
	s_waitcnt lgkmcnt(0)
	v_add_nc_u16 v14, v14, 1
	ds_store_b16 v11, v14
	;; [unrolled: 4-line block ×4, first 2 shown]
	s_waitcnt lgkmcnt(0)
	s_barrier
	buffer_gl0_inv
	ds_load_2addr_b32 v[14:15], v3 offset1:1
	ds_load_2addr_b32 v[16:17], v3 offset0:2 offset1:3
	ds_load_2addr_b32 v[18:19], v3 offset0:4 offset1:5
	;; [unrolled: 1-line block ×3, first 2 shown]
	s_waitcnt lgkmcnt(3)
	v_add_nc_u32_e32 v14, v15, v14
	s_waitcnt lgkmcnt(2)
	s_delay_alu instid0(VALU_DEP_1) | instskip(SKIP_1) | instid1(VALU_DEP_1)
	v_add3_u32 v14, v14, v16, v17
	s_waitcnt lgkmcnt(1)
	v_add3_u32 v14, v14, v18, v19
	s_waitcnt lgkmcnt(0)
	s_delay_alu instid0(VALU_DEP_1) | instskip(NEXT) | instid1(VALU_DEP_1)
	v_add3_u32 v14, v14, v20, v21
	v_mov_b32_dpp v15, v14 row_shr:1 row_mask:0xf bank_mask:0xf
	s_delay_alu instid0(VALU_DEP_1) | instskip(NEXT) | instid1(VALU_DEP_1)
	v_cndmask_b32_e64 v15, v15, 0, s2
	v_add_nc_u32_e32 v14, v15, v14
	s_delay_alu instid0(VALU_DEP_1) | instskip(NEXT) | instid1(VALU_DEP_1)
	v_mov_b32_dpp v15, v14 row_shr:2 row_mask:0xf bank_mask:0xf
	v_cndmask_b32_e64 v15, 0, v15, s3
	s_delay_alu instid0(VALU_DEP_1) | instskip(NEXT) | instid1(VALU_DEP_1)
	v_add_nc_u32_e32 v14, v14, v15
	v_mov_b32_dpp v15, v14 row_shr:4 row_mask:0xf bank_mask:0xf
	s_delay_alu instid0(VALU_DEP_1) | instskip(NEXT) | instid1(VALU_DEP_1)
	v_cndmask_b32_e64 v15, 0, v15, s4
	v_add_nc_u32_e32 v14, v14, v15
	s_delay_alu instid0(VALU_DEP_1) | instskip(NEXT) | instid1(VALU_DEP_1)
	v_mov_b32_dpp v15, v14 row_shr:8 row_mask:0xf bank_mask:0xf
	v_cndmask_b32_e64 v15, 0, v15, s5
	s_delay_alu instid0(VALU_DEP_1) | instskip(SKIP_3) | instid1(VALU_DEP_1)
	v_add_nc_u32_e32 v14, v14, v15
	ds_swizzle_b32 v15, v14 offset:swizzle(BROADCAST,32,15)
	s_waitcnt lgkmcnt(0)
	v_cndmask_b32_e64 v15, v15, 0, s6
	v_add_nc_u32_e32 v14, v14, v15
	s_and_saveexec_b32 s8, s7
	s_cbranch_execz .LBB78_6
; %bb.5:                                ;   in Loop: Header=BB78_2 Depth=1
	ds_store_b32 v4, v14 offset:16384
.LBB78_6:                               ;   in Loop: Header=BB78_2 Depth=1
	s_or_b32 exec_lo, exec_lo, s8
	s_waitcnt lgkmcnt(0)
	s_barrier
	buffer_gl0_inv
	s_and_saveexec_b32 s8, vcc_lo
	s_cbranch_execz .LBB78_8
; %bb.7:                                ;   in Loop: Header=BB78_2 Depth=1
	ds_load_b32 v15, v1 offset:16384
	s_waitcnt lgkmcnt(0)
	v_mov_b32_dpp v16, v15 row_shr:1 row_mask:0xf bank_mask:0xf
	s_delay_alu instid0(VALU_DEP_1) | instskip(NEXT) | instid1(VALU_DEP_1)
	v_cndmask_b32_e64 v16, v16, 0, s2
	v_add_nc_u32_e32 v15, v16, v15
	s_delay_alu instid0(VALU_DEP_1) | instskip(NEXT) | instid1(VALU_DEP_1)
	v_mov_b32_dpp v16, v15 row_shr:2 row_mask:0xf bank_mask:0xf
	v_cndmask_b32_e64 v16, 0, v16, s3
	s_delay_alu instid0(VALU_DEP_1) | instskip(NEXT) | instid1(VALU_DEP_1)
	v_add_nc_u32_e32 v15, v15, v16
	v_mov_b32_dpp v16, v15 row_shr:4 row_mask:0xf bank_mask:0xf
	s_delay_alu instid0(VALU_DEP_1) | instskip(NEXT) | instid1(VALU_DEP_1)
	v_cndmask_b32_e64 v16, 0, v16, s4
	v_add_nc_u32_e32 v15, v15, v16
	s_delay_alu instid0(VALU_DEP_1) | instskip(NEXT) | instid1(VALU_DEP_1)
	v_mov_b32_dpp v16, v15 row_shr:8 row_mask:0xf bank_mask:0xf
	v_cndmask_b32_e64 v16, 0, v16, s5
	s_delay_alu instid0(VALU_DEP_1)
	v_add_nc_u32_e32 v15, v15, v16
	ds_store_b32 v1, v15 offset:16384
.LBB78_8:                               ;   in Loop: Header=BB78_2 Depth=1
	s_or_b32 exec_lo, exec_lo, s8
	v_mov_b32_e32 v15, 0
	s_waitcnt lgkmcnt(0)
	s_barrier
	buffer_gl0_inv
	s_and_saveexec_b32 s8, s0
	s_cbranch_execz .LBB78_10
; %bb.9:                                ;   in Loop: Header=BB78_2 Depth=1
	ds_load_b32 v15, v4 offset:16380
.LBB78_10:                              ;   in Loop: Header=BB78_2 Depth=1
	s_or_b32 exec_lo, exec_lo, s8
	s_waitcnt lgkmcnt(0)
	v_add_nc_u32_e32 v14, v15, v14
	ds_load_b32 v18, v2 offset:16444
	ds_load_2addr_b32 v[16:17], v3 offset1:1
	s_mov_b32 s14, 0
	ds_bpermute_b32 v14, v5, v14
	s_waitcnt lgkmcnt(0)
	v_cndmask_b32_e64 v19, v14, v15, s1
	ds_load_2addr_b32 v[14:15], v3 offset0:2 offset1:3
	v_lshl_add_u32 v20, v18, 16, v19
	ds_load_2addr_b32 v[18:19], v3 offset0:4 offset1:5
	ds_load_b32 v21, v3 offset:24
	v_add_nc_u32_e32 v16, v20, v16
	s_delay_alu instid0(VALU_DEP_1) | instskip(SKIP_1) | instid1(VALU_DEP_1)
	v_add_nc_u32_e32 v17, v17, v16
	s_waitcnt lgkmcnt(2)
	v_add_nc_u32_e32 v22, v14, v17
	s_delay_alu instid0(VALU_DEP_1) | instskip(SKIP_1) | instid1(VALU_DEP_1)
	v_dual_mov_b32 v14, v0 :: v_dual_add_nc_u32 v23, v15, v22
	s_waitcnt lgkmcnt(1)
	v_dual_mov_b32 v15, v1 :: v_dual_add_nc_u32 v18, v18, v23
	s_delay_alu instid0(VALU_DEP_1) | instskip(SKIP_1) | instid1(VALU_DEP_1)
	v_add_nc_u32_e32 v19, v19, v18
	s_waitcnt lgkmcnt(0)
	v_add_nc_u32_e32 v21, v21, v19
	ds_store_2addr_b32 v3, v20, v16 offset1:1
	ds_store_2addr_b32 v3, v17, v22 offset0:2 offset1:3
	ds_store_2addr_b32 v3, v23, v18 offset0:4 offset1:5
	;; [unrolled: 1-line block ×3, first 2 shown]
	s_waitcnt lgkmcnt(0)
	s_barrier
	buffer_gl0_inv
.LBB78_11:                              ;   Parent Loop BB78_2 Depth=1
                                        ; =>  This Inner Loop Header: Depth=2
	v_add_nc_u32_e32 v14, 0x200, v14
	ds_store_b32 v15, v2
	v_add_nc_u32_e32 v15, 0x800, v15
	v_cmp_lt_u32_e64 s8, 0xdff, v14
	s_delay_alu instid0(VALU_DEP_1) | instskip(NEXT) | instid1(SALU_CYCLE_1)
	s_or_b32 s14, s8, s14
	s_and_not1_b32 exec_lo, exec_lo, s14
	s_cbranch_execnz .LBB78_11
; %bb.12:                               ;   in Loop: Header=BB78_2 Depth=1
	s_or_b32 exec_lo, exec_lo, s14
	ds_load_u16 v14, v6
	s_waitcnt lgkmcnt(0)
	v_add_nc_u16 v15, v14, 1
	ds_store_b16 v6, v15
	ds_load_u16 v15, v7
	s_waitcnt lgkmcnt(0)
	v_add_nc_u16 v16, v15, 1
	ds_store_b16 v7, v16
	;; [unrolled: 4-line block ×4, first 2 shown]
	s_waitcnt lgkmcnt(0)
	s_barrier
	buffer_gl0_inv
	ds_load_2addr_b32 v[18:19], v3 offset1:1
	ds_load_2addr_b32 v[20:21], v3 offset0:2 offset1:3
	ds_load_2addr_b32 v[22:23], v3 offset0:4 offset1:5
	;; [unrolled: 1-line block ×3, first 2 shown]
	s_waitcnt lgkmcnt(3)
	v_add_nc_u32_e32 v18, v19, v18
	s_waitcnt lgkmcnt(2)
	s_delay_alu instid0(VALU_DEP_1) | instskip(SKIP_1) | instid1(VALU_DEP_1)
	v_add3_u32 v18, v18, v20, v21
	s_waitcnt lgkmcnt(1)
	v_add3_u32 v18, v18, v22, v23
	s_waitcnt lgkmcnt(0)
	s_delay_alu instid0(VALU_DEP_1) | instskip(NEXT) | instid1(VALU_DEP_1)
	v_add3_u32 v18, v18, v24, v25
	v_mov_b32_dpp v19, v18 row_shr:1 row_mask:0xf bank_mask:0xf
	s_delay_alu instid0(VALU_DEP_1) | instskip(NEXT) | instid1(VALU_DEP_1)
	v_cndmask_b32_e64 v19, v19, 0, s2
	v_add_nc_u32_e32 v18, v19, v18
	s_delay_alu instid0(VALU_DEP_1) | instskip(NEXT) | instid1(VALU_DEP_1)
	v_mov_b32_dpp v19, v18 row_shr:2 row_mask:0xf bank_mask:0xf
	v_cndmask_b32_e64 v19, 0, v19, s3
	s_delay_alu instid0(VALU_DEP_1) | instskip(NEXT) | instid1(VALU_DEP_1)
	v_add_nc_u32_e32 v18, v18, v19
	v_mov_b32_dpp v19, v18 row_shr:4 row_mask:0xf bank_mask:0xf
	s_delay_alu instid0(VALU_DEP_1) | instskip(NEXT) | instid1(VALU_DEP_1)
	v_cndmask_b32_e64 v19, 0, v19, s4
	v_add_nc_u32_e32 v18, v18, v19
	s_delay_alu instid0(VALU_DEP_1) | instskip(NEXT) | instid1(VALU_DEP_1)
	v_mov_b32_dpp v19, v18 row_shr:8 row_mask:0xf bank_mask:0xf
	v_cndmask_b32_e64 v19, 0, v19, s5
	s_delay_alu instid0(VALU_DEP_1) | instskip(SKIP_3) | instid1(VALU_DEP_1)
	v_add_nc_u32_e32 v18, v18, v19
	ds_swizzle_b32 v19, v18 offset:swizzle(BROADCAST,32,15)
	s_waitcnt lgkmcnt(0)
	v_cndmask_b32_e64 v19, v19, 0, s6
	v_add_nc_u32_e32 v18, v18, v19
	s_and_saveexec_b32 s8, s7
	s_cbranch_execz .LBB78_14
; %bb.13:                               ;   in Loop: Header=BB78_2 Depth=1
	ds_store_b32 v4, v18 offset:16384
.LBB78_14:                              ;   in Loop: Header=BB78_2 Depth=1
	s_or_b32 exec_lo, exec_lo, s8
	s_waitcnt lgkmcnt(0)
	s_barrier
	buffer_gl0_inv
	s_and_saveexec_b32 s8, vcc_lo
	s_cbranch_execz .LBB78_16
; %bb.15:                               ;   in Loop: Header=BB78_2 Depth=1
	ds_load_b32 v19, v1 offset:16384
	s_waitcnt lgkmcnt(0)
	v_mov_b32_dpp v20, v19 row_shr:1 row_mask:0xf bank_mask:0xf
	s_delay_alu instid0(VALU_DEP_1) | instskip(NEXT) | instid1(VALU_DEP_1)
	v_cndmask_b32_e64 v20, v20, 0, s2
	v_add_nc_u32_e32 v19, v20, v19
	s_delay_alu instid0(VALU_DEP_1) | instskip(NEXT) | instid1(VALU_DEP_1)
	v_mov_b32_dpp v20, v19 row_shr:2 row_mask:0xf bank_mask:0xf
	v_cndmask_b32_e64 v20, 0, v20, s3
	s_delay_alu instid0(VALU_DEP_1) | instskip(NEXT) | instid1(VALU_DEP_1)
	v_add_nc_u32_e32 v19, v19, v20
	v_mov_b32_dpp v20, v19 row_shr:4 row_mask:0xf bank_mask:0xf
	s_delay_alu instid0(VALU_DEP_1) | instskip(NEXT) | instid1(VALU_DEP_1)
	v_cndmask_b32_e64 v20, 0, v20, s4
	v_add_nc_u32_e32 v19, v19, v20
	s_delay_alu instid0(VALU_DEP_1) | instskip(NEXT) | instid1(VALU_DEP_1)
	v_mov_b32_dpp v20, v19 row_shr:8 row_mask:0xf bank_mask:0xf
	v_cndmask_b32_e64 v20, 0, v20, s5
	s_delay_alu instid0(VALU_DEP_1)
	v_add_nc_u32_e32 v19, v19, v20
	ds_store_b32 v1, v19 offset:16384
.LBB78_16:                              ;   in Loop: Header=BB78_2 Depth=1
	s_or_b32 exec_lo, exec_lo, s8
	v_mov_b32_e32 v19, 0
	s_waitcnt lgkmcnt(0)
	s_barrier
	buffer_gl0_inv
	s_and_saveexec_b32 s8, s0
	s_cbranch_execz .LBB78_1
; %bb.17:                               ;   in Loop: Header=BB78_2 Depth=1
	ds_load_b32 v19, v4 offset:16380
	s_branch .LBB78_1
.LBB78_18:
	ds_load_u16 v0, v6
	ds_load_u16 v3, v7
	;; [unrolled: 1-line block ×4, first 2 shown]
	v_and_b32_e32 v2, 0xffff, v14
	v_and_b32_e32 v6, 0xffff, v15
	;; [unrolled: 1-line block ×4, first 2 shown]
	s_lshl_b64 s[0:1], s[12:13], 2
	s_delay_alu instid0(SALU_CYCLE_1)
	s_add_u32 s0, s10, s0
	s_addc_u32 s1, s11, s1
	s_waitcnt lgkmcnt(3)
	v_add_nc_u32_e32 v2, v0, v2
	s_waitcnt lgkmcnt(2)
	v_add_nc_u32_e32 v3, v3, v6
	;; [unrolled: 2-line block ×4, first 2 shown]
	v_lshlrev_b32_e32 v0, 2, v1
	global_store_b128 v0, v[2:5], s[0:1]
	s_nop 0
	s_sendmsg sendmsg(MSG_DEALLOC_VGPRS)
	s_endpgm
	.section	.rodata,"a",@progbits
	.p2align	6, 0x0
	.amdhsa_kernel _Z11rank_kernelIhLj4ELb0EL18RadixRankAlgorithm0ELj512ELj4ELj10EEvPKT_Pi
		.amdhsa_group_segment_fixed_size 16448
		.amdhsa_private_segment_fixed_size 0
		.amdhsa_kernarg_size 16
		.amdhsa_user_sgpr_count 15
		.amdhsa_user_sgpr_dispatch_ptr 0
		.amdhsa_user_sgpr_queue_ptr 0
		.amdhsa_user_sgpr_kernarg_segment_ptr 1
		.amdhsa_user_sgpr_dispatch_id 0
		.amdhsa_user_sgpr_private_segment_size 0
		.amdhsa_wavefront_size32 1
		.amdhsa_uses_dynamic_stack 0
		.amdhsa_enable_private_segment 0
		.amdhsa_system_sgpr_workgroup_id_x 1
		.amdhsa_system_sgpr_workgroup_id_y 0
		.amdhsa_system_sgpr_workgroup_id_z 0
		.amdhsa_system_sgpr_workgroup_info 0
		.amdhsa_system_vgpr_workitem_id 0
		.amdhsa_next_free_vgpr 26
		.amdhsa_next_free_sgpr 16
		.amdhsa_reserve_vcc 1
		.amdhsa_float_round_mode_32 0
		.amdhsa_float_round_mode_16_64 0
		.amdhsa_float_denorm_mode_32 3
		.amdhsa_float_denorm_mode_16_64 3
		.amdhsa_dx10_clamp 1
		.amdhsa_ieee_mode 1
		.amdhsa_fp16_overflow 0
		.amdhsa_workgroup_processor_mode 1
		.amdhsa_memory_ordered 1
		.amdhsa_forward_progress 0
		.amdhsa_shared_vgpr_count 0
		.amdhsa_exception_fp_ieee_invalid_op 0
		.amdhsa_exception_fp_denorm_src 0
		.amdhsa_exception_fp_ieee_div_zero 0
		.amdhsa_exception_fp_ieee_overflow 0
		.amdhsa_exception_fp_ieee_underflow 0
		.amdhsa_exception_fp_ieee_inexact 0
		.amdhsa_exception_int_div_zero 0
	.end_amdhsa_kernel
	.section	.text._Z11rank_kernelIhLj4ELb0EL18RadixRankAlgorithm0ELj512ELj4ELj10EEvPKT_Pi,"axG",@progbits,_Z11rank_kernelIhLj4ELb0EL18RadixRankAlgorithm0ELj512ELj4ELj10EEvPKT_Pi,comdat
.Lfunc_end78:
	.size	_Z11rank_kernelIhLj4ELb0EL18RadixRankAlgorithm0ELj512ELj4ELj10EEvPKT_Pi, .Lfunc_end78-_Z11rank_kernelIhLj4ELb0EL18RadixRankAlgorithm0ELj512ELj4ELj10EEvPKT_Pi
                                        ; -- End function
	.section	.AMDGPU.csdata,"",@progbits
; Kernel info:
; codeLenInByte = 2200
; NumSgprs: 18
; NumVgprs: 26
; ScratchSize: 0
; MemoryBound: 0
; FloatMode: 240
; IeeeMode: 1
; LDSByteSize: 16448 bytes/workgroup (compile time only)
; SGPRBlocks: 2
; VGPRBlocks: 3
; NumSGPRsForWavesPerEU: 18
; NumVGPRsForWavesPerEU: 26
; Occupancy: 16
; WaveLimiterHint : 0
; COMPUTE_PGM_RSRC2:SCRATCH_EN: 0
; COMPUTE_PGM_RSRC2:USER_SGPR: 15
; COMPUTE_PGM_RSRC2:TRAP_HANDLER: 0
; COMPUTE_PGM_RSRC2:TGID_X_EN: 1
; COMPUTE_PGM_RSRC2:TGID_Y_EN: 0
; COMPUTE_PGM_RSRC2:TGID_Z_EN: 0
; COMPUTE_PGM_RSRC2:TIDIG_COMP_CNT: 0
	.section	.text._Z11rank_kernelIhLj4ELb0EL18RadixRankAlgorithm1ELj512ELj4ELj10EEvPKT_Pi,"axG",@progbits,_Z11rank_kernelIhLj4ELb0EL18RadixRankAlgorithm1ELj512ELj4ELj10EEvPKT_Pi,comdat
	.protected	_Z11rank_kernelIhLj4ELb0EL18RadixRankAlgorithm1ELj512ELj4ELj10EEvPKT_Pi ; -- Begin function _Z11rank_kernelIhLj4ELb0EL18RadixRankAlgorithm1ELj512ELj4ELj10EEvPKT_Pi
	.globl	_Z11rank_kernelIhLj4ELb0EL18RadixRankAlgorithm1ELj512ELj4ELj10EEvPKT_Pi
	.p2align	8
	.type	_Z11rank_kernelIhLj4ELb0EL18RadixRankAlgorithm1ELj512ELj4ELj10EEvPKT_Pi,@function
_Z11rank_kernelIhLj4ELb0EL18RadixRankAlgorithm1ELj512ELj4ELj10EEvPKT_Pi: ; @_Z11rank_kernelIhLj4ELb0EL18RadixRankAlgorithm1ELj512ELj4ELj10EEvPKT_Pi
; %bb.0:
	s_load_b128 s[8:11], s[0:1], 0x0
	s_lshl_b32 s12, s15, 11
	v_dual_mov_b32 v9, 0 :: v_dual_lshlrev_b32 v8, 2, v0
	v_mbcnt_lo_u32_b32 v2, -1, 0
	v_or_b32_e32 v5, 31, v0
	v_lshrrev_b32_e32 v7, 3, v0
	v_lshlrev_b32_e32 v10, 5, v0
	v_cmp_gt_u32_e32 vcc_lo, 16, v0
	v_add_nc_u32_e32 v6, -1, v2
	v_and_b32_e32 v3, 15, v2
	v_and_b32_e32 v4, 16, v2
	v_cmp_eq_u32_e64 s7, v5, v0
	v_and_b32_e32 v11, 60, v7
	v_cmp_gt_i32_e64 s5, 0, v6
	v_cmp_eq_u32_e64 s2, 0, v3
	v_cmp_lt_u32_e64 s3, 1, v3
	v_cmp_lt_u32_e64 s4, 3, v3
	v_cmp_eq_u32_e64 s6, 0, v4
	s_mov_b32 s13, 0
	s_waitcnt lgkmcnt(0)
	s_add_u32 s0, s8, s12
	s_addc_u32 s1, s9, 0
	s_mov_b32 s9, s13
	global_load_b32 v1, v8, s[0:1]
	v_cmp_eq_u32_e64 s1, 0, v2
	v_cndmask_b32_e64 v2, v6, v2, s5
	v_cmp_lt_u32_e64 s5, 7, v3
	v_cmp_lt_u32_e64 s0, 31, v0
	s_delay_alu instid0(VALU_DEP_3)
	v_lshlrev_b32_e32 v12, 2, v2
	s_waitcnt vmcnt(0)
	v_lshrrev_b32_e32 v19, 11, v1
	v_lshrrev_b32_e32 v21, 19, v1
	v_lshlrev_b32_e32 v2, 5, v1
	v_lshrrev_b32_e32 v3, 6, v1
	v_lshlrev_b32_e32 v4, 9, v1
	;; [unrolled: 2-line block ×3, first 2 shown]
	v_lshrrev_b32_e32 v7, 10, v1
	v_lshrrev_b32_e32 v13, 7, v1
	;; [unrolled: 1-line block ×8, first 2 shown]
	v_and_or_b32 v25, 0xe00, v19, v0
	v_and_or_b32 v19, 0xe00, v21, v0
	v_and_or_b32 v2, 0xe00, v2, v0
	v_and_b32_e32 v3, 2, v3
	v_and_or_b32 v4, 0xe00, v4, v0
	v_and_b32_e32 v5, 2, v5
	v_and_or_b32 v6, 0xe00, v6, v0
	;; [unrolled: 2-line block ×5, first 2 shown]
	v_and_b32_e32 v24, 2, v18
	v_and_b32_e32 v21, 2, v20
	v_alignbit_b32 v1, v19, v1, 30
	v_lshl_or_b32 v13, v2, 2, v3
	v_lshl_or_b32 v17, v4, 2, v5
	;; [unrolled: 1-line block ×7, first 2 shown]
	v_and_b32_e32 v16, 0x3ffe, v1
	v_or_b32_e32 v21, 0xfffffe00, v0
	s_branch .LBB79_2
.LBB79_1:                               ;   in Loop: Header=BB79_2 Depth=1
	s_or_b32 exec_lo, exec_lo, s8
	s_waitcnt lgkmcnt(0)
	v_add_nc_u32_e32 v1, v26, v1
	ds_load_b32 v27, v9 offset:16444
	s_add_i32 s9, s9, 1
	s_delay_alu instid0(SALU_CYCLE_1) | instskip(SKIP_3) | instid1(VALU_DEP_1)
	s_cmp_eq_u32 s9, 10
	ds_bpermute_b32 v1, v12, v1
	s_waitcnt lgkmcnt(0)
	v_cndmask_b32_e64 v1, v1, v26, s1
	v_lshl_add_u32 v1, v27, 16, v1
	s_delay_alu instid0(VALU_DEP_1) | instskip(NEXT) | instid1(VALU_DEP_1)
	v_add_nc_u32_e32 v6, v1, v6
	v_add_nc_u32_e32 v7, v6, v7
	s_delay_alu instid0(VALU_DEP_1) | instskip(NEXT) | instid1(VALU_DEP_1)
	v_add_nc_u32_e32 v4, v7, v4
	v_add_nc_u32_e32 v5, v4, v5
	;; [unrolled: 3-line block ×3, first 2 shown]
	s_delay_alu instid0(VALU_DEP_1)
	v_add_nc_u32_e32 v0, v3, v0
	ds_store_2addr_b32 v10, v1, v6 offset1:1
	ds_store_2addr_b32 v10, v7, v4 offset0:2 offset1:3
	ds_store_2addr_b32 v10, v5, v2 offset0:4 offset1:5
	ds_store_2addr_b32 v10, v3, v0 offset0:6 offset1:7
	s_waitcnt lgkmcnt(0)
	s_barrier
	buffer_gl0_inv
	s_cbranch_scc1 .LBB79_18
.LBB79_2:                               ; =>This Loop Header: Depth=1
                                        ;     Child Loop BB79_3 Depth 2
                                        ;     Child Loop BB79_11 Depth 2
	s_delay_alu instid0(VALU_DEP_1)
	v_dual_mov_b32 v0, v21 :: v_dual_mov_b32 v1, v8
	s_mov_b32 s14, 0
.LBB79_3:                               ;   Parent Loop BB79_2 Depth=1
                                        ; =>  This Inner Loop Header: Depth=2
	s_delay_alu instid0(VALU_DEP_1) | instskip(SKIP_3) | instid1(VALU_DEP_1)
	v_add_nc_u32_e32 v0, 0x200, v0
	ds_store_b32 v1, v9
	v_add_nc_u32_e32 v1, 0x800, v1
	v_cmp_lt_u32_e64 s8, 0xdff, v0
	s_or_b32 s14, s8, s14
	s_delay_alu instid0(SALU_CYCLE_1)
	s_and_not1_b32 exec_lo, exec_lo, s14
	s_cbranch_execnz .LBB79_3
; %bb.4:                                ;   in Loop: Header=BB79_2 Depth=1
	s_or_b32 exec_lo, exec_lo, s14
	ds_load_u16 v0, v17
	s_waitcnt lgkmcnt(0)
	v_add_nc_u16 v0, v0, 1
	ds_store_b16 v17, v0
	ds_load_u16 v0, v18
	s_waitcnt lgkmcnt(0)
	v_add_nc_u16 v0, v0, 1
	ds_store_b16 v18, v0
	;; [unrolled: 4-line block ×4, first 2 shown]
	s_waitcnt lgkmcnt(0)
	s_barrier
	buffer_gl0_inv
	ds_load_2addr_b32 v[6:7], v10 offset1:1
	ds_load_2addr_b32 v[4:5], v10 offset0:2 offset1:3
	ds_load_2addr_b32 v[2:3], v10 offset0:4 offset1:5
	;; [unrolled: 1-line block ×3, first 2 shown]
	s_waitcnt lgkmcnt(3)
	v_add_nc_u32_e32 v22, v7, v6
	s_waitcnt lgkmcnt(2)
	s_delay_alu instid0(VALU_DEP_1) | instskip(SKIP_1) | instid1(VALU_DEP_1)
	v_add3_u32 v22, v22, v4, v5
	s_waitcnt lgkmcnt(1)
	v_add3_u32 v22, v22, v2, v3
	s_waitcnt lgkmcnt(0)
	s_delay_alu instid0(VALU_DEP_1) | instskip(NEXT) | instid1(VALU_DEP_1)
	v_add3_u32 v1, v22, v0, v1
	v_mov_b32_dpp v22, v1 row_shr:1 row_mask:0xf bank_mask:0xf
	s_delay_alu instid0(VALU_DEP_1) | instskip(NEXT) | instid1(VALU_DEP_1)
	v_cndmask_b32_e64 v22, v22, 0, s2
	v_add_nc_u32_e32 v1, v22, v1
	s_delay_alu instid0(VALU_DEP_1) | instskip(NEXT) | instid1(VALU_DEP_1)
	v_mov_b32_dpp v22, v1 row_shr:2 row_mask:0xf bank_mask:0xf
	v_cndmask_b32_e64 v22, 0, v22, s3
	s_delay_alu instid0(VALU_DEP_1) | instskip(NEXT) | instid1(VALU_DEP_1)
	v_add_nc_u32_e32 v1, v1, v22
	v_mov_b32_dpp v22, v1 row_shr:4 row_mask:0xf bank_mask:0xf
	s_delay_alu instid0(VALU_DEP_1) | instskip(NEXT) | instid1(VALU_DEP_1)
	v_cndmask_b32_e64 v22, 0, v22, s4
	v_add_nc_u32_e32 v1, v1, v22
	s_delay_alu instid0(VALU_DEP_1) | instskip(NEXT) | instid1(VALU_DEP_1)
	v_mov_b32_dpp v22, v1 row_shr:8 row_mask:0xf bank_mask:0xf
	v_cndmask_b32_e64 v22, 0, v22, s5
	s_delay_alu instid0(VALU_DEP_1) | instskip(SKIP_3) | instid1(VALU_DEP_1)
	v_add_nc_u32_e32 v1, v1, v22
	ds_swizzle_b32 v22, v1 offset:swizzle(BROADCAST,32,15)
	s_waitcnt lgkmcnt(0)
	v_cndmask_b32_e64 v22, v22, 0, s6
	v_add_nc_u32_e32 v1, v1, v22
	s_and_saveexec_b32 s8, s7
	s_cbranch_execz .LBB79_6
; %bb.5:                                ;   in Loop: Header=BB79_2 Depth=1
	ds_store_b32 v11, v1 offset:16384
.LBB79_6:                               ;   in Loop: Header=BB79_2 Depth=1
	s_or_b32 exec_lo, exec_lo, s8
	s_waitcnt lgkmcnt(0)
	s_barrier
	buffer_gl0_inv
	s_and_saveexec_b32 s8, vcc_lo
	s_cbranch_execz .LBB79_8
; %bb.7:                                ;   in Loop: Header=BB79_2 Depth=1
	ds_load_b32 v22, v8 offset:16384
	s_waitcnt lgkmcnt(0)
	v_mov_b32_dpp v23, v22 row_shr:1 row_mask:0xf bank_mask:0xf
	s_delay_alu instid0(VALU_DEP_1) | instskip(NEXT) | instid1(VALU_DEP_1)
	v_cndmask_b32_e64 v23, v23, 0, s2
	v_add_nc_u32_e32 v22, v23, v22
	s_delay_alu instid0(VALU_DEP_1) | instskip(NEXT) | instid1(VALU_DEP_1)
	v_mov_b32_dpp v23, v22 row_shr:2 row_mask:0xf bank_mask:0xf
	v_cndmask_b32_e64 v23, 0, v23, s3
	s_delay_alu instid0(VALU_DEP_1) | instskip(NEXT) | instid1(VALU_DEP_1)
	v_add_nc_u32_e32 v22, v22, v23
	v_mov_b32_dpp v23, v22 row_shr:4 row_mask:0xf bank_mask:0xf
	s_delay_alu instid0(VALU_DEP_1) | instskip(NEXT) | instid1(VALU_DEP_1)
	v_cndmask_b32_e64 v23, 0, v23, s4
	v_add_nc_u32_e32 v22, v22, v23
	s_delay_alu instid0(VALU_DEP_1) | instskip(NEXT) | instid1(VALU_DEP_1)
	v_mov_b32_dpp v23, v22 row_shr:8 row_mask:0xf bank_mask:0xf
	v_cndmask_b32_e64 v23, 0, v23, s5
	s_delay_alu instid0(VALU_DEP_1)
	v_add_nc_u32_e32 v22, v22, v23
	ds_store_b32 v8, v22 offset:16384
.LBB79_8:                               ;   in Loop: Header=BB79_2 Depth=1
	s_or_b32 exec_lo, exec_lo, s8
	v_mov_b32_e32 v22, 0
	s_waitcnt lgkmcnt(0)
	s_barrier
	buffer_gl0_inv
	s_and_saveexec_b32 s8, s0
	s_cbranch_execz .LBB79_10
; %bb.9:                                ;   in Loop: Header=BB79_2 Depth=1
	ds_load_b32 v22, v11 offset:16380
.LBB79_10:                              ;   in Loop: Header=BB79_2 Depth=1
	s_or_b32 exec_lo, exec_lo, s8
	s_waitcnt lgkmcnt(0)
	v_add_nc_u32_e32 v1, v22, v1
	ds_load_b32 v23, v9 offset:16444
	s_mov_b32 s14, 0
	ds_bpermute_b32 v1, v12, v1
	s_waitcnt lgkmcnt(0)
	v_cndmask_b32_e64 v1, v1, v22, s1
	s_delay_alu instid0(VALU_DEP_1) | instskip(NEXT) | instid1(VALU_DEP_1)
	v_lshl_add_u32 v22, v23, 16, v1
	v_dual_mov_b32 v1, v21 :: v_dual_add_nc_u32 v6, v22, v6
	s_delay_alu instid0(VALU_DEP_1) | instskip(NEXT) | instid1(VALU_DEP_1)
	v_add_nc_u32_e32 v7, v6, v7
	v_add_nc_u32_e32 v4, v7, v4
	s_delay_alu instid0(VALU_DEP_1) | instskip(NEXT) | instid1(VALU_DEP_1)
	v_add_nc_u32_e32 v5, v4, v5
	v_add_nc_u32_e32 v2, v5, v2
	s_delay_alu instid0(VALU_DEP_1) | instskip(NEXT) | instid1(VALU_DEP_1)
	v_add_nc_u32_e32 v3, v2, v3
	v_dual_mov_b32 v0, v8 :: v_dual_add_nc_u32 v23, v3, v0
	ds_store_2addr_b32 v10, v22, v6 offset1:1
	ds_store_2addr_b32 v10, v7, v4 offset0:2 offset1:3
	ds_store_2addr_b32 v10, v5, v2 offset0:4 offset1:5
	;; [unrolled: 1-line block ×3, first 2 shown]
	s_waitcnt lgkmcnt(0)
	s_barrier
	buffer_gl0_inv
.LBB79_11:                              ;   Parent Loop BB79_2 Depth=1
                                        ; =>  This Inner Loop Header: Depth=2
	v_add_nc_u32_e32 v1, 0x200, v1
	ds_store_b32 v0, v9
	v_add_nc_u32_e32 v0, 0x800, v0
	v_cmp_lt_u32_e64 s8, 0xdff, v1
	s_delay_alu instid0(VALU_DEP_1) | instskip(NEXT) | instid1(SALU_CYCLE_1)
	s_or_b32 s14, s8, s14
	s_and_not1_b32 exec_lo, exec_lo, s14
	s_cbranch_execnz .LBB79_11
; %bb.12:                               ;   in Loop: Header=BB79_2 Depth=1
	s_or_b32 exec_lo, exec_lo, s14
	ds_load_u16 v22, v13
	s_waitcnt lgkmcnt(0)
	v_add_nc_u16 v0, v22, 1
	ds_store_b16 v13, v0
	ds_load_u16 v23, v14
	s_waitcnt lgkmcnt(0)
	v_add_nc_u16 v0, v23, 1
	ds_store_b16 v14, v0
	;; [unrolled: 4-line block ×4, first 2 shown]
	s_waitcnt lgkmcnt(0)
	s_barrier
	buffer_gl0_inv
	ds_load_2addr_b32 v[6:7], v10 offset1:1
	ds_load_2addr_b32 v[4:5], v10 offset0:2 offset1:3
	ds_load_2addr_b32 v[2:3], v10 offset0:4 offset1:5
	;; [unrolled: 1-line block ×3, first 2 shown]
	s_waitcnt lgkmcnt(3)
	v_add_nc_u32_e32 v26, v7, v6
	s_waitcnt lgkmcnt(2)
	s_delay_alu instid0(VALU_DEP_1) | instskip(SKIP_1) | instid1(VALU_DEP_1)
	v_add3_u32 v26, v26, v4, v5
	s_waitcnt lgkmcnt(1)
	v_add3_u32 v26, v26, v2, v3
	s_waitcnt lgkmcnt(0)
	s_delay_alu instid0(VALU_DEP_1) | instskip(NEXT) | instid1(VALU_DEP_1)
	v_add3_u32 v1, v26, v0, v1
	v_mov_b32_dpp v26, v1 row_shr:1 row_mask:0xf bank_mask:0xf
	s_delay_alu instid0(VALU_DEP_1) | instskip(NEXT) | instid1(VALU_DEP_1)
	v_cndmask_b32_e64 v26, v26, 0, s2
	v_add_nc_u32_e32 v1, v26, v1
	s_delay_alu instid0(VALU_DEP_1) | instskip(NEXT) | instid1(VALU_DEP_1)
	v_mov_b32_dpp v26, v1 row_shr:2 row_mask:0xf bank_mask:0xf
	v_cndmask_b32_e64 v26, 0, v26, s3
	s_delay_alu instid0(VALU_DEP_1) | instskip(NEXT) | instid1(VALU_DEP_1)
	v_add_nc_u32_e32 v1, v1, v26
	v_mov_b32_dpp v26, v1 row_shr:4 row_mask:0xf bank_mask:0xf
	s_delay_alu instid0(VALU_DEP_1) | instskip(NEXT) | instid1(VALU_DEP_1)
	v_cndmask_b32_e64 v26, 0, v26, s4
	v_add_nc_u32_e32 v1, v1, v26
	s_delay_alu instid0(VALU_DEP_1) | instskip(NEXT) | instid1(VALU_DEP_1)
	v_mov_b32_dpp v26, v1 row_shr:8 row_mask:0xf bank_mask:0xf
	v_cndmask_b32_e64 v26, 0, v26, s5
	s_delay_alu instid0(VALU_DEP_1) | instskip(SKIP_3) | instid1(VALU_DEP_1)
	v_add_nc_u32_e32 v1, v1, v26
	ds_swizzle_b32 v26, v1 offset:swizzle(BROADCAST,32,15)
	s_waitcnt lgkmcnt(0)
	v_cndmask_b32_e64 v26, v26, 0, s6
	v_add_nc_u32_e32 v1, v1, v26
	s_and_saveexec_b32 s8, s7
	s_cbranch_execz .LBB79_14
; %bb.13:                               ;   in Loop: Header=BB79_2 Depth=1
	ds_store_b32 v11, v1 offset:16384
.LBB79_14:                              ;   in Loop: Header=BB79_2 Depth=1
	s_or_b32 exec_lo, exec_lo, s8
	s_waitcnt lgkmcnt(0)
	s_barrier
	buffer_gl0_inv
	s_and_saveexec_b32 s8, vcc_lo
	s_cbranch_execz .LBB79_16
; %bb.15:                               ;   in Loop: Header=BB79_2 Depth=1
	ds_load_b32 v26, v8 offset:16384
	s_waitcnt lgkmcnt(0)
	v_mov_b32_dpp v27, v26 row_shr:1 row_mask:0xf bank_mask:0xf
	s_delay_alu instid0(VALU_DEP_1) | instskip(NEXT) | instid1(VALU_DEP_1)
	v_cndmask_b32_e64 v27, v27, 0, s2
	v_add_nc_u32_e32 v26, v27, v26
	s_delay_alu instid0(VALU_DEP_1) | instskip(NEXT) | instid1(VALU_DEP_1)
	v_mov_b32_dpp v27, v26 row_shr:2 row_mask:0xf bank_mask:0xf
	v_cndmask_b32_e64 v27, 0, v27, s3
	s_delay_alu instid0(VALU_DEP_1) | instskip(NEXT) | instid1(VALU_DEP_1)
	v_add_nc_u32_e32 v26, v26, v27
	v_mov_b32_dpp v27, v26 row_shr:4 row_mask:0xf bank_mask:0xf
	s_delay_alu instid0(VALU_DEP_1) | instskip(NEXT) | instid1(VALU_DEP_1)
	v_cndmask_b32_e64 v27, 0, v27, s4
	v_add_nc_u32_e32 v26, v26, v27
	s_delay_alu instid0(VALU_DEP_1) | instskip(NEXT) | instid1(VALU_DEP_1)
	v_mov_b32_dpp v27, v26 row_shr:8 row_mask:0xf bank_mask:0xf
	v_cndmask_b32_e64 v27, 0, v27, s5
	s_delay_alu instid0(VALU_DEP_1)
	v_add_nc_u32_e32 v26, v26, v27
	ds_store_b32 v8, v26 offset:16384
.LBB79_16:                              ;   in Loop: Header=BB79_2 Depth=1
	s_or_b32 exec_lo, exec_lo, s8
	v_mov_b32_e32 v26, 0
	s_waitcnt lgkmcnt(0)
	s_barrier
	buffer_gl0_inv
	s_and_saveexec_b32 s8, s0
	s_cbranch_execz .LBB79_1
; %bb.17:                               ;   in Loop: Header=BB79_2 Depth=1
	ds_load_b32 v26, v11 offset:16380
	s_branch .LBB79_1
.LBB79_18:
	ds_load_u16 v0, v13
	ds_load_u16 v1, v14
	;; [unrolled: 1-line block ×4, first 2 shown]
	v_and_b32_e32 v4, 0xffff, v22
	v_and_b32_e32 v5, 0xffff, v23
	;; [unrolled: 1-line block ×4, first 2 shown]
	s_lshl_b64 s[0:1], s[12:13], 2
	s_delay_alu instid0(SALU_CYCLE_1)
	s_add_u32 s0, s10, s0
	s_addc_u32 s1, s11, s1
	s_waitcnt lgkmcnt(3)
	v_add_nc_u32_e32 v0, v0, v4
	s_waitcnt lgkmcnt(2)
	v_add_nc_u32_e32 v1, v1, v5
	;; [unrolled: 2-line block ×4, first 2 shown]
	v_lshlrev_b32_e32 v4, 2, v8
	global_store_b128 v4, v[0:3], s[0:1]
	s_nop 0
	s_sendmsg sendmsg(MSG_DEALLOC_VGPRS)
	s_endpgm
	.section	.rodata,"a",@progbits
	.p2align	6, 0x0
	.amdhsa_kernel _Z11rank_kernelIhLj4ELb0EL18RadixRankAlgorithm1ELj512ELj4ELj10EEvPKT_Pi
		.amdhsa_group_segment_fixed_size 16448
		.amdhsa_private_segment_fixed_size 0
		.amdhsa_kernarg_size 16
		.amdhsa_user_sgpr_count 15
		.amdhsa_user_sgpr_dispatch_ptr 0
		.amdhsa_user_sgpr_queue_ptr 0
		.amdhsa_user_sgpr_kernarg_segment_ptr 1
		.amdhsa_user_sgpr_dispatch_id 0
		.amdhsa_user_sgpr_private_segment_size 0
		.amdhsa_wavefront_size32 1
		.amdhsa_uses_dynamic_stack 0
		.amdhsa_enable_private_segment 0
		.amdhsa_system_sgpr_workgroup_id_x 1
		.amdhsa_system_sgpr_workgroup_id_y 0
		.amdhsa_system_sgpr_workgroup_id_z 0
		.amdhsa_system_sgpr_workgroup_info 0
		.amdhsa_system_vgpr_workitem_id 0
		.amdhsa_next_free_vgpr 28
		.amdhsa_next_free_sgpr 16
		.amdhsa_reserve_vcc 1
		.amdhsa_float_round_mode_32 0
		.amdhsa_float_round_mode_16_64 0
		.amdhsa_float_denorm_mode_32 3
		.amdhsa_float_denorm_mode_16_64 3
		.amdhsa_dx10_clamp 1
		.amdhsa_ieee_mode 1
		.amdhsa_fp16_overflow 0
		.amdhsa_workgroup_processor_mode 1
		.amdhsa_memory_ordered 1
		.amdhsa_forward_progress 0
		.amdhsa_shared_vgpr_count 0
		.amdhsa_exception_fp_ieee_invalid_op 0
		.amdhsa_exception_fp_denorm_src 0
		.amdhsa_exception_fp_ieee_div_zero 0
		.amdhsa_exception_fp_ieee_overflow 0
		.amdhsa_exception_fp_ieee_underflow 0
		.amdhsa_exception_fp_ieee_inexact 0
		.amdhsa_exception_int_div_zero 0
	.end_amdhsa_kernel
	.section	.text._Z11rank_kernelIhLj4ELb0EL18RadixRankAlgorithm1ELj512ELj4ELj10EEvPKT_Pi,"axG",@progbits,_Z11rank_kernelIhLj4ELb0EL18RadixRankAlgorithm1ELj512ELj4ELj10EEvPKT_Pi,comdat
.Lfunc_end79:
	.size	_Z11rank_kernelIhLj4ELb0EL18RadixRankAlgorithm1ELj512ELj4ELj10EEvPKT_Pi, .Lfunc_end79-_Z11rank_kernelIhLj4ELb0EL18RadixRankAlgorithm1ELj512ELj4ELj10EEvPKT_Pi
                                        ; -- End function
	.section	.AMDGPU.csdata,"",@progbits
; Kernel info:
; codeLenInByte = 2124
; NumSgprs: 18
; NumVgprs: 28
; ScratchSize: 0
; MemoryBound: 0
; FloatMode: 240
; IeeeMode: 1
; LDSByteSize: 16448 bytes/workgroup (compile time only)
; SGPRBlocks: 2
; VGPRBlocks: 3
; NumSGPRsForWavesPerEU: 18
; NumVGPRsForWavesPerEU: 28
; Occupancy: 16
; WaveLimiterHint : 0
; COMPUTE_PGM_RSRC2:SCRATCH_EN: 0
; COMPUTE_PGM_RSRC2:USER_SGPR: 15
; COMPUTE_PGM_RSRC2:TRAP_HANDLER: 0
; COMPUTE_PGM_RSRC2:TGID_X_EN: 1
; COMPUTE_PGM_RSRC2:TGID_Y_EN: 0
; COMPUTE_PGM_RSRC2:TGID_Z_EN: 0
; COMPUTE_PGM_RSRC2:TIDIG_COMP_CNT: 0
	.section	.text._Z11rank_kernelIhLj4ELb0EL18RadixRankAlgorithm2ELj512ELj4ELj10EEvPKT_Pi,"axG",@progbits,_Z11rank_kernelIhLj4ELb0EL18RadixRankAlgorithm2ELj512ELj4ELj10EEvPKT_Pi,comdat
	.protected	_Z11rank_kernelIhLj4ELb0EL18RadixRankAlgorithm2ELj512ELj4ELj10EEvPKT_Pi ; -- Begin function _Z11rank_kernelIhLj4ELb0EL18RadixRankAlgorithm2ELj512ELj4ELj10EEvPKT_Pi
	.globl	_Z11rank_kernelIhLj4ELb0EL18RadixRankAlgorithm2ELj512ELj4ELj10EEvPKT_Pi
	.p2align	8
	.type	_Z11rank_kernelIhLj4ELb0EL18RadixRankAlgorithm2ELj512ELj4ELj10EEvPKT_Pi,@function
_Z11rank_kernelIhLj4ELb0EL18RadixRankAlgorithm2ELj512ELj4ELj10EEvPKT_Pi: ; @_Z11rank_kernelIhLj4ELb0EL18RadixRankAlgorithm2ELj512ELj4ELj10EEvPKT_Pi
; %bb.0:
	s_clause 0x1
	s_load_b128 s[28:31], s[0:1], 0x0
	s_load_b32 s5, s[0:1], 0x1c
	v_dual_mov_b32 v2, 0 :: v_dual_and_b32 v3, 0x3ff, v0
	s_lshl_b32 s34, s15, 11
	v_mbcnt_lo_u32_b32 v4, -1, 0
	v_bfe_u32 v5, v0, 10, 10
	s_delay_alu instid0(VALU_DEP_3)
	v_lshlrev_b32_e32 v1, 2, v3
	v_bfe_u32 v0, v0, 20, 10
	v_lshrrev_b32_e32 v10, 3, v3
	v_and_b32_e32 v6, 15, v4
	v_and_b32_e32 v8, 16, v4
	v_add_nc_u32_e32 v9, -1, v4
	v_cmp_eq_u32_e32 vcc_lo, 0, v4
	s_mov_b32 s35, 0
	v_cmp_lt_u32_e64 s2, 3, v6
	v_cmp_lt_u32_e64 s3, 7, v6
	v_cmp_eq_u32_e64 s4, 0, v8
	v_or_b32_e32 v8, 31, v3
	s_mov_b32 s38, 10
	s_waitcnt lgkmcnt(0)
	s_add_u32 s0, s28, s34
	s_addc_u32 s1, s29, 0
	s_lshr_b32 s6, s5, 16
	global_load_b32 v7, v1, s[0:1]
	v_mad_u32_u24 v0, v0, s6, v5
	s_and_b32 s5, s5, 0xffff
	v_cmp_eq_u32_e64 s0, 0, v6
	v_cmp_lt_u32_e64 s1, 1, v6
	v_cmp_eq_u32_e64 s7, v8, v3
	v_mad_u64_u32 v[5:6], null, v0, s5, v[3:4]
	v_cmp_gt_i32_e64 s5, 0, v9
	v_and_b32_e32 v0, 60, v10
	v_cmp_lt_u32_e64 s6, 31, v3
	s_delay_alu instid0(VALU_DEP_3) | instskip(SKIP_2) | instid1(VALU_DEP_3)
	v_cndmask_b32_e64 v4, v9, v4, s5
	v_lshrrev_b32_e32 v28, 5, v5
	v_cmp_gt_u32_e64 s5, 16, v3
	v_lshlrev_b32_e32 v3, 2, v4
	v_add_nc_u32_e32 v4, -4, v0
	s_waitcnt vmcnt(0)
	v_and_b32_e32 v11, 1, v7
	v_lshrrev_b32_e32 v6, 8, v7
	v_lshlrev_b32_e32 v13, 30, v7
	v_bfe_u32 v12, v7, 8, 4
	v_lshrrev_b32_e32 v8, 24, v7
	v_add_co_u32 v11, s9, v11, -1
	v_lshlrev_b32_e32 v15, 29, v7
	v_bfe_u32 v14, v7, 16, 4
	v_bfe_u32 v21, v7, 4, 4
	v_lshrrev_b32_e32 v26, 20, v7
	v_bfe_u32 v29, v7, 20, 1
	v_mul_u32_u24_e32 v38, 17, v12
	v_lshlrev_b32_e32 v39, 30, v6
	v_cndmask_b32_e64 v12, 0, 1, s9
	v_cmp_gt_i32_e64 s9, 0, v13
	v_lshrrev_b32_e32 v10, 28, v7
	v_and_b32_e32 v9, 15, v7
	v_lshlrev_b32_e32 v16, 28, v7
	v_bfe_u32 v18, v7, 24, 4
	v_lshrrev_b32_e32 v20, 4, v7
	v_bfe_u32 v30, v7, 28, 1
	v_lshlrev_b32_e32 v40, 29, v6
	v_mul_u32_u24_e32 v42, 17, v14
	v_lshlrev_b32_e32 v47, 30, v8
	v_lshlrev_b32_e32 v48, 29, v8
	;; [unrolled: 1-line block ×3, first 2 shown]
	v_mul_u32_u24_e32 v50, 17, v21
	v_add_co_u32 v8, s36, v29, -1
	v_lshlrev_b32_e32 v29, 30, v26
	v_cndmask_b32_e64 v14, 0, 1, s9
	v_cmp_gt_i32_e64 s9, 0, v15
	v_cmp_gt_i32_e64 s26, 0, v39
	v_lshrrev_b32_e32 v5, 16, v7
	v_lshrrev_b32_e32 v23, 12, v7
	v_bfe_u32 v24, v7, 12, 4
	v_bfe_u32 v17, v7, 8, 1
	;; [unrolled: 1-line block ×3, first 2 shown]
	v_not_b32_e32 v35, v15
	v_mul_u32_u24_e32 v37, 17, v9
	v_lshlrev_b32_e32 v41, 28, v6
	v_mul_u32_u24_e32 v46, 17, v18
	v_lshlrev_b32_e32 v54, 28, v20
	v_lshlrev_b32_e32 v60, 29, v26
	;; [unrolled: 1-line block ×3, first 2 shown]
	v_add_co_u32 v9, s37, v30, -1
	v_lshlrev_b32_e32 v30, 30, v10
	v_cndmask_b32_e64 v15, 0, 1, s9
	v_cmp_gt_i32_e64 s9, 0, v16
	v_add_lshl_u32 v26, v28, v50, 2
	v_cmp_gt_i32_e64 s21, 0, v29
	v_not_b32_e32 v50, v29
	v_cndmask_b32_e64 v29, 0, 1, s26
	v_cmp_gt_i32_e64 s26, 0, v40
	v_bfe_u32 v19, v7, 24, 1
	v_bfe_u32 v22, v7, 4, 1
	;; [unrolled: 1-line block ×3, first 2 shown]
	v_not_b32_e32 v32, v7
	v_mul_u32_u24_e32 v33, 17, v10
	v_not_b32_e32 v34, v13
	v_not_b32_e32 v36, v16
	v_lshlrev_b32_e32 v43, 30, v5
	v_lshlrev_b32_e32 v44, 29, v5
	;; [unrolled: 1-line block ×5, first 2 shown]
	v_mul_u32_u24_e32 v55, 17, v24
	v_lshlrev_b32_e32 v56, 30, v23
	v_lshlrev_b32_e32 v57, 29, v23
	;; [unrolled: 1-line block ×4, first 2 shown]
	v_bfe_u32 v52, v7, 16, 1
	v_and_b32_e32 v31, 0xf0000000, v7
	v_add_co_u32 v7, s33, v25, -1
	v_cndmask_b32_e64 v16, 0, 1, s9
	v_add_co_u32 v17, s9, v17, -1
	v_add_lshl_u32 v25, v28, v46, 2
	v_cmp_gt_i32_e64 s17, 0, v54
	v_not_b32_e32 v46, v54
	v_cmp_gt_i32_e64 s24, 0, v30
	v_not_b32_e32 v54, v30
	v_cndmask_b32_e64 v30, 0, 1, s26
	v_cmp_gt_i32_e64 s26, 0, v41
	v_add_co_u32 v5, s28, v19, -1
	v_add_co_u32 v6, s29, v22, -1
	v_mul_u32_u24_e32 v59, 17, v27
	v_ashrrev_i32_e32 v10, 31, v32
	v_cndmask_b32_e64 v18, 0, 1, s9
	v_add_lshl_u32 v13, v28, v33, 2
	v_ashrrev_i32_e32 v19, 31, v34
	v_ashrrev_i32_e32 v20, 31, v35
	;; [unrolled: 1-line block ×3, first 2 shown]
	v_add_lshl_u32 v22, v28, v37, 2
	v_add_lshl_u32 v23, v28, v38, 2
	v_not_b32_e32 v32, v39
	v_not_b32_e32 v33, v40
	;; [unrolled: 1-line block ×3, first 2 shown]
	v_add_lshl_u32 v24, v28, v42, 2
	v_cmp_gt_i32_e64 s9, 0, v43
	v_not_b32_e32 v35, v43
	v_cmp_gt_i32_e64 s10, 0, v44
	v_not_b32_e32 v36, v44
	;; [unrolled: 2-line block ×8, first 2 shown]
	v_add_lshl_u32 v27, v28, v55, 2
	v_not_b32_e32 v47, v56
	v_not_b32_e32 v48, v57
	;; [unrolled: 1-line block ×6, first 2 shown]
	v_cmp_gt_i32_e64 s8, 0, v31
	v_cndmask_b32_e64 v31, 0, 1, s26
	v_add_co_u32 v52, s26, v52, -1
	v_cmp_gt_i32_e64 s18, 0, v56
	v_cmp_gt_i32_e64 s19, 0, v57
	;; [unrolled: 1-line block ×3, first 2 shown]
	v_add_lshl_u32 v28, v28, v59, 2
	v_cmp_gt_i32_e64 s22, 0, v60
	v_cmp_gt_i32_e64 s23, 0, v61
	;; [unrolled: 1-line block ×3, first 2 shown]
	v_ashrrev_i32_e32 v32, 31, v32
	v_ashrrev_i32_e32 v33, 31, v33
	v_ashrrev_i32_e32 v34, 31, v34
	v_ashrrev_i32_e32 v35, 31, v35
	v_ashrrev_i32_e32 v36, 31, v36
	v_ashrrev_i32_e32 v37, 31, v37
	v_ashrrev_i32_e32 v38, 31, v38
	v_ashrrev_i32_e32 v39, 31, v42
	v_ashrrev_i32_e32 v40, 31, v43
	v_ashrrev_i32_e32 v41, 31, v44
	v_ashrrev_i32_e32 v42, 31, v45
	v_ashrrev_i32_e32 v43, 31, v46
	v_ashrrev_i32_e32 v44, 31, v47
	v_ashrrev_i32_e32 v45, 31, v48
	v_ashrrev_i32_e32 v46, 31, v49
	v_ashrrev_i32_e32 v47, 31, v50
	v_ashrrev_i32_e32 v48, 31, v51
	v_ashrrev_i32_e32 v49, 31, v53
	v_ashrrev_i32_e32 v50, 31, v54
	v_ashrrev_i32_e32 v51, 31, v55
	v_cndmask_b32_e64 v53, 0, 1, s26
	s_branch .LBB80_2
.LBB80_1:                               ;   in Loop: Header=BB80_2 Depth=1
	s_or_b32 exec_lo, exec_lo, s26
	s_waitcnt lgkmcnt(0)
	v_add_nc_u32_e32 v61, v62, v61
	s_add_i32 s38, s38, -1
	s_delay_alu instid0(SALU_CYCLE_1)
	s_cmp_eq_u32 s38, 0
	ds_bpermute_b32 v61, v3, v61
	s_waitcnt lgkmcnt(0)
	v_cndmask_b32_e32 v61, v61, v62, vcc_lo
	ds_store_b32 v1, v61 offset:64
	s_waitcnt lgkmcnt(0)
	s_barrier
	buffer_gl0_inv
	s_cbranch_scc1 .LBB80_30
.LBB80_2:                               ; =>This Inner Loop Header: Depth=1
	v_cmp_ne_u32_e64 s26, 0, v12
	v_cmp_ne_u32_e64 s27, 0, v14
	ds_store_b32 v1, v2 offset:64
	s_waitcnt lgkmcnt(0)
	s_barrier
	v_xor_b32_e32 v54, s26, v11
	v_cmp_ne_u32_e64 s26, 0, v15
	v_xor_b32_e32 v55, s27, v19
	v_cmp_ne_u32_e64 s27, 0, v16
	buffer_gl0_inv
	v_and_b32_e32 v54, exec_lo, v54
	v_xor_b32_e32 v56, s26, v20
	; wave barrier
	s_delay_alu instid0(VALU_DEP_2) | instskip(SKIP_1) | instid1(VALU_DEP_2)
	v_and_b32_e32 v54, v54, v55
	v_xor_b32_e32 v55, s27, v21
	v_and_b32_e32 v54, v54, v56
	s_delay_alu instid0(VALU_DEP_1) | instskip(NEXT) | instid1(VALU_DEP_1)
	v_and_b32_e32 v54, v54, v55
	v_mbcnt_lo_u32_b32 v55, v54, 0
	v_cmp_ne_u32_e64 s27, 0, v54
	s_delay_alu instid0(VALU_DEP_2) | instskip(NEXT) | instid1(VALU_DEP_1)
	v_cmp_eq_u32_e64 s26, 0, v55
	s_and_b32 s27, s27, s26
	s_delay_alu instid0(SALU_CYCLE_1)
	s_and_saveexec_b32 s26, s27
	s_cbranch_execz .LBB80_4
; %bb.3:                                ;   in Loop: Header=BB80_2 Depth=1
	v_bcnt_u32_b32 v54, v54, 0
	ds_store_b32 v22, v54 offset:64
.LBB80_4:                               ;   in Loop: Header=BB80_2 Depth=1
	s_or_b32 exec_lo, exec_lo, s26
	v_cmp_ne_u32_e64 s26, 0, v18
	v_cmp_ne_u32_e64 s27, 0, v29
	; wave barrier
	s_delay_alu instid0(VALU_DEP_2) | instskip(SKIP_1) | instid1(VALU_DEP_3)
	v_xor_b32_e32 v54, s26, v17
	v_cmp_ne_u32_e64 s26, 0, v30
	v_xor_b32_e32 v55, s27, v32
	v_cmp_ne_u32_e64 s27, 0, v31
	s_delay_alu instid0(VALU_DEP_4) | instskip(NEXT) | instid1(VALU_DEP_4)
	v_and_b32_e32 v54, exec_lo, v54
	v_xor_b32_e32 v56, s26, v33
	s_delay_alu instid0(VALU_DEP_2) | instskip(NEXT) | instid1(VALU_DEP_4)
	v_and_b32_e32 v54, v54, v55
	v_xor_b32_e32 v55, s27, v34
	s_delay_alu instid0(VALU_DEP_2) | instskip(SKIP_2) | instid1(VALU_DEP_1)
	v_and_b32_e32 v56, v54, v56
	ds_load_b32 v54, v23 offset:64
	; wave barrier
	v_and_b32_e32 v55, v56, v55
	v_mbcnt_lo_u32_b32 v56, v55, 0
	v_cmp_ne_u32_e64 s27, 0, v55
	s_delay_alu instid0(VALU_DEP_2) | instskip(NEXT) | instid1(VALU_DEP_1)
	v_cmp_eq_u32_e64 s26, 0, v56
	s_and_b32 s27, s27, s26
	s_delay_alu instid0(SALU_CYCLE_1)
	s_and_saveexec_b32 s26, s27
	s_cbranch_execz .LBB80_6
; %bb.5:                                ;   in Loop: Header=BB80_2 Depth=1
	s_waitcnt lgkmcnt(0)
	v_bcnt_u32_b32 v54, v55, v54
	ds_store_b32 v23, v54 offset:64
.LBB80_6:                               ;   in Loop: Header=BB80_2 Depth=1
	s_or_b32 exec_lo, exec_lo, s26
	v_cmp_ne_u32_e64 s26, 0, v53
	s_waitcnt lgkmcnt(0)
	v_cndmask_b32_e64 v54, 0, 1, s9
	v_cndmask_b32_e64 v55, 0, 1, s10
	; wave barrier
	s_delay_alu instid0(VALU_DEP_3) | instskip(NEXT) | instid1(VALU_DEP_3)
	v_xor_b32_e32 v56, s26, v52
	v_cmp_ne_u32_e64 s26, 0, v54
	v_cndmask_b32_e64 v54, 0, 1, s11
	s_delay_alu instid0(VALU_DEP_4) | instskip(NEXT) | instid1(VALU_DEP_4)
	v_cmp_ne_u32_e64 s27, 0, v55
	v_and_b32_e32 v55, exec_lo, v56
	s_delay_alu instid0(VALU_DEP_4) | instskip(NEXT) | instid1(VALU_DEP_4)
	v_xor_b32_e32 v56, s26, v35
	v_cmp_ne_u32_e64 s26, 0, v54
	s_delay_alu instid0(VALU_DEP_4) | instskip(NEXT) | instid1(VALU_DEP_3)
	v_xor_b32_e32 v54, s27, v36
	v_and_b32_e32 v55, v55, v56
	s_delay_alu instid0(VALU_DEP_3) | instskip(NEXT) | instid1(VALU_DEP_2)
	v_xor_b32_e32 v56, s26, v37
	v_and_b32_e32 v55, v55, v54
	ds_load_b32 v54, v24 offset:64
	; wave barrier
	v_and_b32_e32 v55, v55, v56
	s_delay_alu instid0(VALU_DEP_1) | instskip(SKIP_1) | instid1(VALU_DEP_2)
	v_mbcnt_lo_u32_b32 v56, v55, 0
	v_cmp_ne_u32_e64 s27, 0, v55
	v_cmp_eq_u32_e64 s26, 0, v56
	s_delay_alu instid0(VALU_DEP_1) | instskip(NEXT) | instid1(SALU_CYCLE_1)
	s_and_b32 s27, s27, s26
	s_and_saveexec_b32 s26, s27
	s_cbranch_execz .LBB80_8
; %bb.7:                                ;   in Loop: Header=BB80_2 Depth=1
	s_waitcnt lgkmcnt(0)
	v_bcnt_u32_b32 v54, v55, v54
	ds_store_b32 v24, v54 offset:64
.LBB80_8:                               ;   in Loop: Header=BB80_2 Depth=1
	s_or_b32 exec_lo, exec_lo, s26
	s_waitcnt lgkmcnt(0)
	v_cndmask_b32_e64 v54, 0, 1, s28
	v_cndmask_b32_e64 v55, 0, 1, s12
	;; [unrolled: 1-line block ×3, first 2 shown]
	; wave barrier
	s_delay_alu instid0(VALU_DEP_3) | instskip(SKIP_1) | instid1(VALU_DEP_4)
	v_cmp_ne_u32_e64 s26, 0, v54
	v_cndmask_b32_e64 v54, 0, 1, s13
	v_cmp_ne_u32_e64 s27, 0, v55
	s_delay_alu instid0(VALU_DEP_3) | instskip(NEXT) | instid1(VALU_DEP_3)
	v_xor_b32_e32 v55, s26, v5
	v_cmp_ne_u32_e64 s26, 0, v54
	s_delay_alu instid0(VALU_DEP_3) | instskip(SKIP_1) | instid1(VALU_DEP_4)
	v_xor_b32_e32 v54, s27, v38
	v_cmp_ne_u32_e64 s27, 0, v56
	v_and_b32_e32 v55, exec_lo, v55
	s_delay_alu instid0(VALU_DEP_4) | instskip(NEXT) | instid1(VALU_DEP_2)
	v_xor_b32_e32 v56, s26, v39
	v_and_b32_e32 v54, v55, v54
	s_delay_alu instid0(VALU_DEP_4) | instskip(NEXT) | instid1(VALU_DEP_2)
	v_xor_b32_e32 v55, s27, v40
	v_and_b32_e32 v56, v54, v56
	ds_load_b32 v54, v25 offset:64
	; wave barrier
	v_and_b32_e32 v55, v56, v55
	s_delay_alu instid0(VALU_DEP_1) | instskip(SKIP_1) | instid1(VALU_DEP_2)
	v_mbcnt_lo_u32_b32 v56, v55, 0
	v_cmp_ne_u32_e64 s27, 0, v55
	v_cmp_eq_u32_e64 s26, 0, v56
	s_delay_alu instid0(VALU_DEP_1) | instskip(NEXT) | instid1(SALU_CYCLE_1)
	s_and_b32 s27, s27, s26
	s_and_saveexec_b32 s26, s27
	s_cbranch_execz .LBB80_10
; %bb.9:                                ;   in Loop: Header=BB80_2 Depth=1
	s_waitcnt lgkmcnt(0)
	v_bcnt_u32_b32 v54, v55, v54
	ds_store_b32 v25, v54 offset:64
.LBB80_10:                              ;   in Loop: Header=BB80_2 Depth=1
	s_or_b32 exec_lo, exec_lo, s26
	; wave barrier
	s_waitcnt lgkmcnt(0)
	s_barrier
	buffer_gl0_inv
	ds_load_b32 v54, v1 offset:64
	s_waitcnt lgkmcnt(0)
	v_mov_b32_dpp v55, v54 row_shr:1 row_mask:0xf bank_mask:0xf
	s_delay_alu instid0(VALU_DEP_1) | instskip(NEXT) | instid1(VALU_DEP_1)
	v_cndmask_b32_e64 v55, v55, 0, s0
	v_add_nc_u32_e32 v54, v55, v54
	s_delay_alu instid0(VALU_DEP_1) | instskip(NEXT) | instid1(VALU_DEP_1)
	v_mov_b32_dpp v55, v54 row_shr:2 row_mask:0xf bank_mask:0xf
	v_cndmask_b32_e64 v55, 0, v55, s1
	s_delay_alu instid0(VALU_DEP_1) | instskip(NEXT) | instid1(VALU_DEP_1)
	v_add_nc_u32_e32 v54, v54, v55
	v_mov_b32_dpp v55, v54 row_shr:4 row_mask:0xf bank_mask:0xf
	s_delay_alu instid0(VALU_DEP_1) | instskip(NEXT) | instid1(VALU_DEP_1)
	v_cndmask_b32_e64 v55, 0, v55, s2
	v_add_nc_u32_e32 v54, v54, v55
	s_delay_alu instid0(VALU_DEP_1) | instskip(NEXT) | instid1(VALU_DEP_1)
	v_mov_b32_dpp v55, v54 row_shr:8 row_mask:0xf bank_mask:0xf
	v_cndmask_b32_e64 v55, 0, v55, s3
	s_delay_alu instid0(VALU_DEP_1) | instskip(SKIP_3) | instid1(VALU_DEP_1)
	v_add_nc_u32_e32 v54, v54, v55
	ds_swizzle_b32 v55, v54 offset:swizzle(BROADCAST,32,15)
	s_waitcnt lgkmcnt(0)
	v_cndmask_b32_e64 v55, v55, 0, s4
	v_add_nc_u32_e32 v54, v54, v55
	s_and_saveexec_b32 s26, s7
	s_delay_alu instid0(SALU_CYCLE_1)
	s_xor_b32 s26, exec_lo, s26
	s_cbranch_execz .LBB80_12
; %bb.11:                               ;   in Loop: Header=BB80_2 Depth=1
	ds_store_b32 v0, v54
.LBB80_12:                              ;   in Loop: Header=BB80_2 Depth=1
	s_or_b32 exec_lo, exec_lo, s26
	s_waitcnt lgkmcnt(0)
	s_barrier
	buffer_gl0_inv
	s_and_saveexec_b32 s26, s5
	s_cbranch_execz .LBB80_14
; %bb.13:                               ;   in Loop: Header=BB80_2 Depth=1
	ds_load_b32 v55, v1
	s_waitcnt lgkmcnt(0)
	v_mov_b32_dpp v56, v55 row_shr:1 row_mask:0xf bank_mask:0xf
	s_delay_alu instid0(VALU_DEP_1) | instskip(NEXT) | instid1(VALU_DEP_1)
	v_cndmask_b32_e64 v56, v56, 0, s0
	v_add_nc_u32_e32 v55, v56, v55
	s_delay_alu instid0(VALU_DEP_1) | instskip(NEXT) | instid1(VALU_DEP_1)
	v_mov_b32_dpp v56, v55 row_shr:2 row_mask:0xf bank_mask:0xf
	v_cndmask_b32_e64 v56, 0, v56, s1
	s_delay_alu instid0(VALU_DEP_1) | instskip(NEXT) | instid1(VALU_DEP_1)
	v_add_nc_u32_e32 v55, v55, v56
	v_mov_b32_dpp v56, v55 row_shr:4 row_mask:0xf bank_mask:0xf
	s_delay_alu instid0(VALU_DEP_1) | instskip(NEXT) | instid1(VALU_DEP_1)
	v_cndmask_b32_e64 v56, 0, v56, s2
	v_add_nc_u32_e32 v55, v55, v56
	s_delay_alu instid0(VALU_DEP_1) | instskip(NEXT) | instid1(VALU_DEP_1)
	v_mov_b32_dpp v56, v55 row_shr:8 row_mask:0xf bank_mask:0xf
	v_cndmask_b32_e64 v56, 0, v56, s3
	s_delay_alu instid0(VALU_DEP_1)
	v_add_nc_u32_e32 v55, v55, v56
	ds_store_b32 v1, v55
.LBB80_14:                              ;   in Loop: Header=BB80_2 Depth=1
	s_or_b32 exec_lo, exec_lo, s26
	v_mov_b32_e32 v55, 0
	s_waitcnt lgkmcnt(0)
	s_barrier
	buffer_gl0_inv
	s_and_saveexec_b32 s26, s6
	s_cbranch_execz .LBB80_16
; %bb.15:                               ;   in Loop: Header=BB80_2 Depth=1
	ds_load_b32 v55, v4
.LBB80_16:                              ;   in Loop: Header=BB80_2 Depth=1
	s_or_b32 exec_lo, exec_lo, s26
	s_waitcnt lgkmcnt(0)
	v_add_nc_u32_e32 v54, v55, v54
	v_cndmask_b32_e64 v56, 0, 1, s29
	v_cndmask_b32_e64 v57, 0, 1, s15
	v_cndmask_b32_e64 v58, 0, 1, s17
	ds_bpermute_b32 v54, v3, v54
	v_cmp_ne_u32_e64 s26, 0, v56
	v_cndmask_b32_e64 v56, 0, 1, s16
	v_cmp_ne_u32_e64 s27, 0, v57
	s_delay_alu instid0(VALU_DEP_3) | instskip(NEXT) | instid1(VALU_DEP_3)
	v_xor_b32_e32 v57, s26, v6
	v_cmp_ne_u32_e64 s26, 0, v56
	s_delay_alu instid0(VALU_DEP_3) | instskip(SKIP_1) | instid1(VALU_DEP_4)
	v_xor_b32_e32 v56, s27, v41
	v_cmp_ne_u32_e64 s27, 0, v58
	v_and_b32_e32 v57, exec_lo, v57
	s_delay_alu instid0(VALU_DEP_4) | instskip(SKIP_2) | instid1(VALU_DEP_3)
	v_xor_b32_e32 v58, s26, v42
	s_waitcnt lgkmcnt(0)
	v_cndmask_b32_e32 v54, v54, v55, vcc_lo
	v_and_b32_e32 v56, v57, v56
	v_xor_b32_e32 v57, s27, v43
	ds_store_b32 v1, v54 offset:64
	v_and_b32_e32 v56, v56, v58
	s_waitcnt lgkmcnt(0)
	s_barrier
	buffer_gl0_inv
	ds_store_b32 v1, v2 offset:64
	v_and_b32_e32 v55, v56, v57
	s_waitcnt lgkmcnt(0)
	s_barrier
	buffer_gl0_inv
	v_mbcnt_lo_u32_b32 v54, v55, 0
	v_cmp_ne_u32_e64 s27, 0, v55
	; wave barrier
	s_delay_alu instid0(VALU_DEP_2) | instskip(NEXT) | instid1(VALU_DEP_1)
	v_cmp_eq_u32_e64 s26, 0, v54
	s_and_b32 s27, s27, s26
	s_delay_alu instid0(SALU_CYCLE_1)
	s_and_saveexec_b32 s26, s27
	s_cbranch_execz .LBB80_18
; %bb.17:                               ;   in Loop: Header=BB80_2 Depth=1
	v_bcnt_u32_b32 v55, v55, 0
	ds_store_b32 v26, v55 offset:64
.LBB80_18:                              ;   in Loop: Header=BB80_2 Depth=1
	s_or_b32 exec_lo, exec_lo, s26
	v_cndmask_b32_e64 v55, 0, 1, s33
	v_cndmask_b32_e64 v56, 0, 1, s18
	v_cndmask_b32_e64 v57, 0, 1, s20
	; wave barrier
	s_delay_alu instid0(VALU_DEP_3) | instskip(SKIP_1) | instid1(VALU_DEP_4)
	v_cmp_ne_u32_e64 s26, 0, v55
	v_cndmask_b32_e64 v55, 0, 1, s19
	v_cmp_ne_u32_e64 s27, 0, v56
	s_delay_alu instid0(VALU_DEP_3) | instskip(NEXT) | instid1(VALU_DEP_3)
	v_xor_b32_e32 v56, s26, v7
	v_cmp_ne_u32_e64 s26, 0, v55
	s_delay_alu instid0(VALU_DEP_3) | instskip(SKIP_1) | instid1(VALU_DEP_4)
	v_xor_b32_e32 v55, s27, v44
	v_cmp_ne_u32_e64 s27, 0, v57
	v_and_b32_e32 v56, exec_lo, v56
	s_delay_alu instid0(VALU_DEP_4) | instskip(NEXT) | instid1(VALU_DEP_2)
	v_xor_b32_e32 v57, s26, v45
	v_and_b32_e32 v55, v56, v55
	s_delay_alu instid0(VALU_DEP_4) | instskip(NEXT) | instid1(VALU_DEP_2)
	v_xor_b32_e32 v56, s27, v46
	v_and_b32_e32 v57, v55, v57
	ds_load_b32 v55, v27 offset:64
	; wave barrier
	v_and_b32_e32 v57, v57, v56
	s_delay_alu instid0(VALU_DEP_1) | instskip(SKIP_1) | instid1(VALU_DEP_2)
	v_mbcnt_lo_u32_b32 v56, v57, 0
	v_cmp_ne_u32_e64 s27, 0, v57
	v_cmp_eq_u32_e64 s26, 0, v56
	s_delay_alu instid0(VALU_DEP_1) | instskip(NEXT) | instid1(SALU_CYCLE_1)
	s_and_b32 s27, s27, s26
	s_and_saveexec_b32 s26, s27
	s_cbranch_execz .LBB80_20
; %bb.19:                               ;   in Loop: Header=BB80_2 Depth=1
	s_waitcnt lgkmcnt(0)
	v_bcnt_u32_b32 v57, v57, v55
	ds_store_b32 v27, v57 offset:64
.LBB80_20:                              ;   in Loop: Header=BB80_2 Depth=1
	s_or_b32 exec_lo, exec_lo, s26
	v_cndmask_b32_e64 v57, 0, 1, s36
	v_cndmask_b32_e64 v58, 0, 1, s21
	v_cndmask_b32_e64 v59, 0, 1, s23
	; wave barrier
	s_delay_alu instid0(VALU_DEP_3) | instskip(SKIP_1) | instid1(VALU_DEP_4)
	v_cmp_ne_u32_e64 s26, 0, v57
	v_cndmask_b32_e64 v57, 0, 1, s22
	v_cmp_ne_u32_e64 s27, 0, v58
	s_delay_alu instid0(VALU_DEP_3) | instskip(NEXT) | instid1(VALU_DEP_3)
	v_xor_b32_e32 v58, s26, v8
	v_cmp_ne_u32_e64 s26, 0, v57
	s_delay_alu instid0(VALU_DEP_3) | instskip(SKIP_1) | instid1(VALU_DEP_4)
	v_xor_b32_e32 v57, s27, v47
	v_cmp_ne_u32_e64 s27, 0, v59
	v_and_b32_e32 v58, exec_lo, v58
	s_delay_alu instid0(VALU_DEP_4) | instskip(NEXT) | instid1(VALU_DEP_2)
	v_xor_b32_e32 v59, s26, v48
	v_and_b32_e32 v57, v58, v57
	s_delay_alu instid0(VALU_DEP_4) | instskip(NEXT) | instid1(VALU_DEP_2)
	v_xor_b32_e32 v58, s27, v49
	v_and_b32_e32 v59, v57, v59
	ds_load_b32 v57, v28 offset:64
	; wave barrier
	v_and_b32_e32 v59, v59, v58
	s_delay_alu instid0(VALU_DEP_1) | instskip(SKIP_1) | instid1(VALU_DEP_2)
	v_mbcnt_lo_u32_b32 v58, v59, 0
	v_cmp_ne_u32_e64 s27, 0, v59
	v_cmp_eq_u32_e64 s26, 0, v58
	s_delay_alu instid0(VALU_DEP_1) | instskip(NEXT) | instid1(SALU_CYCLE_1)
	s_and_b32 s27, s27, s26
	s_and_saveexec_b32 s26, s27
	s_cbranch_execz .LBB80_22
; %bb.21:                               ;   in Loop: Header=BB80_2 Depth=1
	s_waitcnt lgkmcnt(0)
	v_bcnt_u32_b32 v59, v59, v57
	ds_store_b32 v28, v59 offset:64
.LBB80_22:                              ;   in Loop: Header=BB80_2 Depth=1
	;; [unrolled: 38-line block ×3, first 2 shown]
	s_or_b32 exec_lo, exec_lo, s26
	; wave barrier
	s_waitcnt lgkmcnt(0)
	s_barrier
	buffer_gl0_inv
	ds_load_b32 v61, v1 offset:64
	s_waitcnt lgkmcnt(0)
	v_mov_b32_dpp v62, v61 row_shr:1 row_mask:0xf bank_mask:0xf
	s_delay_alu instid0(VALU_DEP_1) | instskip(NEXT) | instid1(VALU_DEP_1)
	v_cndmask_b32_e64 v62, v62, 0, s0
	v_add_nc_u32_e32 v61, v62, v61
	s_delay_alu instid0(VALU_DEP_1) | instskip(NEXT) | instid1(VALU_DEP_1)
	v_mov_b32_dpp v62, v61 row_shr:2 row_mask:0xf bank_mask:0xf
	v_cndmask_b32_e64 v62, 0, v62, s1
	s_delay_alu instid0(VALU_DEP_1) | instskip(NEXT) | instid1(VALU_DEP_1)
	v_add_nc_u32_e32 v61, v61, v62
	v_mov_b32_dpp v62, v61 row_shr:4 row_mask:0xf bank_mask:0xf
	s_delay_alu instid0(VALU_DEP_1) | instskip(NEXT) | instid1(VALU_DEP_1)
	v_cndmask_b32_e64 v62, 0, v62, s2
	v_add_nc_u32_e32 v61, v61, v62
	s_delay_alu instid0(VALU_DEP_1) | instskip(NEXT) | instid1(VALU_DEP_1)
	v_mov_b32_dpp v62, v61 row_shr:8 row_mask:0xf bank_mask:0xf
	v_cndmask_b32_e64 v62, 0, v62, s3
	s_delay_alu instid0(VALU_DEP_1) | instskip(SKIP_3) | instid1(VALU_DEP_1)
	v_add_nc_u32_e32 v61, v61, v62
	ds_swizzle_b32 v62, v61 offset:swizzle(BROADCAST,32,15)
	s_waitcnt lgkmcnt(0)
	v_cndmask_b32_e64 v62, v62, 0, s4
	v_add_nc_u32_e32 v61, v61, v62
	s_and_saveexec_b32 s26, s7
	s_cbranch_execz .LBB80_26
; %bb.25:                               ;   in Loop: Header=BB80_2 Depth=1
	ds_store_b32 v0, v61
.LBB80_26:                              ;   in Loop: Header=BB80_2 Depth=1
	s_or_b32 exec_lo, exec_lo, s26
	s_waitcnt lgkmcnt(0)
	s_barrier
	buffer_gl0_inv
	s_and_saveexec_b32 s26, s5
	s_cbranch_execz .LBB80_28
; %bb.27:                               ;   in Loop: Header=BB80_2 Depth=1
	ds_load_b32 v62, v1
	s_waitcnt lgkmcnt(0)
	v_mov_b32_dpp v63, v62 row_shr:1 row_mask:0xf bank_mask:0xf
	s_delay_alu instid0(VALU_DEP_1) | instskip(NEXT) | instid1(VALU_DEP_1)
	v_cndmask_b32_e64 v63, v63, 0, s0
	v_add_nc_u32_e32 v62, v63, v62
	s_delay_alu instid0(VALU_DEP_1) | instskip(NEXT) | instid1(VALU_DEP_1)
	v_mov_b32_dpp v63, v62 row_shr:2 row_mask:0xf bank_mask:0xf
	v_cndmask_b32_e64 v63, 0, v63, s1
	s_delay_alu instid0(VALU_DEP_1) | instskip(NEXT) | instid1(VALU_DEP_1)
	v_add_nc_u32_e32 v62, v62, v63
	v_mov_b32_dpp v63, v62 row_shr:4 row_mask:0xf bank_mask:0xf
	s_delay_alu instid0(VALU_DEP_1) | instskip(NEXT) | instid1(VALU_DEP_1)
	v_cndmask_b32_e64 v63, 0, v63, s2
	v_add_nc_u32_e32 v62, v62, v63
	s_delay_alu instid0(VALU_DEP_1) | instskip(NEXT) | instid1(VALU_DEP_1)
	v_mov_b32_dpp v63, v62 row_shr:8 row_mask:0xf bank_mask:0xf
	v_cndmask_b32_e64 v63, 0, v63, s3
	s_delay_alu instid0(VALU_DEP_1)
	v_add_nc_u32_e32 v62, v62, v63
	ds_store_b32 v1, v62
.LBB80_28:                              ;   in Loop: Header=BB80_2 Depth=1
	s_or_b32 exec_lo, exec_lo, s26
	v_mov_b32_e32 v62, 0
	s_waitcnt lgkmcnt(0)
	s_barrier
	buffer_gl0_inv
	s_and_saveexec_b32 s26, s6
	s_cbranch_execz .LBB80_1
; %bb.29:                               ;   in Loop: Header=BB80_2 Depth=1
	ds_load_b32 v62, v4
	s_branch .LBB80_1
.LBB80_30:
	ds_load_b32 v0, v26 offset:64
	ds_load_b32 v3, v27 offset:64
	;; [unrolled: 1-line block ×4, first 2 shown]
	s_lshl_b64 s[0:1], s[34:35], 2
	s_delay_alu instid0(SALU_CYCLE_1)
	s_add_u32 s0, s30, s0
	s_addc_u32 s1, s31, s1
	s_waitcnt lgkmcnt(3)
	v_add_nc_u32_e32 v2, v0, v54
	s_waitcnt lgkmcnt(2)
	v_add3_u32 v3, v56, v55, v3
	s_waitcnt lgkmcnt(1)
	v_add3_u32 v4, v58, v57, v4
	;; [unrolled: 2-line block ×3, first 2 shown]
	v_lshlrev_b32_e32 v0, 2, v1
	global_store_b128 v0, v[2:5], s[0:1]
	s_nop 0
	s_sendmsg sendmsg(MSG_DEALLOC_VGPRS)
	s_endpgm
	.section	.rodata,"a",@progbits
	.p2align	6, 0x0
	.amdhsa_kernel _Z11rank_kernelIhLj4ELb0EL18RadixRankAlgorithm2ELj512ELj4ELj10EEvPKT_Pi
		.amdhsa_group_segment_fixed_size 2112
		.amdhsa_private_segment_fixed_size 0
		.amdhsa_kernarg_size 272
		.amdhsa_user_sgpr_count 15
		.amdhsa_user_sgpr_dispatch_ptr 0
		.amdhsa_user_sgpr_queue_ptr 0
		.amdhsa_user_sgpr_kernarg_segment_ptr 1
		.amdhsa_user_sgpr_dispatch_id 0
		.amdhsa_user_sgpr_private_segment_size 0
		.amdhsa_wavefront_size32 1
		.amdhsa_uses_dynamic_stack 0
		.amdhsa_enable_private_segment 0
		.amdhsa_system_sgpr_workgroup_id_x 1
		.amdhsa_system_sgpr_workgroup_id_y 0
		.amdhsa_system_sgpr_workgroup_id_z 0
		.amdhsa_system_sgpr_workgroup_info 0
		.amdhsa_system_vgpr_workitem_id 2
		.amdhsa_next_free_vgpr 64
		.amdhsa_next_free_sgpr 39
		.amdhsa_reserve_vcc 1
		.amdhsa_float_round_mode_32 0
		.amdhsa_float_round_mode_16_64 0
		.amdhsa_float_denorm_mode_32 3
		.amdhsa_float_denorm_mode_16_64 3
		.amdhsa_dx10_clamp 1
		.amdhsa_ieee_mode 1
		.amdhsa_fp16_overflow 0
		.amdhsa_workgroup_processor_mode 1
		.amdhsa_memory_ordered 1
		.amdhsa_forward_progress 0
		.amdhsa_shared_vgpr_count 0
		.amdhsa_exception_fp_ieee_invalid_op 0
		.amdhsa_exception_fp_denorm_src 0
		.amdhsa_exception_fp_ieee_div_zero 0
		.amdhsa_exception_fp_ieee_overflow 0
		.amdhsa_exception_fp_ieee_underflow 0
		.amdhsa_exception_fp_ieee_inexact 0
		.amdhsa_exception_int_div_zero 0
	.end_amdhsa_kernel
	.section	.text._Z11rank_kernelIhLj4ELb0EL18RadixRankAlgorithm2ELj512ELj4ELj10EEvPKT_Pi,"axG",@progbits,_Z11rank_kernelIhLj4ELb0EL18RadixRankAlgorithm2ELj512ELj4ELj10EEvPKT_Pi,comdat
.Lfunc_end80:
	.size	_Z11rank_kernelIhLj4ELb0EL18RadixRankAlgorithm2ELj512ELj4ELj10EEvPKT_Pi, .Lfunc_end80-_Z11rank_kernelIhLj4ELb0EL18RadixRankAlgorithm2ELj512ELj4ELj10EEvPKT_Pi
                                        ; -- End function
	.section	.AMDGPU.csdata,"",@progbits
; Kernel info:
; codeLenInByte = 3560
; NumSgprs: 41
; NumVgprs: 64
; ScratchSize: 0
; MemoryBound: 0
; FloatMode: 240
; IeeeMode: 1
; LDSByteSize: 2112 bytes/workgroup (compile time only)
; SGPRBlocks: 5
; VGPRBlocks: 7
; NumSGPRsForWavesPerEU: 41
; NumVGPRsForWavesPerEU: 64
; Occupancy: 16
; WaveLimiterHint : 0
; COMPUTE_PGM_RSRC2:SCRATCH_EN: 0
; COMPUTE_PGM_RSRC2:USER_SGPR: 15
; COMPUTE_PGM_RSRC2:TRAP_HANDLER: 0
; COMPUTE_PGM_RSRC2:TGID_X_EN: 1
; COMPUTE_PGM_RSRC2:TGID_Y_EN: 0
; COMPUTE_PGM_RSRC2:TGID_Z_EN: 0
; COMPUTE_PGM_RSRC2:TIDIG_COMP_CNT: 2
	.section	.text._Z11rank_kernelIhLj4ELb0EL18RadixRankAlgorithm0ELj512ELj8ELj10EEvPKT_Pi,"axG",@progbits,_Z11rank_kernelIhLj4ELb0EL18RadixRankAlgorithm0ELj512ELj8ELj10EEvPKT_Pi,comdat
	.protected	_Z11rank_kernelIhLj4ELb0EL18RadixRankAlgorithm0ELj512ELj8ELj10EEvPKT_Pi ; -- Begin function _Z11rank_kernelIhLj4ELb0EL18RadixRankAlgorithm0ELj512ELj8ELj10EEvPKT_Pi
	.globl	_Z11rank_kernelIhLj4ELb0EL18RadixRankAlgorithm0ELj512ELj8ELj10EEvPKT_Pi
	.p2align	8
	.type	_Z11rank_kernelIhLj4ELb0EL18RadixRankAlgorithm0ELj512ELj8ELj10EEvPKT_Pi,@function
_Z11rank_kernelIhLj4ELb0EL18RadixRankAlgorithm0ELj512ELj8ELj10EEvPKT_Pi: ; @_Z11rank_kernelIhLj4ELb0EL18RadixRankAlgorithm0ELj512ELj8ELj10EEvPKT_Pi
; %bb.0:
	s_load_b128 s[8:11], s[0:1], 0x0
	s_lshl_b32 s12, s15, 12
	v_dual_mov_b32 v2, 0 :: v_dual_lshlrev_b32 v1, 3, v0
	v_mbcnt_lo_u32_b32 v5, -1, 0
	v_or_b32_e32 v8, 31, v0
	v_lshrrev_b32_e32 v12, 3, v0
	v_lshlrev_b32_e32 v3, 5, v0
	v_cmp_gt_u32_e32 vcc_lo, 16, v0
	v_add_nc_u32_e32 v9, -1, v5
	v_and_b32_e32 v6, 15, v5
	v_and_b32_e32 v7, 16, v5
	v_cmp_eq_u32_e64 s7, v8, v0
	v_lshlrev_b32_e32 v4, 2, v0
	v_cmp_gt_i32_e64 s5, 0, v9
	v_cmp_eq_u32_e64 s2, 0, v6
	v_cmp_lt_u32_e64 s3, 1, v6
	v_cmp_lt_u32_e64 s4, 3, v6
	v_cmp_eq_u32_e64 s6, 0, v7
	v_cndmask_b32_e64 v9, v9, v5, s5
	s_waitcnt lgkmcnt(0)
	s_add_u32 s0, s8, s12
	s_addc_u32 s1, s9, 0
	v_cmp_lt_u32_e64 s5, 7, v6
	global_load_b64 v[10:11], v1, s[0:1]
	v_cmp_eq_u32_e64 s1, 0, v5
	v_and_b32_e32 v5, 60, v12
	v_lshlrev_b32_e32 v6, 2, v9
	v_cmp_lt_u32_e64 s0, 31, v0
	s_mov_b32 s13, 0
	s_delay_alu instid0(SALU_CYCLE_1)
	s_mov_b32 s9, s13
	s_waitcnt vmcnt(0)
	v_lshlrev_b32_e32 v13, 1, v10
	v_lshrrev_b32_e32 v14, 10, v10
	v_lshlrev_b32_e32 v19, 9, v11
	v_lshrrev_b32_e32 v20, 2, v11
	v_lshlrev_b32_e32 v21, 1, v11
	v_lshrrev_b32_e32 v22, 10, v11
	v_lshrrev_b32_e32 v23, 7, v11
	v_lshrrev_b32_e32 v24, 18, v11
	;; [unrolled: 1-line block ×4, first 2 shown]
	v_lshlrev_b32_e32 v7, 5, v10
	v_lshrrev_b32_e32 v8, 6, v10
	v_lshlrev_b32_e32 v9, 9, v10
	v_lshrrev_b32_e32 v12, 2, v10
	v_lshrrev_b32_e32 v15, 7, v10
	v_lshrrev_b32_e32 v16, 18, v10
	v_lshrrev_b32_e32 v17, 15, v10
	v_lshrrev_b32_e32 v18, 26, v10
	v_lshrrev_b32_e32 v25, 15, v11
	v_lshrrev_b32_e32 v26, 26, v11
	v_lshrrev_b32_e32 v27, 3, v10
	v_lshrrev_b32_e32 v28, 14, v10
	v_lshrrev_b32_e32 v29, 11, v10
	v_lshrrev_b32_e32 v30, 22, v10
	v_lshlrev_b32_e32 v32, 5, v11
	v_lshrrev_b32_e32 v33, 6, v11
	v_lshrrev_b32_e32 v34, 3, v11
	;; [unrolled: 1-line block ×5, first 2 shown]
	v_and_or_b32 v13, 0xe00, v13, v0
	v_and_b32_e32 v14, 2, v14
	v_and_or_b32 v19, 0xe00, v19, v0
	v_and_b32_e32 v20, 2, v20
	;; [unrolled: 2-line block ×4, first 2 shown]
	v_and_or_b32 v31, 0xe00, v31, v0
	v_and_or_b32 v38, 0xe00, v38, v0
	v_and_or_b32 v7, 0xe00, v7, v0
	v_and_b32_e32 v8, 2, v8
	v_and_or_b32 v9, 0xe00, v9, v0
	v_and_b32_e32 v12, 2, v12
	v_and_or_b32 v39, 0xe00, v15, v0
	;; [unrolled: 2-line block ×9, first 2 shown]
	v_and_b32_e32 v37, 2, v37
	v_lshl_or_b32 v16, v13, 2, v14
	v_lshl_or_b32 v19, v19, 2, v20
	;; [unrolled: 1-line block ×4, first 2 shown]
	v_alignbit_b32 v13, v31, v10, 30
	v_alignbit_b32 v23, v38, v11, 30
	v_lshl_or_b32 v7, v7, 2, v8
	v_lshl_or_b32 v15, v9, 2, v12
	;; [unrolled: 1-line block ×10, first 2 shown]
	v_and_b32_e32 v14, 0x3ffe, v13
	v_and_b32_e32 v13, 0x3ffe, v23
	v_or_b32_e32 v0, 0xfffffe00, v0
	s_branch .LBB81_2
.LBB81_1:                               ;   in Loop: Header=BB81_2 Depth=1
	s_or_b32 exec_lo, exec_lo, s8
	s_waitcnt lgkmcnt(0)
	v_add_nc_u32_e32 v31, v32, v31
	ds_load_b32 v35, v2 offset:16444
	ds_load_2addr_b32 v[33:34], v3 offset1:1
	s_add_i32 s9, s9, 1
	s_delay_alu instid0(SALU_CYCLE_1)
	s_cmp_eq_u32 s9, 10
	ds_bpermute_b32 v31, v6, v31
	s_waitcnt lgkmcnt(0)
	v_cndmask_b32_e64 v36, v31, v32, s1
	ds_load_2addr_b32 v[31:32], v3 offset0:2 offset1:3
	v_lshl_add_u32 v37, v35, 16, v36
	ds_load_2addr_b32 v[35:36], v3 offset0:4 offset1:5
	ds_load_b32 v38, v3 offset:24
	v_add_nc_u32_e32 v33, v37, v33
	s_delay_alu instid0(VALU_DEP_1) | instskip(SKIP_1) | instid1(VALU_DEP_1)
	v_add_nc_u32_e32 v34, v34, v33
	s_waitcnt lgkmcnt(2)
	v_add_nc_u32_e32 v31, v31, v34
	s_delay_alu instid0(VALU_DEP_1) | instskip(SKIP_1) | instid1(VALU_DEP_1)
	v_add_nc_u32_e32 v32, v32, v31
	s_waitcnt lgkmcnt(1)
	;; [unrolled: 4-line block ×3, first 2 shown]
	v_add_nc_u32_e32 v38, v38, v36
	ds_store_2addr_b32 v3, v37, v33 offset1:1
	ds_store_2addr_b32 v3, v34, v31 offset0:2 offset1:3
	ds_store_2addr_b32 v3, v32, v35 offset0:4 offset1:5
	;; [unrolled: 1-line block ×3, first 2 shown]
	s_waitcnt lgkmcnt(0)
	s_barrier
	buffer_gl0_inv
	s_cbranch_scc1 .LBB81_18
.LBB81_2:                               ; =>This Loop Header: Depth=1
                                        ;     Child Loop BB81_3 Depth 2
                                        ;     Child Loop BB81_11 Depth 2
	s_delay_alu instid0(VALU_DEP_1)
	v_mov_b32_e32 v23, v0
	v_mov_b32_e32 v24, v4
	s_mov_b32 s14, 0
.LBB81_3:                               ;   Parent Loop BB81_2 Depth=1
                                        ; =>  This Inner Loop Header: Depth=2
	s_delay_alu instid0(VALU_DEP_2) | instskip(SKIP_3) | instid1(VALU_DEP_1)
	v_add_nc_u32_e32 v23, 0x200, v23
	ds_store_b32 v24, v2
	v_add_nc_u32_e32 v24, 0x800, v24
	v_cmp_lt_u32_e64 s8, 0xdff, v23
	s_or_b32 s14, s8, s14
	s_delay_alu instid0(SALU_CYCLE_1)
	s_and_not1_b32 exec_lo, exec_lo, s14
	s_cbranch_execnz .LBB81_3
; %bb.4:                                ;   in Loop: Header=BB81_2 Depth=1
	s_or_b32 exec_lo, exec_lo, s14
	ds_load_u16 v23, v15
	s_waitcnt lgkmcnt(0)
	v_add_nc_u16 v23, v23, 1
	ds_store_b16 v15, v23
	ds_load_u16 v23, v16
	s_waitcnt lgkmcnt(0)
	v_add_nc_u16 v23, v23, 1
	ds_store_b16 v16, v23
	;; [unrolled: 4-line block ×8, first 2 shown]
	s_waitcnt lgkmcnt(0)
	s_barrier
	buffer_gl0_inv
	ds_load_2addr_b32 v[23:24], v3 offset1:1
	ds_load_2addr_b32 v[25:26], v3 offset0:2 offset1:3
	ds_load_2addr_b32 v[27:28], v3 offset0:4 offset1:5
	;; [unrolled: 1-line block ×3, first 2 shown]
	s_waitcnt lgkmcnt(3)
	v_add_nc_u32_e32 v23, v24, v23
	s_waitcnt lgkmcnt(2)
	s_delay_alu instid0(VALU_DEP_1) | instskip(SKIP_1) | instid1(VALU_DEP_1)
	v_add3_u32 v23, v23, v25, v26
	s_waitcnt lgkmcnt(1)
	v_add3_u32 v23, v23, v27, v28
	s_waitcnt lgkmcnt(0)
	s_delay_alu instid0(VALU_DEP_1) | instskip(NEXT) | instid1(VALU_DEP_1)
	v_add3_u32 v23, v23, v29, v30
	v_mov_b32_dpp v24, v23 row_shr:1 row_mask:0xf bank_mask:0xf
	s_delay_alu instid0(VALU_DEP_1) | instskip(NEXT) | instid1(VALU_DEP_1)
	v_cndmask_b32_e64 v24, v24, 0, s2
	v_add_nc_u32_e32 v23, v24, v23
	s_delay_alu instid0(VALU_DEP_1) | instskip(NEXT) | instid1(VALU_DEP_1)
	v_mov_b32_dpp v24, v23 row_shr:2 row_mask:0xf bank_mask:0xf
	v_cndmask_b32_e64 v24, 0, v24, s3
	s_delay_alu instid0(VALU_DEP_1) | instskip(NEXT) | instid1(VALU_DEP_1)
	v_add_nc_u32_e32 v23, v23, v24
	v_mov_b32_dpp v24, v23 row_shr:4 row_mask:0xf bank_mask:0xf
	s_delay_alu instid0(VALU_DEP_1) | instskip(NEXT) | instid1(VALU_DEP_1)
	v_cndmask_b32_e64 v24, 0, v24, s4
	v_add_nc_u32_e32 v23, v23, v24
	s_delay_alu instid0(VALU_DEP_1) | instskip(NEXT) | instid1(VALU_DEP_1)
	v_mov_b32_dpp v24, v23 row_shr:8 row_mask:0xf bank_mask:0xf
	v_cndmask_b32_e64 v24, 0, v24, s5
	s_delay_alu instid0(VALU_DEP_1) | instskip(SKIP_3) | instid1(VALU_DEP_1)
	v_add_nc_u32_e32 v23, v23, v24
	ds_swizzle_b32 v24, v23 offset:swizzle(BROADCAST,32,15)
	s_waitcnt lgkmcnt(0)
	v_cndmask_b32_e64 v24, v24, 0, s6
	v_add_nc_u32_e32 v23, v23, v24
	s_and_saveexec_b32 s8, s7
	s_cbranch_execz .LBB81_6
; %bb.5:                                ;   in Loop: Header=BB81_2 Depth=1
	ds_store_b32 v5, v23 offset:16384
.LBB81_6:                               ;   in Loop: Header=BB81_2 Depth=1
	s_or_b32 exec_lo, exec_lo, s8
	s_waitcnt lgkmcnt(0)
	s_barrier
	buffer_gl0_inv
	s_and_saveexec_b32 s8, vcc_lo
	s_cbranch_execz .LBB81_8
; %bb.7:                                ;   in Loop: Header=BB81_2 Depth=1
	ds_load_b32 v24, v4 offset:16384
	s_waitcnt lgkmcnt(0)
	v_mov_b32_dpp v25, v24 row_shr:1 row_mask:0xf bank_mask:0xf
	s_delay_alu instid0(VALU_DEP_1) | instskip(NEXT) | instid1(VALU_DEP_1)
	v_cndmask_b32_e64 v25, v25, 0, s2
	v_add_nc_u32_e32 v24, v25, v24
	s_delay_alu instid0(VALU_DEP_1) | instskip(NEXT) | instid1(VALU_DEP_1)
	v_mov_b32_dpp v25, v24 row_shr:2 row_mask:0xf bank_mask:0xf
	v_cndmask_b32_e64 v25, 0, v25, s3
	s_delay_alu instid0(VALU_DEP_1) | instskip(NEXT) | instid1(VALU_DEP_1)
	v_add_nc_u32_e32 v24, v24, v25
	v_mov_b32_dpp v25, v24 row_shr:4 row_mask:0xf bank_mask:0xf
	s_delay_alu instid0(VALU_DEP_1) | instskip(NEXT) | instid1(VALU_DEP_1)
	v_cndmask_b32_e64 v25, 0, v25, s4
	v_add_nc_u32_e32 v24, v24, v25
	s_delay_alu instid0(VALU_DEP_1) | instskip(NEXT) | instid1(VALU_DEP_1)
	v_mov_b32_dpp v25, v24 row_shr:8 row_mask:0xf bank_mask:0xf
	v_cndmask_b32_e64 v25, 0, v25, s5
	s_delay_alu instid0(VALU_DEP_1)
	v_add_nc_u32_e32 v24, v24, v25
	ds_store_b32 v4, v24 offset:16384
.LBB81_8:                               ;   in Loop: Header=BB81_2 Depth=1
	s_or_b32 exec_lo, exec_lo, s8
	v_mov_b32_e32 v24, 0
	s_waitcnt lgkmcnt(0)
	s_barrier
	buffer_gl0_inv
	s_and_saveexec_b32 s8, s0
	s_cbranch_execz .LBB81_10
; %bb.9:                                ;   in Loop: Header=BB81_2 Depth=1
	ds_load_b32 v24, v5 offset:16380
.LBB81_10:                              ;   in Loop: Header=BB81_2 Depth=1
	s_or_b32 exec_lo, exec_lo, s8
	s_waitcnt lgkmcnt(0)
	v_add_nc_u32_e32 v23, v24, v23
	ds_load_b32 v27, v2 offset:16444
	ds_load_2addr_b32 v[25:26], v3 offset1:1
	s_mov_b32 s14, 0
	ds_bpermute_b32 v23, v6, v23
	s_waitcnt lgkmcnt(0)
	v_cndmask_b32_e64 v28, v23, v24, s1
	ds_load_2addr_b32 v[23:24], v3 offset0:2 offset1:3
	v_lshl_add_u32 v29, v27, 16, v28
	ds_load_2addr_b32 v[27:28], v3 offset0:4 offset1:5
	ds_load_b32 v30, v3 offset:24
	v_add_nc_u32_e32 v25, v29, v25
	s_delay_alu instid0(VALU_DEP_1) | instskip(SKIP_1) | instid1(VALU_DEP_1)
	v_add_nc_u32_e32 v26, v26, v25
	s_waitcnt lgkmcnt(2)
	v_add_nc_u32_e32 v31, v23, v26
	v_mov_b32_e32 v23, v0
	s_delay_alu instid0(VALU_DEP_2) | instskip(SKIP_1) | instid1(VALU_DEP_1)
	v_add_nc_u32_e32 v32, v24, v31
	s_waitcnt lgkmcnt(1)
	v_dual_mov_b32 v24, v4 :: v_dual_add_nc_u32 v27, v27, v32
	s_delay_alu instid0(VALU_DEP_1) | instskip(SKIP_1) | instid1(VALU_DEP_1)
	v_add_nc_u32_e32 v28, v28, v27
	s_waitcnt lgkmcnt(0)
	v_add_nc_u32_e32 v30, v30, v28
	ds_store_2addr_b32 v3, v29, v25 offset1:1
	ds_store_2addr_b32 v3, v26, v31 offset0:2 offset1:3
	ds_store_2addr_b32 v3, v32, v27 offset0:4 offset1:5
	;; [unrolled: 1-line block ×3, first 2 shown]
	s_waitcnt lgkmcnt(0)
	s_barrier
	buffer_gl0_inv
.LBB81_11:                              ;   Parent Loop BB81_2 Depth=1
                                        ; =>  This Inner Loop Header: Depth=2
	v_add_nc_u32_e32 v23, 0x200, v23
	ds_store_b32 v24, v2
	v_add_nc_u32_e32 v24, 0x800, v24
	v_cmp_lt_u32_e64 s8, 0xdff, v23
	s_delay_alu instid0(VALU_DEP_1) | instskip(NEXT) | instid1(SALU_CYCLE_1)
	s_or_b32 s14, s8, s14
	s_and_not1_b32 exec_lo, exec_lo, s14
	s_cbranch_execnz .LBB81_11
; %bb.12:                               ;   in Loop: Header=BB81_2 Depth=1
	s_or_b32 exec_lo, exec_lo, s14
	ds_load_u16 v23, v7
	s_waitcnt lgkmcnt(0)
	v_add_nc_u16 v24, v23, 1
	ds_store_b16 v7, v24
	ds_load_u16 v24, v8
	s_waitcnt lgkmcnt(0)
	v_add_nc_u16 v25, v24, 1
	ds_store_b16 v8, v25
	;; [unrolled: 4-line block ×8, first 2 shown]
	s_waitcnt lgkmcnt(0)
	s_barrier
	buffer_gl0_inv
	ds_load_2addr_b32 v[31:32], v3 offset1:1
	ds_load_2addr_b32 v[33:34], v3 offset0:2 offset1:3
	ds_load_2addr_b32 v[35:36], v3 offset0:4 offset1:5
	ds_load_2addr_b32 v[37:38], v3 offset0:6 offset1:7
	s_waitcnt lgkmcnt(3)
	v_add_nc_u32_e32 v31, v32, v31
	s_waitcnt lgkmcnt(2)
	s_delay_alu instid0(VALU_DEP_1) | instskip(SKIP_1) | instid1(VALU_DEP_1)
	v_add3_u32 v31, v31, v33, v34
	s_waitcnt lgkmcnt(1)
	v_add3_u32 v31, v31, v35, v36
	s_waitcnt lgkmcnt(0)
	s_delay_alu instid0(VALU_DEP_1) | instskip(NEXT) | instid1(VALU_DEP_1)
	v_add3_u32 v31, v31, v37, v38
	v_mov_b32_dpp v32, v31 row_shr:1 row_mask:0xf bank_mask:0xf
	s_delay_alu instid0(VALU_DEP_1) | instskip(NEXT) | instid1(VALU_DEP_1)
	v_cndmask_b32_e64 v32, v32, 0, s2
	v_add_nc_u32_e32 v31, v32, v31
	s_delay_alu instid0(VALU_DEP_1) | instskip(NEXT) | instid1(VALU_DEP_1)
	v_mov_b32_dpp v32, v31 row_shr:2 row_mask:0xf bank_mask:0xf
	v_cndmask_b32_e64 v32, 0, v32, s3
	s_delay_alu instid0(VALU_DEP_1) | instskip(NEXT) | instid1(VALU_DEP_1)
	v_add_nc_u32_e32 v31, v31, v32
	v_mov_b32_dpp v32, v31 row_shr:4 row_mask:0xf bank_mask:0xf
	s_delay_alu instid0(VALU_DEP_1) | instskip(NEXT) | instid1(VALU_DEP_1)
	v_cndmask_b32_e64 v32, 0, v32, s4
	v_add_nc_u32_e32 v31, v31, v32
	s_delay_alu instid0(VALU_DEP_1) | instskip(NEXT) | instid1(VALU_DEP_1)
	v_mov_b32_dpp v32, v31 row_shr:8 row_mask:0xf bank_mask:0xf
	v_cndmask_b32_e64 v32, 0, v32, s5
	s_delay_alu instid0(VALU_DEP_1) | instskip(SKIP_3) | instid1(VALU_DEP_1)
	v_add_nc_u32_e32 v31, v31, v32
	ds_swizzle_b32 v32, v31 offset:swizzle(BROADCAST,32,15)
	s_waitcnt lgkmcnt(0)
	v_cndmask_b32_e64 v32, v32, 0, s6
	v_add_nc_u32_e32 v31, v31, v32
	s_and_saveexec_b32 s8, s7
	s_cbranch_execz .LBB81_14
; %bb.13:                               ;   in Loop: Header=BB81_2 Depth=1
	ds_store_b32 v5, v31 offset:16384
.LBB81_14:                              ;   in Loop: Header=BB81_2 Depth=1
	s_or_b32 exec_lo, exec_lo, s8
	s_waitcnt lgkmcnt(0)
	s_barrier
	buffer_gl0_inv
	s_and_saveexec_b32 s8, vcc_lo
	s_cbranch_execz .LBB81_16
; %bb.15:                               ;   in Loop: Header=BB81_2 Depth=1
	ds_load_b32 v32, v4 offset:16384
	s_waitcnt lgkmcnt(0)
	v_mov_b32_dpp v33, v32 row_shr:1 row_mask:0xf bank_mask:0xf
	s_delay_alu instid0(VALU_DEP_1) | instskip(NEXT) | instid1(VALU_DEP_1)
	v_cndmask_b32_e64 v33, v33, 0, s2
	v_add_nc_u32_e32 v32, v33, v32
	s_delay_alu instid0(VALU_DEP_1) | instskip(NEXT) | instid1(VALU_DEP_1)
	v_mov_b32_dpp v33, v32 row_shr:2 row_mask:0xf bank_mask:0xf
	v_cndmask_b32_e64 v33, 0, v33, s3
	s_delay_alu instid0(VALU_DEP_1) | instskip(NEXT) | instid1(VALU_DEP_1)
	v_add_nc_u32_e32 v32, v32, v33
	v_mov_b32_dpp v33, v32 row_shr:4 row_mask:0xf bank_mask:0xf
	s_delay_alu instid0(VALU_DEP_1) | instskip(NEXT) | instid1(VALU_DEP_1)
	v_cndmask_b32_e64 v33, 0, v33, s4
	v_add_nc_u32_e32 v32, v32, v33
	s_delay_alu instid0(VALU_DEP_1) | instskip(NEXT) | instid1(VALU_DEP_1)
	v_mov_b32_dpp v33, v32 row_shr:8 row_mask:0xf bank_mask:0xf
	v_cndmask_b32_e64 v33, 0, v33, s5
	s_delay_alu instid0(VALU_DEP_1)
	v_add_nc_u32_e32 v32, v32, v33
	ds_store_b32 v4, v32 offset:16384
.LBB81_16:                              ;   in Loop: Header=BB81_2 Depth=1
	s_or_b32 exec_lo, exec_lo, s8
	v_mov_b32_e32 v32, 0
	s_waitcnt lgkmcnt(0)
	s_barrier
	buffer_gl0_inv
	s_and_saveexec_b32 s8, s0
	s_cbranch_execz .LBB81_1
; %bb.17:                               ;   in Loop: Header=BB81_2 Depth=1
	ds_load_b32 v32, v5 offset:16380
	s_branch .LBB81_1
.LBB81_18:
	ds_load_u16 v0, v7
	ds_load_u16 v3, v8
	;; [unrolled: 1-line block ×8, first 2 shown]
	v_and_b32_e32 v2, 0xffff, v23
	v_and_b32_e32 v10, 0xffff, v24
	;; [unrolled: 1-line block ×8, first 2 shown]
	s_lshl_b64 s[0:1], s[12:13], 2
	s_delay_alu instid0(SALU_CYCLE_1)
	s_add_u32 s0, s10, s0
	s_addc_u32 s1, s11, s1
	s_waitcnt lgkmcnt(7)
	v_add_nc_u32_e32 v2, v0, v2
	s_waitcnt lgkmcnt(6)
	v_add_nc_u32_e32 v3, v3, v10
	;; [unrolled: 2-line block ×4, first 2 shown]
	v_lshlrev_b32_e32 v0, 2, v1
	s_waitcnt lgkmcnt(3)
	v_add_nc_u32_e32 v6, v6, v13
	s_waitcnt lgkmcnt(2)
	v_add_nc_u32_e32 v7, v7, v14
	;; [unrolled: 2-line block ×4, first 2 shown]
	s_clause 0x1
	global_store_b128 v0, v[2:5], s[0:1]
	global_store_b128 v0, v[6:9], s[0:1] offset:16
	s_nop 0
	s_sendmsg sendmsg(MSG_DEALLOC_VGPRS)
	s_endpgm
	.section	.rodata,"a",@progbits
	.p2align	6, 0x0
	.amdhsa_kernel _Z11rank_kernelIhLj4ELb0EL18RadixRankAlgorithm0ELj512ELj8ELj10EEvPKT_Pi
		.amdhsa_group_segment_fixed_size 16448
		.amdhsa_private_segment_fixed_size 0
		.amdhsa_kernarg_size 16
		.amdhsa_user_sgpr_count 15
		.amdhsa_user_sgpr_dispatch_ptr 0
		.amdhsa_user_sgpr_queue_ptr 0
		.amdhsa_user_sgpr_kernarg_segment_ptr 1
		.amdhsa_user_sgpr_dispatch_id 0
		.amdhsa_user_sgpr_private_segment_size 0
		.amdhsa_wavefront_size32 1
		.amdhsa_uses_dynamic_stack 0
		.amdhsa_enable_private_segment 0
		.amdhsa_system_sgpr_workgroup_id_x 1
		.amdhsa_system_sgpr_workgroup_id_y 0
		.amdhsa_system_sgpr_workgroup_id_z 0
		.amdhsa_system_sgpr_workgroup_info 0
		.amdhsa_system_vgpr_workitem_id 0
		.amdhsa_next_free_vgpr 42
		.amdhsa_next_free_sgpr 16
		.amdhsa_reserve_vcc 1
		.amdhsa_float_round_mode_32 0
		.amdhsa_float_round_mode_16_64 0
		.amdhsa_float_denorm_mode_32 3
		.amdhsa_float_denorm_mode_16_64 3
		.amdhsa_dx10_clamp 1
		.amdhsa_ieee_mode 1
		.amdhsa_fp16_overflow 0
		.amdhsa_workgroup_processor_mode 1
		.amdhsa_memory_ordered 1
		.amdhsa_forward_progress 0
		.amdhsa_shared_vgpr_count 0
		.amdhsa_exception_fp_ieee_invalid_op 0
		.amdhsa_exception_fp_denorm_src 0
		.amdhsa_exception_fp_ieee_div_zero 0
		.amdhsa_exception_fp_ieee_overflow 0
		.amdhsa_exception_fp_ieee_underflow 0
		.amdhsa_exception_fp_ieee_inexact 0
		.amdhsa_exception_int_div_zero 0
	.end_amdhsa_kernel
	.section	.text._Z11rank_kernelIhLj4ELb0EL18RadixRankAlgorithm0ELj512ELj8ELj10EEvPKT_Pi,"axG",@progbits,_Z11rank_kernelIhLj4ELb0EL18RadixRankAlgorithm0ELj512ELj8ELj10EEvPKT_Pi,comdat
.Lfunc_end81:
	.size	_Z11rank_kernelIhLj4ELb0EL18RadixRankAlgorithm0ELj512ELj8ELj10EEvPKT_Pi, .Lfunc_end81-_Z11rank_kernelIhLj4ELb0EL18RadixRankAlgorithm0ELj512ELj8ELj10EEvPKT_Pi
                                        ; -- End function
	.section	.AMDGPU.csdata,"",@progbits
; Kernel info:
; codeLenInByte = 2796
; NumSgprs: 18
; NumVgprs: 42
; ScratchSize: 0
; MemoryBound: 0
; FloatMode: 240
; IeeeMode: 1
; LDSByteSize: 16448 bytes/workgroup (compile time only)
; SGPRBlocks: 2
; VGPRBlocks: 5
; NumSGPRsForWavesPerEU: 18
; NumVGPRsForWavesPerEU: 42
; Occupancy: 16
; WaveLimiterHint : 0
; COMPUTE_PGM_RSRC2:SCRATCH_EN: 0
; COMPUTE_PGM_RSRC2:USER_SGPR: 15
; COMPUTE_PGM_RSRC2:TRAP_HANDLER: 0
; COMPUTE_PGM_RSRC2:TGID_X_EN: 1
; COMPUTE_PGM_RSRC2:TGID_Y_EN: 0
; COMPUTE_PGM_RSRC2:TGID_Z_EN: 0
; COMPUTE_PGM_RSRC2:TIDIG_COMP_CNT: 0
	.section	.text._Z11rank_kernelIhLj4ELb0EL18RadixRankAlgorithm1ELj512ELj8ELj10EEvPKT_Pi,"axG",@progbits,_Z11rank_kernelIhLj4ELb0EL18RadixRankAlgorithm1ELj512ELj8ELj10EEvPKT_Pi,comdat
	.protected	_Z11rank_kernelIhLj4ELb0EL18RadixRankAlgorithm1ELj512ELj8ELj10EEvPKT_Pi ; -- Begin function _Z11rank_kernelIhLj4ELb0EL18RadixRankAlgorithm1ELj512ELj8ELj10EEvPKT_Pi
	.globl	_Z11rank_kernelIhLj4ELb0EL18RadixRankAlgorithm1ELj512ELj8ELj10EEvPKT_Pi
	.p2align	8
	.type	_Z11rank_kernelIhLj4ELb0EL18RadixRankAlgorithm1ELj512ELj8ELj10EEvPKT_Pi,@function
_Z11rank_kernelIhLj4ELb0EL18RadixRankAlgorithm1ELj512ELj8ELj10EEvPKT_Pi: ; @_Z11rank_kernelIhLj4ELb0EL18RadixRankAlgorithm1ELj512ELj8ELj10EEvPKT_Pi
; %bb.0:
	s_load_b128 s[8:11], s[0:1], 0x0
	s_lshl_b32 s12, s15, 12
	v_dual_mov_b32 v9, 0 :: v_dual_lshlrev_b32 v8, 3, v0
	v_mbcnt_lo_u32_b32 v3, -1, 0
	v_or_b32_e32 v6, 31, v0
	v_lshrrev_b32_e32 v12, 3, v0
	v_lshlrev_b32_e32 v10, 5, v0
	v_cmp_gt_u32_e32 vcc_lo, 16, v0
	v_add_nc_u32_e32 v7, -1, v3
	v_and_b32_e32 v4, 15, v3
	v_and_b32_e32 v5, 16, v3
	v_cmp_eq_u32_e64 s7, v6, v0
	v_lshlrev_b32_e32 v11, 2, v0
	v_cmp_gt_i32_e64 s5, 0, v7
	v_cmp_eq_u32_e64 s2, 0, v4
	v_cmp_lt_u32_e64 s3, 1, v4
	v_cmp_lt_u32_e64 s4, 3, v4
	v_cmp_eq_u32_e64 s6, 0, v5
	v_and_b32_e32 v12, 60, v12
	s_waitcnt lgkmcnt(0)
	s_add_u32 s0, s8, s12
	s_addc_u32 s1, s9, 0
	s_mov_b32 s13, 0
	global_load_b64 v[1:2], v8, s[0:1]
	v_cmp_eq_u32_e64 s1, 0, v3
	v_cndmask_b32_e64 v3, v7, v3, s5
	v_cmp_lt_u32_e64 s5, 7, v4
	v_cmp_lt_u32_e64 s0, 31, v0
	s_mov_b32 s9, s13
	s_delay_alu instid0(VALU_DEP_3)
	v_lshlrev_b32_e32 v13, 2, v3
	s_waitcnt vmcnt(0)
	v_lshrrev_b32_e32 v31, 19, v1
	v_lshrrev_b32_e32 v38, 19, v2
	v_lshlrev_b32_e32 v3, 5, v1
	v_lshrrev_b32_e32 v4, 6, v1
	v_lshlrev_b32_e32 v5, 9, v1
	;; [unrolled: 2-line block ×3, first 2 shown]
	v_lshrrev_b32_e32 v14, 10, v1
	v_lshrrev_b32_e32 v15, 7, v1
	;; [unrolled: 1-line block ×5, first 2 shown]
	v_lshlrev_b32_e32 v19, 9, v2
	v_lshrrev_b32_e32 v20, 2, v2
	v_lshlrev_b32_e32 v21, 1, v2
	v_lshrrev_b32_e32 v22, 10, v2
	v_lshrrev_b32_e32 v23, 7, v2
	;; [unrolled: 1-line block ×9, first 2 shown]
	v_lshlrev_b32_e32 v32, 5, v2
	v_lshrrev_b32_e32 v33, 6, v2
	v_lshrrev_b32_e32 v34, 3, v2
	;; [unrolled: 1-line block ×5, first 2 shown]
	v_and_or_b32 v31, 0xe00, v31, v0
	v_and_or_b32 v38, 0xe00, v38, v0
	;; [unrolled: 1-line block ×3, first 2 shown]
	v_and_b32_e32 v4, 2, v4
	v_and_or_b32 v5, 0xe00, v5, v0
	v_and_b32_e32 v6, 2, v6
	v_and_or_b32 v7, 0xe00, v7, v0
	;; [unrolled: 2-line block ×13, first 2 shown]
	v_and_b32_e32 v37, 2, v37
	v_alignbit_b32 v1, v31, v1, 30
	v_alignbit_b32 v2, v38, v2, 30
	v_lshl_or_b32 v14, v3, 2, v4
	v_lshl_or_b32 v22, v5, 2, v6
	;; [unrolled: 1-line block ×14, first 2 shown]
	v_and_b32_e32 v21, 0x3ffe, v1
	v_and_b32_e32 v20, 0x3ffe, v2
	v_or_b32_e32 v30, 0xfffffe00, v0
	s_branch .LBB82_2
.LBB82_1:                               ;   in Loop: Header=BB82_2 Depth=1
	s_or_b32 exec_lo, exec_lo, s8
	s_waitcnt lgkmcnt(0)
	v_add_nc_u32_e32 v1, v39, v1
	ds_load_b32 v40, v9 offset:16444
	s_add_i32 s9, s9, 1
	s_delay_alu instid0(SALU_CYCLE_1) | instskip(SKIP_3) | instid1(VALU_DEP_1)
	s_cmp_eq_u32 s9, 10
	ds_bpermute_b32 v1, v13, v1
	s_waitcnt lgkmcnt(0)
	v_cndmask_b32_e64 v1, v1, v39, s1
	v_lshl_add_u32 v1, v40, 16, v1
	s_delay_alu instid0(VALU_DEP_1) | instskip(NEXT) | instid1(VALU_DEP_1)
	v_add_nc_u32_e32 v6, v1, v6
	v_add_nc_u32_e32 v7, v6, v7
	s_delay_alu instid0(VALU_DEP_1) | instskip(NEXT) | instid1(VALU_DEP_1)
	v_add_nc_u32_e32 v4, v7, v4
	v_add_nc_u32_e32 v5, v4, v5
	;; [unrolled: 3-line block ×3, first 2 shown]
	s_delay_alu instid0(VALU_DEP_1)
	v_add_nc_u32_e32 v0, v3, v0
	ds_store_2addr_b32 v10, v1, v6 offset1:1
	ds_store_2addr_b32 v10, v7, v4 offset0:2 offset1:3
	ds_store_2addr_b32 v10, v5, v2 offset0:4 offset1:5
	;; [unrolled: 1-line block ×3, first 2 shown]
	s_waitcnt lgkmcnt(0)
	s_barrier
	buffer_gl0_inv
	s_cbranch_scc1 .LBB82_18
.LBB82_2:                               ; =>This Loop Header: Depth=1
                                        ;     Child Loop BB82_3 Depth 2
                                        ;     Child Loop BB82_11 Depth 2
	s_delay_alu instid0(VALU_DEP_1)
	v_dual_mov_b32 v0, v30 :: v_dual_mov_b32 v1, v11
	s_mov_b32 s14, 0
.LBB82_3:                               ;   Parent Loop BB82_2 Depth=1
                                        ; =>  This Inner Loop Header: Depth=2
	s_delay_alu instid0(VALU_DEP_1) | instskip(SKIP_3) | instid1(VALU_DEP_1)
	v_add_nc_u32_e32 v0, 0x200, v0
	ds_store_b32 v1, v9
	v_add_nc_u32_e32 v1, 0x800, v1
	v_cmp_lt_u32_e64 s8, 0xdff, v0
	s_or_b32 s14, s8, s14
	s_delay_alu instid0(SALU_CYCLE_1)
	s_and_not1_b32 exec_lo, exec_lo, s14
	s_cbranch_execnz .LBB82_3
; %bb.4:                                ;   in Loop: Header=BB82_2 Depth=1
	s_or_b32 exec_lo, exec_lo, s14
	ds_load_u16 v0, v22
	s_waitcnt lgkmcnt(0)
	v_add_nc_u16 v0, v0, 1
	ds_store_b16 v22, v0
	ds_load_u16 v0, v23
	s_waitcnt lgkmcnt(0)
	v_add_nc_u16 v0, v0, 1
	ds_store_b16 v23, v0
	;; [unrolled: 4-line block ×8, first 2 shown]
	s_waitcnt lgkmcnt(0)
	s_barrier
	buffer_gl0_inv
	ds_load_2addr_b32 v[6:7], v10 offset1:1
	ds_load_2addr_b32 v[4:5], v10 offset0:2 offset1:3
	ds_load_2addr_b32 v[2:3], v10 offset0:4 offset1:5
	;; [unrolled: 1-line block ×3, first 2 shown]
	s_waitcnt lgkmcnt(3)
	v_add_nc_u32_e32 v31, v7, v6
	s_waitcnt lgkmcnt(2)
	s_delay_alu instid0(VALU_DEP_1) | instskip(SKIP_1) | instid1(VALU_DEP_1)
	v_add3_u32 v31, v31, v4, v5
	s_waitcnt lgkmcnt(1)
	v_add3_u32 v31, v31, v2, v3
	s_waitcnt lgkmcnt(0)
	s_delay_alu instid0(VALU_DEP_1) | instskip(NEXT) | instid1(VALU_DEP_1)
	v_add3_u32 v1, v31, v0, v1
	v_mov_b32_dpp v31, v1 row_shr:1 row_mask:0xf bank_mask:0xf
	s_delay_alu instid0(VALU_DEP_1) | instskip(NEXT) | instid1(VALU_DEP_1)
	v_cndmask_b32_e64 v31, v31, 0, s2
	v_add_nc_u32_e32 v1, v31, v1
	s_delay_alu instid0(VALU_DEP_1) | instskip(NEXT) | instid1(VALU_DEP_1)
	v_mov_b32_dpp v31, v1 row_shr:2 row_mask:0xf bank_mask:0xf
	v_cndmask_b32_e64 v31, 0, v31, s3
	s_delay_alu instid0(VALU_DEP_1) | instskip(NEXT) | instid1(VALU_DEP_1)
	v_add_nc_u32_e32 v1, v1, v31
	v_mov_b32_dpp v31, v1 row_shr:4 row_mask:0xf bank_mask:0xf
	s_delay_alu instid0(VALU_DEP_1) | instskip(NEXT) | instid1(VALU_DEP_1)
	v_cndmask_b32_e64 v31, 0, v31, s4
	v_add_nc_u32_e32 v1, v1, v31
	s_delay_alu instid0(VALU_DEP_1) | instskip(NEXT) | instid1(VALU_DEP_1)
	v_mov_b32_dpp v31, v1 row_shr:8 row_mask:0xf bank_mask:0xf
	v_cndmask_b32_e64 v31, 0, v31, s5
	s_delay_alu instid0(VALU_DEP_1) | instskip(SKIP_3) | instid1(VALU_DEP_1)
	v_add_nc_u32_e32 v1, v1, v31
	ds_swizzle_b32 v31, v1 offset:swizzle(BROADCAST,32,15)
	s_waitcnt lgkmcnt(0)
	v_cndmask_b32_e64 v31, v31, 0, s6
	v_add_nc_u32_e32 v1, v1, v31
	s_and_saveexec_b32 s8, s7
	s_cbranch_execz .LBB82_6
; %bb.5:                                ;   in Loop: Header=BB82_2 Depth=1
	ds_store_b32 v12, v1 offset:16384
.LBB82_6:                               ;   in Loop: Header=BB82_2 Depth=1
	s_or_b32 exec_lo, exec_lo, s8
	s_waitcnt lgkmcnt(0)
	s_barrier
	buffer_gl0_inv
	s_and_saveexec_b32 s8, vcc_lo
	s_cbranch_execz .LBB82_8
; %bb.7:                                ;   in Loop: Header=BB82_2 Depth=1
	ds_load_b32 v31, v11 offset:16384
	s_waitcnt lgkmcnt(0)
	v_mov_b32_dpp v32, v31 row_shr:1 row_mask:0xf bank_mask:0xf
	s_delay_alu instid0(VALU_DEP_1) | instskip(NEXT) | instid1(VALU_DEP_1)
	v_cndmask_b32_e64 v32, v32, 0, s2
	v_add_nc_u32_e32 v31, v32, v31
	s_delay_alu instid0(VALU_DEP_1) | instskip(NEXT) | instid1(VALU_DEP_1)
	v_mov_b32_dpp v32, v31 row_shr:2 row_mask:0xf bank_mask:0xf
	v_cndmask_b32_e64 v32, 0, v32, s3
	s_delay_alu instid0(VALU_DEP_1) | instskip(NEXT) | instid1(VALU_DEP_1)
	v_add_nc_u32_e32 v31, v31, v32
	v_mov_b32_dpp v32, v31 row_shr:4 row_mask:0xf bank_mask:0xf
	s_delay_alu instid0(VALU_DEP_1) | instskip(NEXT) | instid1(VALU_DEP_1)
	v_cndmask_b32_e64 v32, 0, v32, s4
	v_add_nc_u32_e32 v31, v31, v32
	s_delay_alu instid0(VALU_DEP_1) | instskip(NEXT) | instid1(VALU_DEP_1)
	v_mov_b32_dpp v32, v31 row_shr:8 row_mask:0xf bank_mask:0xf
	v_cndmask_b32_e64 v32, 0, v32, s5
	s_delay_alu instid0(VALU_DEP_1)
	v_add_nc_u32_e32 v31, v31, v32
	ds_store_b32 v11, v31 offset:16384
.LBB82_8:                               ;   in Loop: Header=BB82_2 Depth=1
	s_or_b32 exec_lo, exec_lo, s8
	v_mov_b32_e32 v31, 0
	s_waitcnt lgkmcnt(0)
	s_barrier
	buffer_gl0_inv
	s_and_saveexec_b32 s8, s0
	s_cbranch_execz .LBB82_10
; %bb.9:                                ;   in Loop: Header=BB82_2 Depth=1
	ds_load_b32 v31, v12 offset:16380
.LBB82_10:                              ;   in Loop: Header=BB82_2 Depth=1
	s_or_b32 exec_lo, exec_lo, s8
	s_waitcnt lgkmcnt(0)
	v_add_nc_u32_e32 v1, v31, v1
	ds_load_b32 v32, v9 offset:16444
	s_mov_b32 s14, 0
	ds_bpermute_b32 v1, v13, v1
	s_waitcnt lgkmcnt(0)
	v_cndmask_b32_e64 v1, v1, v31, s1
	s_delay_alu instid0(VALU_DEP_1) | instskip(NEXT) | instid1(VALU_DEP_1)
	v_lshl_add_u32 v31, v32, 16, v1
	v_dual_mov_b32 v1, v30 :: v_dual_add_nc_u32 v6, v31, v6
	s_delay_alu instid0(VALU_DEP_1) | instskip(NEXT) | instid1(VALU_DEP_1)
	v_add_nc_u32_e32 v7, v6, v7
	v_add_nc_u32_e32 v4, v7, v4
	s_delay_alu instid0(VALU_DEP_1) | instskip(NEXT) | instid1(VALU_DEP_1)
	v_add_nc_u32_e32 v5, v4, v5
	v_add_nc_u32_e32 v2, v5, v2
	;; [unrolled: 3-line block ×3, first 2 shown]
	v_mov_b32_e32 v0, v11
	ds_store_2addr_b32 v10, v31, v6 offset1:1
	ds_store_2addr_b32 v10, v7, v4 offset0:2 offset1:3
	ds_store_2addr_b32 v10, v5, v2 offset0:4 offset1:5
	;; [unrolled: 1-line block ×3, first 2 shown]
	s_waitcnt lgkmcnt(0)
	s_barrier
	buffer_gl0_inv
.LBB82_11:                              ;   Parent Loop BB82_2 Depth=1
                                        ; =>  This Inner Loop Header: Depth=2
	v_add_nc_u32_e32 v1, 0x200, v1
	ds_store_b32 v0, v9
	v_add_nc_u32_e32 v0, 0x800, v0
	v_cmp_lt_u32_e64 s8, 0xdff, v1
	s_delay_alu instid0(VALU_DEP_1) | instskip(NEXT) | instid1(SALU_CYCLE_1)
	s_or_b32 s14, s8, s14
	s_and_not1_b32 exec_lo, exec_lo, s14
	s_cbranch_execnz .LBB82_11
; %bb.12:                               ;   in Loop: Header=BB82_2 Depth=1
	s_or_b32 exec_lo, exec_lo, s14
	ds_load_u16 v31, v14
	s_waitcnt lgkmcnt(0)
	v_add_nc_u16 v0, v31, 1
	ds_store_b16 v14, v0
	ds_load_u16 v32, v15
	s_waitcnt lgkmcnt(0)
	v_add_nc_u16 v0, v32, 1
	ds_store_b16 v15, v0
	;; [unrolled: 4-line block ×8, first 2 shown]
	s_waitcnt lgkmcnt(0)
	s_barrier
	buffer_gl0_inv
	ds_load_2addr_b32 v[6:7], v10 offset1:1
	ds_load_2addr_b32 v[4:5], v10 offset0:2 offset1:3
	ds_load_2addr_b32 v[2:3], v10 offset0:4 offset1:5
	;; [unrolled: 1-line block ×3, first 2 shown]
	s_waitcnt lgkmcnt(3)
	v_add_nc_u32_e32 v39, v7, v6
	s_waitcnt lgkmcnt(2)
	s_delay_alu instid0(VALU_DEP_1) | instskip(SKIP_1) | instid1(VALU_DEP_1)
	v_add3_u32 v39, v39, v4, v5
	s_waitcnt lgkmcnt(1)
	v_add3_u32 v39, v39, v2, v3
	s_waitcnt lgkmcnt(0)
	s_delay_alu instid0(VALU_DEP_1) | instskip(NEXT) | instid1(VALU_DEP_1)
	v_add3_u32 v1, v39, v0, v1
	v_mov_b32_dpp v39, v1 row_shr:1 row_mask:0xf bank_mask:0xf
	s_delay_alu instid0(VALU_DEP_1) | instskip(NEXT) | instid1(VALU_DEP_1)
	v_cndmask_b32_e64 v39, v39, 0, s2
	v_add_nc_u32_e32 v1, v39, v1
	s_delay_alu instid0(VALU_DEP_1) | instskip(NEXT) | instid1(VALU_DEP_1)
	v_mov_b32_dpp v39, v1 row_shr:2 row_mask:0xf bank_mask:0xf
	v_cndmask_b32_e64 v39, 0, v39, s3
	s_delay_alu instid0(VALU_DEP_1) | instskip(NEXT) | instid1(VALU_DEP_1)
	v_add_nc_u32_e32 v1, v1, v39
	v_mov_b32_dpp v39, v1 row_shr:4 row_mask:0xf bank_mask:0xf
	s_delay_alu instid0(VALU_DEP_1) | instskip(NEXT) | instid1(VALU_DEP_1)
	v_cndmask_b32_e64 v39, 0, v39, s4
	v_add_nc_u32_e32 v1, v1, v39
	s_delay_alu instid0(VALU_DEP_1) | instskip(NEXT) | instid1(VALU_DEP_1)
	v_mov_b32_dpp v39, v1 row_shr:8 row_mask:0xf bank_mask:0xf
	v_cndmask_b32_e64 v39, 0, v39, s5
	s_delay_alu instid0(VALU_DEP_1) | instskip(SKIP_3) | instid1(VALU_DEP_1)
	v_add_nc_u32_e32 v1, v1, v39
	ds_swizzle_b32 v39, v1 offset:swizzle(BROADCAST,32,15)
	s_waitcnt lgkmcnt(0)
	v_cndmask_b32_e64 v39, v39, 0, s6
	v_add_nc_u32_e32 v1, v1, v39
	s_and_saveexec_b32 s8, s7
	s_cbranch_execz .LBB82_14
; %bb.13:                               ;   in Loop: Header=BB82_2 Depth=1
	ds_store_b32 v12, v1 offset:16384
.LBB82_14:                              ;   in Loop: Header=BB82_2 Depth=1
	s_or_b32 exec_lo, exec_lo, s8
	s_waitcnt lgkmcnt(0)
	s_barrier
	buffer_gl0_inv
	s_and_saveexec_b32 s8, vcc_lo
	s_cbranch_execz .LBB82_16
; %bb.15:                               ;   in Loop: Header=BB82_2 Depth=1
	ds_load_b32 v39, v11 offset:16384
	s_waitcnt lgkmcnt(0)
	v_mov_b32_dpp v40, v39 row_shr:1 row_mask:0xf bank_mask:0xf
	s_delay_alu instid0(VALU_DEP_1) | instskip(NEXT) | instid1(VALU_DEP_1)
	v_cndmask_b32_e64 v40, v40, 0, s2
	v_add_nc_u32_e32 v39, v40, v39
	s_delay_alu instid0(VALU_DEP_1) | instskip(NEXT) | instid1(VALU_DEP_1)
	v_mov_b32_dpp v40, v39 row_shr:2 row_mask:0xf bank_mask:0xf
	v_cndmask_b32_e64 v40, 0, v40, s3
	s_delay_alu instid0(VALU_DEP_1) | instskip(NEXT) | instid1(VALU_DEP_1)
	v_add_nc_u32_e32 v39, v39, v40
	v_mov_b32_dpp v40, v39 row_shr:4 row_mask:0xf bank_mask:0xf
	s_delay_alu instid0(VALU_DEP_1) | instskip(NEXT) | instid1(VALU_DEP_1)
	v_cndmask_b32_e64 v40, 0, v40, s4
	v_add_nc_u32_e32 v39, v39, v40
	s_delay_alu instid0(VALU_DEP_1) | instskip(NEXT) | instid1(VALU_DEP_1)
	v_mov_b32_dpp v40, v39 row_shr:8 row_mask:0xf bank_mask:0xf
	v_cndmask_b32_e64 v40, 0, v40, s5
	s_delay_alu instid0(VALU_DEP_1)
	v_add_nc_u32_e32 v39, v39, v40
	ds_store_b32 v11, v39 offset:16384
.LBB82_16:                              ;   in Loop: Header=BB82_2 Depth=1
	s_or_b32 exec_lo, exec_lo, s8
	v_mov_b32_e32 v39, 0
	s_waitcnt lgkmcnt(0)
	s_barrier
	buffer_gl0_inv
	s_and_saveexec_b32 s8, s0
	s_cbranch_execz .LBB82_1
; %bb.17:                               ;   in Loop: Header=BB82_2 Depth=1
	ds_load_b32 v39, v12 offset:16380
	s_branch .LBB82_1
.LBB82_18:
	ds_load_u16 v0, v14
	ds_load_u16 v1, v15
	;; [unrolled: 1-line block ×8, first 2 shown]
	v_and_b32_e32 v9, 0xffff, v31
	v_and_b32_e32 v10, 0xffff, v32
	;; [unrolled: 1-line block ×8, first 2 shown]
	s_lshl_b64 s[0:1], s[12:13], 2
	v_lshlrev_b32_e32 v8, 2, v8
	s_add_u32 s0, s10, s0
	s_addc_u32 s1, s11, s1
	s_waitcnt lgkmcnt(7)
	v_add_nc_u32_e32 v0, v0, v9
	s_waitcnt lgkmcnt(6)
	v_add_nc_u32_e32 v1, v1, v10
	;; [unrolled: 2-line block ×8, first 2 shown]
	s_clause 0x1
	global_store_b128 v8, v[0:3], s[0:1]
	global_store_b128 v8, v[4:7], s[0:1] offset:16
	s_nop 0
	s_sendmsg sendmsg(MSG_DEALLOC_VGPRS)
	s_endpgm
	.section	.rodata,"a",@progbits
	.p2align	6, 0x0
	.amdhsa_kernel _Z11rank_kernelIhLj4ELb0EL18RadixRankAlgorithm1ELj512ELj8ELj10EEvPKT_Pi
		.amdhsa_group_segment_fixed_size 16448
		.amdhsa_private_segment_fixed_size 0
		.amdhsa_kernarg_size 16
		.amdhsa_user_sgpr_count 15
		.amdhsa_user_sgpr_dispatch_ptr 0
		.amdhsa_user_sgpr_queue_ptr 0
		.amdhsa_user_sgpr_kernarg_segment_ptr 1
		.amdhsa_user_sgpr_dispatch_id 0
		.amdhsa_user_sgpr_private_segment_size 0
		.amdhsa_wavefront_size32 1
		.amdhsa_uses_dynamic_stack 0
		.amdhsa_enable_private_segment 0
		.amdhsa_system_sgpr_workgroup_id_x 1
		.amdhsa_system_sgpr_workgroup_id_y 0
		.amdhsa_system_sgpr_workgroup_id_z 0
		.amdhsa_system_sgpr_workgroup_info 0
		.amdhsa_system_vgpr_workitem_id 0
		.amdhsa_next_free_vgpr 48
		.amdhsa_next_free_sgpr 16
		.amdhsa_reserve_vcc 1
		.amdhsa_float_round_mode_32 0
		.amdhsa_float_round_mode_16_64 0
		.amdhsa_float_denorm_mode_32 3
		.amdhsa_float_denorm_mode_16_64 3
		.amdhsa_dx10_clamp 1
		.amdhsa_ieee_mode 1
		.amdhsa_fp16_overflow 0
		.amdhsa_workgroup_processor_mode 1
		.amdhsa_memory_ordered 1
		.amdhsa_forward_progress 0
		.amdhsa_shared_vgpr_count 0
		.amdhsa_exception_fp_ieee_invalid_op 0
		.amdhsa_exception_fp_denorm_src 0
		.amdhsa_exception_fp_ieee_div_zero 0
		.amdhsa_exception_fp_ieee_overflow 0
		.amdhsa_exception_fp_ieee_underflow 0
		.amdhsa_exception_fp_ieee_inexact 0
		.amdhsa_exception_int_div_zero 0
	.end_amdhsa_kernel
	.section	.text._Z11rank_kernelIhLj4ELb0EL18RadixRankAlgorithm1ELj512ELj8ELj10EEvPKT_Pi,"axG",@progbits,_Z11rank_kernelIhLj4ELb0EL18RadixRankAlgorithm1ELj512ELj8ELj10EEvPKT_Pi,comdat
.Lfunc_end82:
	.size	_Z11rank_kernelIhLj4ELb0EL18RadixRankAlgorithm1ELj512ELj8ELj10EEvPKT_Pi, .Lfunc_end82-_Z11rank_kernelIhLj4ELb0EL18RadixRankAlgorithm1ELj512ELj8ELj10EEvPKT_Pi
                                        ; -- End function
	.section	.AMDGPU.csdata,"",@progbits
; Kernel info:
; codeLenInByte = 2712
; NumSgprs: 18
; NumVgprs: 48
; ScratchSize: 0
; MemoryBound: 0
; FloatMode: 240
; IeeeMode: 1
; LDSByteSize: 16448 bytes/workgroup (compile time only)
; SGPRBlocks: 2
; VGPRBlocks: 5
; NumSGPRsForWavesPerEU: 18
; NumVGPRsForWavesPerEU: 48
; Occupancy: 16
; WaveLimiterHint : 0
; COMPUTE_PGM_RSRC2:SCRATCH_EN: 0
; COMPUTE_PGM_RSRC2:USER_SGPR: 15
; COMPUTE_PGM_RSRC2:TRAP_HANDLER: 0
; COMPUTE_PGM_RSRC2:TGID_X_EN: 1
; COMPUTE_PGM_RSRC2:TGID_Y_EN: 0
; COMPUTE_PGM_RSRC2:TGID_Z_EN: 0
; COMPUTE_PGM_RSRC2:TIDIG_COMP_CNT: 0
	.section	.text._Z11rank_kernelIhLj4ELb0EL18RadixRankAlgorithm2ELj512ELj8ELj10EEvPKT_Pi,"axG",@progbits,_Z11rank_kernelIhLj4ELb0EL18RadixRankAlgorithm2ELj512ELj8ELj10EEvPKT_Pi,comdat
	.protected	_Z11rank_kernelIhLj4ELb0EL18RadixRankAlgorithm2ELj512ELj8ELj10EEvPKT_Pi ; -- Begin function _Z11rank_kernelIhLj4ELb0EL18RadixRankAlgorithm2ELj512ELj8ELj10EEvPKT_Pi
	.globl	_Z11rank_kernelIhLj4ELb0EL18RadixRankAlgorithm2ELj512ELj8ELj10EEvPKT_Pi
	.p2align	8
	.type	_Z11rank_kernelIhLj4ELb0EL18RadixRankAlgorithm2ELj512ELj8ELj10EEvPKT_Pi,@function
_Z11rank_kernelIhLj4ELb0EL18RadixRankAlgorithm2ELj512ELj8ELj10EEvPKT_Pi: ; @_Z11rank_kernelIhLj4ELb0EL18RadixRankAlgorithm2ELj512ELj8ELj10EEvPKT_Pi
; %bb.0:
	s_clause 0x1
	s_load_b128 s[60:63], s[0:1], 0x0
	s_load_b32 s5, s[0:1], 0x1c
	v_and_b32_e32 v4, 0x3ff, v0
	s_lshl_b32 s64, s15, 12
	v_mbcnt_lo_u32_b32 v3, -1, 0
	v_mov_b32_e32 v2, 0
	v_bfe_u32 v5, v0, 10, 10
	v_lshlrev_b32_e32 v1, 3, v4
	v_bfe_u32 v8, v0, 20, 10
	v_and_b32_e32 v9, 15, v3
	v_and_b32_e32 v10, 16, v3
	v_add_nc_u32_e32 v11, -1, v3
	v_lshrrev_b32_e32 v12, 3, v4
	v_cmp_eq_u32_e32 vcc_lo, 0, v3
	v_cmp_lt_u32_e64 s2, 3, v9
	v_cmp_lt_u32_e64 s3, 7, v9
	v_cmp_eq_u32_e64 s4, 0, v10
	v_or_b32_e32 v10, 31, v4
	v_lshlrev_b32_e32 v0, 2, v4
	s_mov_b32 s65, 0
	s_waitcnt lgkmcnt(0)
	s_add_u32 s0, s60, s64
	s_addc_u32 s1, s61, 0
	s_lshr_b32 s6, s5, 16
	global_load_b64 v[6:7], v1, s[0:1]
	v_mad_u32_u24 v5, v8, s6, v5
	s_and_b32 s5, s5, 0xffff
	v_cmp_eq_u32_e64 s0, 0, v9
	v_cmp_lt_u32_e64 s1, 1, v9
	v_cmp_eq_u32_e64 s7, v10, v4
	v_mad_u64_u32 v[8:9], null, v5, s5, v[4:5]
	v_cmp_gt_i32_e64 s5, 0, v11
	v_cmp_lt_u32_e64 s6, 31, v4
	s_mov_b32 s79, 10
	s_delay_alu instid0(VALU_DEP_2) | instskip(SKIP_3) | instid1(VALU_DEP_4)
	v_cndmask_b32_e64 v5, v11, v3, s5
	v_and_b32_e32 v3, 60, v12
	v_lshrrev_b32_e32 v44, 5, v8
	v_cmp_gt_u32_e64 s5, 16, v4
	v_lshlrev_b32_e32 v4, 2, v5
	s_delay_alu instid0(VALU_DEP_4)
	v_add_nc_u32_e32 v5, -4, v3
	s_waitcnt vmcnt(0)
	v_lshrrev_b32_e32 v8, 8, v6
	v_lshrrev_b32_e32 v9, 16, v6
	;; [unrolled: 1-line block ×7, first 2 shown]
	v_and_b32_e32 v11, 15, v6
	v_and_b32_e32 v15, 1, v6
	v_lshlrev_b32_e32 v16, 30, v6
	v_lshlrev_b32_e32 v17, 29, v6
	;; [unrolled: 1-line block ×3, first 2 shown]
	v_bfe_u32 v19, v6, 8, 4
	v_bfe_u32 v21, v6, 8, 1
	;; [unrolled: 1-line block ×5, first 2 shown]
	v_and_b32_e32 v26, 15, v7
	v_lshlrev_b32_e32 v28, 30, v7
	v_lshlrev_b32_e32 v29, 29, v7
	v_lshlrev_b32_e32 v30, 28, v7
	v_bfe_u32 v31, v7, 8, 4
	v_bfe_u32 v33, v7, 16, 4
	;; [unrolled: 1-line block ×3, first 2 shown]
	v_lshrrev_b32_e32 v37, 4, v6
	v_bfe_u32 v38, v6, 4, 4
	v_bfe_u32 v39, v6, 4, 1
	v_lshrrev_b32_e32 v40, 12, v6
	v_bfe_u32 v41, v6, 12, 4
	v_bfe_u32 v42, v6, 12, 1
	v_lshrrev_b32_e32 v43, 20, v6
	v_bfe_u32 v46, v6, 20, 1
	v_lshrrev_b32_e32 v47, 28, v6
	v_bfe_u32 v48, v6, 28, 1
	v_and_b32_e32 v49, 0xf0000000, v6
	v_not_b32_e32 v50, v6
	v_lshrrev_b32_e32 v51, 4, v7
	v_bfe_u32 v52, v7, 4, 4
	v_bfe_u32 v53, v7, 4, 1
	v_lshrrev_b32_e32 v54, 12, v7
	v_bfe_u32 v55, v7, 12, 4
	v_bfe_u32 v56, v7, 12, 1
	;; [unrolled: 3-line block ×3, first 2 shown]
	v_bfe_u32 v25, v6, 24, 1
	v_and_b32_e32 v27, 1, v7
	v_bfe_u32 v32, v7, 8, 1
	v_bfe_u32 v34, v7, 16, 1
	v_bfe_u32 v36, v7, 24, 1
	v_bfe_u32 v45, v6, 20, 4
	v_bfe_u32 v58, v7, 20, 4
	v_and_b32_e32 v61, 0xf0000000, v7
	v_not_b32_e32 v85, v7
	v_mul_u32_u24_e32 v62, 17, v20
	v_add_co_u32 v6, s59, v15, -1
	v_cmp_gt_i32_e64 s8, 0, v16
	v_not_b32_e32 v63, v16
	v_cmp_gt_i32_e64 s9, 0, v17
	v_not_b32_e32 v64, v17
	;; [unrolled: 2-line block ×3, first 2 shown]
	v_mul_u32_u24_e32 v66, 17, v11
	v_mul_u32_u24_e32 v67, 17, v19
	v_add_co_u32 v7, s60, v21, -1
	v_lshlrev_b32_e32 v68, 30, v8
	v_lshlrev_b32_e32 v69, 29, v8
	;; [unrolled: 1-line block ×3, first 2 shown]
	v_mul_u32_u24_e32 v71, 17, v22
	v_add_co_u32 v8, s61, v23, -1
	v_lshlrev_b32_e32 v72, 30, v9
	v_lshlrev_b32_e32 v73, 29, v9
	;; [unrolled: 1-line block ×3, first 2 shown]
	v_mul_u32_u24_e32 v75, 17, v24
	v_lshlrev_b32_e32 v76, 30, v10
	v_lshlrev_b32_e32 v77, 29, v10
	;; [unrolled: 1-line block ×3, first 2 shown]
	v_mul_u32_u24_e32 v79, 17, v26
	v_not_b32_e32 v80, v28
	v_not_b32_e32 v81, v29
	;; [unrolled: 1-line block ×3, first 2 shown]
	v_mul_u32_u24_e32 v83, 17, v31
	v_lshlrev_b32_e32 v84, 30, v12
	v_lshlrev_b32_e32 v86, 29, v12
	v_lshlrev_b32_e32 v87, 28, v12
	v_mul_u32_u24_e32 v88, 17, v33
	v_lshlrev_b32_e32 v89, 30, v13
	v_lshlrev_b32_e32 v90, 29, v13
	v_lshlrev_b32_e32 v91, 28, v13
	;; [unrolled: 4-line block ×3, first 2 shown]
	v_mul_u32_u24_e32 v96, 17, v38
	v_add_co_u32 v14, s71, v39, -1
	v_lshlrev_b32_e32 v39, 30, v37
	v_lshlrev_b32_e32 v97, 29, v37
	;; [unrolled: 1-line block ×3, first 2 shown]
	v_mul_u32_u24_e32 v41, 17, v41
	v_add_co_u32 v15, s72, v42, -1
	v_lshlrev_b32_e32 v42, 30, v40
	v_lshlrev_b32_e32 v99, 29, v40
	;; [unrolled: 1-line block ×3, first 2 shown]
	v_add_co_u32 v16, s73, v46, -1
	v_lshlrev_b32_e32 v46, 30, v43
	v_lshlrev_b32_e32 v100, 29, v43
	;; [unrolled: 1-line block ×3, first 2 shown]
	v_mul_u32_u24_e32 v101, 17, v47
	v_add_co_u32 v17, s74, v48, -1
	v_lshlrev_b32_e32 v48, 30, v47
	v_lshlrev_b32_e32 v47, 29, v47
	v_cmp_gt_i32_e64 s14, 0, v49
	v_ashrrev_i32_e32 v18, 31, v50
	v_mul_u32_u24_e32 v49, 17, v52
	v_add_co_u32 v19, s75, v53, -1
	v_lshlrev_b32_e32 v50, 30, v51
	v_lshlrev_b32_e32 v52, 29, v51
	v_lshlrev_b32_e32 v51, 28, v51
	v_mul_u32_u24_e32 v53, 17, v55
	v_add_co_u32 v21, s76, v56, -1
	v_lshlrev_b32_e32 v55, 30, v54
	v_lshlrev_b32_e32 v56, 29, v54
	;; [unrolled: 1-line block ×3, first 2 shown]
	v_add_co_u32 v22, s77, v59, -1
	v_lshlrev_b32_e32 v59, 30, v57
	v_lshlrev_b32_e32 v102, 29, v57
	;; [unrolled: 1-line block ×3, first 2 shown]
	v_add_co_u32 v23, s78, v60, -1
	v_lshlrev_b32_e32 v60, 30, v20
	v_lshlrev_b32_e32 v103, 29, v20
	v_add_co_u32 v9, s66, v25, -1
	v_add_co_u32 v10, s67, v27, -1
	v_cmp_gt_i32_e64 s11, 0, v28
	v_cmp_gt_i32_e64 s12, 0, v29
	;; [unrolled: 1-line block ×3, first 2 shown]
	v_add_co_u32 v11, s68, v32, -1
	v_add_co_u32 v12, s69, v34, -1
	;; [unrolled: 1-line block ×3, first 2 shown]
	v_mul_u32_u24_e32 v45, 17, v45
	v_mul_u32_u24_e32 v58, 17, v58
	v_cmp_gt_i32_e64 s15, 0, v61
	v_add_lshl_u32 v20, v44, v62, 2
	v_ashrrev_i32_e32 v24, 31, v63
	v_ashrrev_i32_e32 v25, 31, v64
	;; [unrolled: 1-line block ×3, first 2 shown]
	v_add_lshl_u32 v27, v44, v66, 2
	v_add_lshl_u32 v28, v44, v67, 2
	v_cmp_gt_i32_e64 s16, 0, v68
	v_not_b32_e32 v61, v68
	v_cmp_gt_i32_e64 s17, 0, v69
	v_not_b32_e32 v62, v69
	v_cmp_gt_i32_e64 s18, 0, v70
	v_not_b32_e32 v63, v70
	v_add_lshl_u32 v29, v44, v71, 2
	v_cmp_gt_i32_e64 s19, 0, v72
	v_not_b32_e32 v64, v72
	v_cmp_gt_i32_e64 s20, 0, v73
	v_not_b32_e32 v65, v73
	v_cmp_gt_i32_e64 s21, 0, v74
	v_not_b32_e32 v66, v74
	;; [unrolled: 7-line block ×3, first 2 shown]
	v_add_lshl_u32 v31, v44, v79, 2
	v_ashrrev_i32_e32 v32, 31, v80
	v_ashrrev_i32_e32 v33, 31, v81
	;; [unrolled: 1-line block ×3, first 2 shown]
	v_add_lshl_u32 v35, v44, v83, 2
	v_cmp_gt_i32_e64 s25, 0, v84
	v_not_b32_e32 v70, v84
	v_cmp_gt_i32_e64 s26, 0, v86
	v_not_b32_e32 v71, v86
	v_cmp_gt_i32_e64 s27, 0, v87
	v_not_b32_e32 v72, v87
	v_add_lshl_u32 v36, v44, v88, 2
	v_cmp_gt_i32_e64 s28, 0, v89
	v_not_b32_e32 v73, v89
	v_cmp_gt_i32_e64 s29, 0, v90
	v_not_b32_e32 v74, v90
	v_cmp_gt_i32_e64 s30, 0, v91
	v_not_b32_e32 v75, v91
	;; [unrolled: 7-line block ×4, first 2 shown]
	v_add_lshl_u32 v39, v44, v41, 2
	v_not_b32_e32 v82, v42
	v_cmp_gt_i32_e64 s39, 0, v99
	v_not_b32_e32 v83, v99
	v_not_b32_e32 v84, v40
	;; [unrolled: 1-line block ×3, first 2 shown]
	v_cmp_gt_i32_e64 s42, 0, v100
	v_not_b32_e32 v87, v100
	v_not_b32_e32 v88, v43
	v_add_lshl_u32 v41, v44, v101, 2
	v_not_b32_e32 v89, v48
	v_not_b32_e32 v90, v47
	;; [unrolled: 1-line block ×13, first 2 shown]
	v_cmp_gt_i32_e64 s38, 0, v42
	v_cmp_gt_i32_e64 s40, 0, v40
	v_add_lshl_u32 v40, v44, v45, 2
	v_cmp_gt_i32_e64 s41, 0, v46
	v_cmp_gt_i32_e64 s43, 0, v43
	;; [unrolled: 1-line block ×4, first 2 shown]
	v_add_lshl_u32 v42, v44, v49, 2
	v_cmp_gt_i32_e64 s46, 0, v50
	v_cmp_gt_i32_e64 s47, 0, v52
	v_cmp_gt_i32_e64 s48, 0, v51
	v_add_lshl_u32 v43, v44, v53, 2
	v_cmp_gt_i32_e64 s49, 0, v55
	v_cmp_gt_i32_e64 s50, 0, v56
	v_cmp_gt_i32_e64 s51, 0, v54
	;; [unrolled: 4-line block ×3, first 2 shown]
	v_cmp_gt_i32_e64 s55, 0, v60
	v_cmp_gt_i32_e64 s56, 0, v103
	v_ashrrev_i32_e32 v45, 31, v61
	v_ashrrev_i32_e32 v46, 31, v62
	;; [unrolled: 1-line block ×41, first 2 shown]
	s_branch .LBB83_2
.LBB83_1:                               ;   in Loop: Header=BB83_2 Depth=1
	s_or_b32 exec_lo, exec_lo, s57
	s_waitcnt lgkmcnt(0)
	v_add_nc_u32_e32 v101, v102, v101
	s_add_i32 s79, s79, -1
	s_delay_alu instid0(SALU_CYCLE_1)
	s_cmp_eq_u32 s79, 0
	ds_bpermute_b32 v101, v4, v101
	s_waitcnt lgkmcnt(0)
	v_cndmask_b32_e32 v101, v101, v102, vcc_lo
	ds_store_b32 v0, v101 offset:64
	s_waitcnt lgkmcnt(0)
	s_barrier
	buffer_gl0_inv
	s_cbranch_scc1 .LBB83_46
.LBB83_2:                               ; =>This Inner Loop Header: Depth=1
	v_cndmask_b32_e64 v86, 0, 1, s59
	v_cndmask_b32_e64 v87, 0, 1, s8
	;; [unrolled: 1-line block ×3, first 2 shown]
	ds_store_b32 v0, v2 offset:64
	s_waitcnt lgkmcnt(0)
	v_cmp_ne_u32_e64 s57, 0, v86
	v_cndmask_b32_e64 v86, 0, 1, s9
	v_cmp_ne_u32_e64 s58, 0, v87
	s_barrier
	buffer_gl0_inv
	v_xor_b32_e32 v87, s57, v6
	v_cmp_ne_u32_e64 s57, 0, v86
	v_xor_b32_e32 v86, s58, v24
	v_cmp_ne_u32_e64 s58, 0, v88
	s_delay_alu instid0(VALU_DEP_4) | instskip(NEXT) | instid1(VALU_DEP_4)
	v_and_b32_e32 v87, exec_lo, v87
	v_xor_b32_e32 v88, s57, v25
	; wave barrier
	s_delay_alu instid0(VALU_DEP_2) | instskip(NEXT) | instid1(VALU_DEP_4)
	v_and_b32_e32 v86, v87, v86
	v_xor_b32_e32 v87, s58, v26
	s_delay_alu instid0(VALU_DEP_2) | instskip(NEXT) | instid1(VALU_DEP_1)
	v_and_b32_e32 v86, v86, v88
	v_and_b32_e32 v86, v86, v87
	s_delay_alu instid0(VALU_DEP_1) | instskip(SKIP_1) | instid1(VALU_DEP_2)
	v_mbcnt_lo_u32_b32 v87, v86, 0
	v_cmp_ne_u32_e64 s58, 0, v86
	v_cmp_eq_u32_e64 s57, 0, v87
	s_delay_alu instid0(VALU_DEP_1) | instskip(NEXT) | instid1(SALU_CYCLE_1)
	s_and_b32 s58, s58, s57
	s_and_saveexec_b32 s57, s58
	s_cbranch_execz .LBB83_4
; %bb.3:                                ;   in Loop: Header=BB83_2 Depth=1
	v_bcnt_u32_b32 v86, v86, 0
	ds_store_b32 v27, v86 offset:64
.LBB83_4:                               ;   in Loop: Header=BB83_2 Depth=1
	s_or_b32 exec_lo, exec_lo, s57
	v_cndmask_b32_e64 v86, 0, 1, s60
	v_cndmask_b32_e64 v87, 0, 1, s16
	;; [unrolled: 1-line block ×3, first 2 shown]
	; wave barrier
	s_delay_alu instid0(VALU_DEP_3) | instskip(SKIP_1) | instid1(VALU_DEP_4)
	v_cmp_ne_u32_e64 s57, 0, v86
	v_cndmask_b32_e64 v86, 0, 1, s17
	v_cmp_ne_u32_e64 s58, 0, v87
	s_delay_alu instid0(VALU_DEP_3) | instskip(NEXT) | instid1(VALU_DEP_3)
	v_xor_b32_e32 v87, s57, v7
	v_cmp_ne_u32_e64 s57, 0, v86
	s_delay_alu instid0(VALU_DEP_3) | instskip(SKIP_1) | instid1(VALU_DEP_4)
	v_xor_b32_e32 v86, s58, v45
	v_cmp_ne_u32_e64 s58, 0, v88
	v_and_b32_e32 v87, exec_lo, v87
	s_delay_alu instid0(VALU_DEP_4) | instskip(NEXT) | instid1(VALU_DEP_2)
	v_xor_b32_e32 v88, s57, v46
	v_and_b32_e32 v86, v87, v86
	s_delay_alu instid0(VALU_DEP_4) | instskip(NEXT) | instid1(VALU_DEP_2)
	v_xor_b32_e32 v87, s58, v47
	v_and_b32_e32 v88, v86, v88
	ds_load_b32 v86, v28 offset:64
	; wave barrier
	v_and_b32_e32 v87, v88, v87
	s_delay_alu instid0(VALU_DEP_1) | instskip(SKIP_1) | instid1(VALU_DEP_2)
	v_mbcnt_lo_u32_b32 v88, v87, 0
	v_cmp_ne_u32_e64 s58, 0, v87
	v_cmp_eq_u32_e64 s57, 0, v88
	s_delay_alu instid0(VALU_DEP_1) | instskip(NEXT) | instid1(SALU_CYCLE_1)
	s_and_b32 s58, s58, s57
	s_and_saveexec_b32 s57, s58
	s_cbranch_execz .LBB83_6
; %bb.5:                                ;   in Loop: Header=BB83_2 Depth=1
	s_waitcnt lgkmcnt(0)
	v_bcnt_u32_b32 v86, v87, v86
	ds_store_b32 v28, v86 offset:64
.LBB83_6:                               ;   in Loop: Header=BB83_2 Depth=1
	s_or_b32 exec_lo, exec_lo, s57
	s_waitcnt lgkmcnt(0)
	v_cndmask_b32_e64 v86, 0, 1, s61
	v_cndmask_b32_e64 v87, 0, 1, s19
	;; [unrolled: 1-line block ×3, first 2 shown]
	; wave barrier
	s_delay_alu instid0(VALU_DEP_3) | instskip(SKIP_1) | instid1(VALU_DEP_4)
	v_cmp_ne_u32_e64 s57, 0, v86
	v_cndmask_b32_e64 v86, 0, 1, s20
	v_cmp_ne_u32_e64 s58, 0, v87
	s_delay_alu instid0(VALU_DEP_3) | instskip(NEXT) | instid1(VALU_DEP_3)
	v_xor_b32_e32 v87, s57, v8
	v_cmp_ne_u32_e64 s57, 0, v86
	s_delay_alu instid0(VALU_DEP_3) | instskip(SKIP_1) | instid1(VALU_DEP_4)
	v_xor_b32_e32 v86, s58, v48
	v_cmp_ne_u32_e64 s58, 0, v88
	v_and_b32_e32 v87, exec_lo, v87
	s_delay_alu instid0(VALU_DEP_4) | instskip(NEXT) | instid1(VALU_DEP_2)
	v_xor_b32_e32 v88, s57, v49
	v_and_b32_e32 v86, v87, v86
	s_delay_alu instid0(VALU_DEP_4) | instskip(NEXT) | instid1(VALU_DEP_2)
	v_xor_b32_e32 v87, s58, v50
	v_and_b32_e32 v88, v86, v88
	ds_load_b32 v86, v29 offset:64
	; wave barrier
	v_and_b32_e32 v87, v88, v87
	s_delay_alu instid0(VALU_DEP_1) | instskip(SKIP_1) | instid1(VALU_DEP_2)
	v_mbcnt_lo_u32_b32 v88, v87, 0
	v_cmp_ne_u32_e64 s58, 0, v87
	v_cmp_eq_u32_e64 s57, 0, v88
	s_delay_alu instid0(VALU_DEP_1) | instskip(NEXT) | instid1(SALU_CYCLE_1)
	s_and_b32 s58, s58, s57
	s_and_saveexec_b32 s57, s58
	s_cbranch_execz .LBB83_8
; %bb.7:                                ;   in Loop: Header=BB83_2 Depth=1
	s_waitcnt lgkmcnt(0)
	v_bcnt_u32_b32 v86, v87, v86
	ds_store_b32 v29, v86 offset:64
.LBB83_8:                               ;   in Loop: Header=BB83_2 Depth=1
	s_or_b32 exec_lo, exec_lo, s57
	s_waitcnt lgkmcnt(0)
	v_cndmask_b32_e64 v86, 0, 1, s66
	v_cndmask_b32_e64 v87, 0, 1, s22
	;; [unrolled: 1-line block ×3, first 2 shown]
	; wave barrier
	s_delay_alu instid0(VALU_DEP_3) | instskip(SKIP_1) | instid1(VALU_DEP_4)
	v_cmp_ne_u32_e64 s57, 0, v86
	v_cndmask_b32_e64 v86, 0, 1, s23
	v_cmp_ne_u32_e64 s58, 0, v87
	s_delay_alu instid0(VALU_DEP_3) | instskip(NEXT) | instid1(VALU_DEP_3)
	v_xor_b32_e32 v87, s57, v9
	v_cmp_ne_u32_e64 s57, 0, v86
	s_delay_alu instid0(VALU_DEP_3) | instskip(SKIP_1) | instid1(VALU_DEP_4)
	v_xor_b32_e32 v86, s58, v51
	v_cmp_ne_u32_e64 s58, 0, v88
	v_and_b32_e32 v87, exec_lo, v87
	s_delay_alu instid0(VALU_DEP_4) | instskip(NEXT) | instid1(VALU_DEP_2)
	v_xor_b32_e32 v88, s57, v52
	v_and_b32_e32 v86, v87, v86
	s_delay_alu instid0(VALU_DEP_4) | instskip(NEXT) | instid1(VALU_DEP_2)
	v_xor_b32_e32 v87, s58, v53
	v_and_b32_e32 v88, v86, v88
	ds_load_b32 v86, v30 offset:64
	; wave barrier
	v_and_b32_e32 v87, v88, v87
	s_delay_alu instid0(VALU_DEP_1) | instskip(SKIP_1) | instid1(VALU_DEP_2)
	v_mbcnt_lo_u32_b32 v88, v87, 0
	v_cmp_ne_u32_e64 s58, 0, v87
	v_cmp_eq_u32_e64 s57, 0, v88
	s_delay_alu instid0(VALU_DEP_1) | instskip(NEXT) | instid1(SALU_CYCLE_1)
	s_and_b32 s58, s58, s57
	s_and_saveexec_b32 s57, s58
	s_cbranch_execz .LBB83_10
; %bb.9:                                ;   in Loop: Header=BB83_2 Depth=1
	s_waitcnt lgkmcnt(0)
	v_bcnt_u32_b32 v86, v87, v86
	ds_store_b32 v30, v86 offset:64
.LBB83_10:                              ;   in Loop: Header=BB83_2 Depth=1
	s_or_b32 exec_lo, exec_lo, s57
	s_waitcnt lgkmcnt(0)
	v_cndmask_b32_e64 v86, 0, 1, s67
	v_cndmask_b32_e64 v87, 0, 1, s11
	v_cndmask_b32_e64 v88, 0, 1, s13
	; wave barrier
	s_delay_alu instid0(VALU_DEP_3) | instskip(SKIP_1) | instid1(VALU_DEP_4)
	v_cmp_ne_u32_e64 s57, 0, v86
	v_cndmask_b32_e64 v86, 0, 1, s12
	v_cmp_ne_u32_e64 s58, 0, v87
	s_delay_alu instid0(VALU_DEP_3) | instskip(NEXT) | instid1(VALU_DEP_3)
	v_xor_b32_e32 v87, s57, v10
	v_cmp_ne_u32_e64 s57, 0, v86
	s_delay_alu instid0(VALU_DEP_3) | instskip(SKIP_1) | instid1(VALU_DEP_4)
	v_xor_b32_e32 v86, s58, v32
	v_cmp_ne_u32_e64 s58, 0, v88
	v_and_b32_e32 v87, exec_lo, v87
	s_delay_alu instid0(VALU_DEP_4) | instskip(NEXT) | instid1(VALU_DEP_2)
	v_xor_b32_e32 v88, s57, v33
	v_and_b32_e32 v86, v87, v86
	s_delay_alu instid0(VALU_DEP_4) | instskip(NEXT) | instid1(VALU_DEP_2)
	v_xor_b32_e32 v87, s58, v34
	v_and_b32_e32 v88, v86, v88
	ds_load_b32 v86, v31 offset:64
	; wave barrier
	v_and_b32_e32 v87, v88, v87
	s_delay_alu instid0(VALU_DEP_1) | instskip(SKIP_1) | instid1(VALU_DEP_2)
	v_mbcnt_lo_u32_b32 v88, v87, 0
	v_cmp_ne_u32_e64 s58, 0, v87
	v_cmp_eq_u32_e64 s57, 0, v88
	s_delay_alu instid0(VALU_DEP_1) | instskip(NEXT) | instid1(SALU_CYCLE_1)
	s_and_b32 s58, s58, s57
	s_and_saveexec_b32 s57, s58
	s_cbranch_execz .LBB83_12
; %bb.11:                               ;   in Loop: Header=BB83_2 Depth=1
	s_waitcnt lgkmcnt(0)
	v_bcnt_u32_b32 v86, v87, v86
	ds_store_b32 v31, v86 offset:64
.LBB83_12:                              ;   in Loop: Header=BB83_2 Depth=1
	s_or_b32 exec_lo, exec_lo, s57
	s_waitcnt lgkmcnt(0)
	v_cndmask_b32_e64 v86, 0, 1, s68
	v_cndmask_b32_e64 v87, 0, 1, s25
	v_cndmask_b32_e64 v88, 0, 1, s27
	; wave barrier
	s_delay_alu instid0(VALU_DEP_3) | instskip(SKIP_1) | instid1(VALU_DEP_4)
	v_cmp_ne_u32_e64 s57, 0, v86
	v_cndmask_b32_e64 v86, 0, 1, s26
	v_cmp_ne_u32_e64 s58, 0, v87
	s_delay_alu instid0(VALU_DEP_3) | instskip(NEXT) | instid1(VALU_DEP_3)
	v_xor_b32_e32 v87, s57, v11
	v_cmp_ne_u32_e64 s57, 0, v86
	s_delay_alu instid0(VALU_DEP_3) | instskip(SKIP_1) | instid1(VALU_DEP_4)
	v_xor_b32_e32 v86, s58, v54
	v_cmp_ne_u32_e64 s58, 0, v88
	v_and_b32_e32 v87, exec_lo, v87
	s_delay_alu instid0(VALU_DEP_4) | instskip(NEXT) | instid1(VALU_DEP_2)
	v_xor_b32_e32 v88, s57, v55
	v_and_b32_e32 v86, v87, v86
	s_delay_alu instid0(VALU_DEP_4) | instskip(NEXT) | instid1(VALU_DEP_2)
	v_xor_b32_e32 v87, s58, v56
	v_and_b32_e32 v88, v86, v88
	ds_load_b32 v86, v35 offset:64
	; wave barrier
	v_and_b32_e32 v87, v88, v87
	s_delay_alu instid0(VALU_DEP_1) | instskip(SKIP_1) | instid1(VALU_DEP_2)
	v_mbcnt_lo_u32_b32 v88, v87, 0
	v_cmp_ne_u32_e64 s58, 0, v87
	v_cmp_eq_u32_e64 s57, 0, v88
	s_delay_alu instid0(VALU_DEP_1) | instskip(NEXT) | instid1(SALU_CYCLE_1)
	s_and_b32 s58, s58, s57
	s_and_saveexec_b32 s57, s58
	s_cbranch_execz .LBB83_14
; %bb.13:                               ;   in Loop: Header=BB83_2 Depth=1
	s_waitcnt lgkmcnt(0)
	v_bcnt_u32_b32 v86, v87, v86
	ds_store_b32 v35, v86 offset:64
.LBB83_14:                              ;   in Loop: Header=BB83_2 Depth=1
	;; [unrolled: 39-line block ×4, first 2 shown]
	s_or_b32 exec_lo, exec_lo, s57
	; wave barrier
	s_waitcnt lgkmcnt(0)
	s_barrier
	buffer_gl0_inv
	ds_load_b32 v86, v0 offset:64
	s_waitcnt lgkmcnt(0)
	v_mov_b32_dpp v87, v86 row_shr:1 row_mask:0xf bank_mask:0xf
	s_delay_alu instid0(VALU_DEP_1) | instskip(NEXT) | instid1(VALU_DEP_1)
	v_cndmask_b32_e64 v87, v87, 0, s0
	v_add_nc_u32_e32 v86, v87, v86
	s_delay_alu instid0(VALU_DEP_1) | instskip(NEXT) | instid1(VALU_DEP_1)
	v_mov_b32_dpp v87, v86 row_shr:2 row_mask:0xf bank_mask:0xf
	v_cndmask_b32_e64 v87, 0, v87, s1
	s_delay_alu instid0(VALU_DEP_1) | instskip(NEXT) | instid1(VALU_DEP_1)
	v_add_nc_u32_e32 v86, v86, v87
	v_mov_b32_dpp v87, v86 row_shr:4 row_mask:0xf bank_mask:0xf
	s_delay_alu instid0(VALU_DEP_1) | instskip(NEXT) | instid1(VALU_DEP_1)
	v_cndmask_b32_e64 v87, 0, v87, s2
	v_add_nc_u32_e32 v86, v86, v87
	s_delay_alu instid0(VALU_DEP_1) | instskip(NEXT) | instid1(VALU_DEP_1)
	v_mov_b32_dpp v87, v86 row_shr:8 row_mask:0xf bank_mask:0xf
	v_cndmask_b32_e64 v87, 0, v87, s3
	s_delay_alu instid0(VALU_DEP_1) | instskip(SKIP_3) | instid1(VALU_DEP_1)
	v_add_nc_u32_e32 v86, v86, v87
	ds_swizzle_b32 v87, v86 offset:swizzle(BROADCAST,32,15)
	s_waitcnt lgkmcnt(0)
	v_cndmask_b32_e64 v87, v87, 0, s4
	v_add_nc_u32_e32 v86, v86, v87
	s_and_saveexec_b32 s57, s7
	s_delay_alu instid0(SALU_CYCLE_1)
	s_xor_b32 s57, exec_lo, s57
	s_cbranch_execz .LBB83_20
; %bb.19:                               ;   in Loop: Header=BB83_2 Depth=1
	ds_store_b32 v3, v86
.LBB83_20:                              ;   in Loop: Header=BB83_2 Depth=1
	s_or_b32 exec_lo, exec_lo, s57
	s_waitcnt lgkmcnt(0)
	s_barrier
	buffer_gl0_inv
	s_and_saveexec_b32 s57, s5
	s_cbranch_execz .LBB83_22
; %bb.21:                               ;   in Loop: Header=BB83_2 Depth=1
	ds_load_b32 v87, v0
	s_waitcnt lgkmcnt(0)
	v_mov_b32_dpp v88, v87 row_shr:1 row_mask:0xf bank_mask:0xf
	s_delay_alu instid0(VALU_DEP_1) | instskip(NEXT) | instid1(VALU_DEP_1)
	v_cndmask_b32_e64 v88, v88, 0, s0
	v_add_nc_u32_e32 v87, v88, v87
	s_delay_alu instid0(VALU_DEP_1) | instskip(NEXT) | instid1(VALU_DEP_1)
	v_mov_b32_dpp v88, v87 row_shr:2 row_mask:0xf bank_mask:0xf
	v_cndmask_b32_e64 v88, 0, v88, s1
	s_delay_alu instid0(VALU_DEP_1) | instskip(NEXT) | instid1(VALU_DEP_1)
	v_add_nc_u32_e32 v87, v87, v88
	v_mov_b32_dpp v88, v87 row_shr:4 row_mask:0xf bank_mask:0xf
	s_delay_alu instid0(VALU_DEP_1) | instskip(NEXT) | instid1(VALU_DEP_1)
	v_cndmask_b32_e64 v88, 0, v88, s2
	v_add_nc_u32_e32 v87, v87, v88
	s_delay_alu instid0(VALU_DEP_1) | instskip(NEXT) | instid1(VALU_DEP_1)
	v_mov_b32_dpp v88, v87 row_shr:8 row_mask:0xf bank_mask:0xf
	v_cndmask_b32_e64 v88, 0, v88, s3
	s_delay_alu instid0(VALU_DEP_1)
	v_add_nc_u32_e32 v87, v87, v88
	ds_store_b32 v0, v87
.LBB83_22:                              ;   in Loop: Header=BB83_2 Depth=1
	s_or_b32 exec_lo, exec_lo, s57
	v_mov_b32_e32 v87, 0
	s_waitcnt lgkmcnt(0)
	s_barrier
	buffer_gl0_inv
	s_and_saveexec_b32 s57, s6
	s_cbranch_execz .LBB83_24
; %bb.23:                               ;   in Loop: Header=BB83_2 Depth=1
	ds_load_b32 v87, v5
.LBB83_24:                              ;   in Loop: Header=BB83_2 Depth=1
	s_or_b32 exec_lo, exec_lo, s57
	s_waitcnt lgkmcnt(0)
	v_add_nc_u32_e32 v86, v87, v86
	v_cndmask_b32_e64 v88, 0, 1, s71
	v_cndmask_b32_e64 v89, 0, 1, s35
	;; [unrolled: 1-line block ×3, first 2 shown]
	ds_bpermute_b32 v86, v4, v86
	v_cmp_ne_u32_e64 s57, 0, v88
	v_cndmask_b32_e64 v88, 0, 1, s36
	v_cmp_ne_u32_e64 s58, 0, v89
	s_delay_alu instid0(VALU_DEP_3) | instskip(NEXT) | instid1(VALU_DEP_3)
	v_xor_b32_e32 v89, s57, v14
	v_cmp_ne_u32_e64 s57, 0, v88
	s_delay_alu instid0(VALU_DEP_3) | instskip(SKIP_1) | instid1(VALU_DEP_4)
	v_xor_b32_e32 v88, s58, v63
	v_cmp_ne_u32_e64 s58, 0, v90
	v_and_b32_e32 v89, exec_lo, v89
	s_delay_alu instid0(VALU_DEP_4) | instskip(SKIP_2) | instid1(VALU_DEP_3)
	v_xor_b32_e32 v90, s57, v64
	s_waitcnt lgkmcnt(0)
	v_cndmask_b32_e32 v86, v86, v87, vcc_lo
	v_and_b32_e32 v88, v89, v88
	v_xor_b32_e32 v89, s58, v65
	ds_store_b32 v0, v86 offset:64
	v_and_b32_e32 v88, v88, v90
	s_waitcnt lgkmcnt(0)
	s_barrier
	buffer_gl0_inv
	ds_store_b32 v0, v2 offset:64
	v_and_b32_e32 v87, v88, v89
	s_waitcnt lgkmcnt(0)
	s_barrier
	buffer_gl0_inv
	v_mbcnt_lo_u32_b32 v86, v87, 0
	v_cmp_ne_u32_e64 s58, 0, v87
	; wave barrier
	s_delay_alu instid0(VALU_DEP_2) | instskip(NEXT) | instid1(VALU_DEP_1)
	v_cmp_eq_u32_e64 s57, 0, v86
	s_and_b32 s58, s58, s57
	s_delay_alu instid0(SALU_CYCLE_1)
	s_and_saveexec_b32 s57, s58
	s_cbranch_execz .LBB83_26
; %bb.25:                               ;   in Loop: Header=BB83_2 Depth=1
	v_bcnt_u32_b32 v87, v87, 0
	ds_store_b32 v37, v87 offset:64
.LBB83_26:                              ;   in Loop: Header=BB83_2 Depth=1
	s_or_b32 exec_lo, exec_lo, s57
	v_cndmask_b32_e64 v87, 0, 1, s72
	v_cndmask_b32_e64 v88, 0, 1, s38
	v_cndmask_b32_e64 v89, 0, 1, s40
	; wave barrier
	s_delay_alu instid0(VALU_DEP_3) | instskip(SKIP_1) | instid1(VALU_DEP_4)
	v_cmp_ne_u32_e64 s57, 0, v87
	v_cndmask_b32_e64 v87, 0, 1, s39
	v_cmp_ne_u32_e64 s58, 0, v88
	s_delay_alu instid0(VALU_DEP_3) | instskip(NEXT) | instid1(VALU_DEP_3)
	v_xor_b32_e32 v88, s57, v15
	v_cmp_ne_u32_e64 s57, 0, v87
	s_delay_alu instid0(VALU_DEP_3) | instskip(SKIP_1) | instid1(VALU_DEP_4)
	v_xor_b32_e32 v87, s58, v66
	v_cmp_ne_u32_e64 s58, 0, v89
	v_and_b32_e32 v88, exec_lo, v88
	s_delay_alu instid0(VALU_DEP_4) | instskip(NEXT) | instid1(VALU_DEP_2)
	v_xor_b32_e32 v89, s57, v67
	v_and_b32_e32 v87, v88, v87
	s_delay_alu instid0(VALU_DEP_4) | instskip(NEXT) | instid1(VALU_DEP_2)
	v_xor_b32_e32 v88, s58, v68
	v_and_b32_e32 v89, v87, v89
	ds_load_b32 v87, v39 offset:64
	; wave barrier
	v_and_b32_e32 v89, v89, v88
	s_delay_alu instid0(VALU_DEP_1) | instskip(SKIP_1) | instid1(VALU_DEP_2)
	v_mbcnt_lo_u32_b32 v88, v89, 0
	v_cmp_ne_u32_e64 s58, 0, v89
	v_cmp_eq_u32_e64 s57, 0, v88
	s_delay_alu instid0(VALU_DEP_1) | instskip(NEXT) | instid1(SALU_CYCLE_1)
	s_and_b32 s58, s58, s57
	s_and_saveexec_b32 s57, s58
	s_cbranch_execz .LBB83_28
; %bb.27:                               ;   in Loop: Header=BB83_2 Depth=1
	s_waitcnt lgkmcnt(0)
	v_bcnt_u32_b32 v89, v89, v87
	ds_store_b32 v39, v89 offset:64
.LBB83_28:                              ;   in Loop: Header=BB83_2 Depth=1
	s_or_b32 exec_lo, exec_lo, s57
	v_cndmask_b32_e64 v89, 0, 1, s73
	v_cndmask_b32_e64 v90, 0, 1, s41
	v_cndmask_b32_e64 v91, 0, 1, s43
	; wave barrier
	s_delay_alu instid0(VALU_DEP_3) | instskip(SKIP_1) | instid1(VALU_DEP_4)
	v_cmp_ne_u32_e64 s57, 0, v89
	v_cndmask_b32_e64 v89, 0, 1, s42
	v_cmp_ne_u32_e64 s58, 0, v90
	s_delay_alu instid0(VALU_DEP_3) | instskip(NEXT) | instid1(VALU_DEP_3)
	v_xor_b32_e32 v90, s57, v16
	v_cmp_ne_u32_e64 s57, 0, v89
	s_delay_alu instid0(VALU_DEP_3) | instskip(SKIP_1) | instid1(VALU_DEP_4)
	v_xor_b32_e32 v89, s58, v69
	v_cmp_ne_u32_e64 s58, 0, v91
	v_and_b32_e32 v90, exec_lo, v90
	s_delay_alu instid0(VALU_DEP_4) | instskip(NEXT) | instid1(VALU_DEP_2)
	v_xor_b32_e32 v91, s57, v70
	v_and_b32_e32 v89, v90, v89
	s_delay_alu instid0(VALU_DEP_4) | instskip(NEXT) | instid1(VALU_DEP_2)
	v_xor_b32_e32 v90, s58, v71
	v_and_b32_e32 v91, v89, v91
	ds_load_b32 v89, v40 offset:64
	; wave barrier
	v_and_b32_e32 v91, v91, v90
	s_delay_alu instid0(VALU_DEP_1) | instskip(SKIP_1) | instid1(VALU_DEP_2)
	v_mbcnt_lo_u32_b32 v90, v91, 0
	v_cmp_ne_u32_e64 s58, 0, v91
	v_cmp_eq_u32_e64 s57, 0, v90
	s_delay_alu instid0(VALU_DEP_1) | instskip(NEXT) | instid1(SALU_CYCLE_1)
	s_and_b32 s58, s58, s57
	s_and_saveexec_b32 s57, s58
	s_cbranch_execz .LBB83_30
; %bb.29:                               ;   in Loop: Header=BB83_2 Depth=1
	s_waitcnt lgkmcnt(0)
	v_bcnt_u32_b32 v91, v91, v89
	ds_store_b32 v40, v91 offset:64
.LBB83_30:                              ;   in Loop: Header=BB83_2 Depth=1
	;; [unrolled: 38-line block ×7, first 2 shown]
	s_or_b32 exec_lo, exec_lo, s57
	; wave barrier
	s_waitcnt lgkmcnt(0)
	s_barrier
	buffer_gl0_inv
	ds_load_b32 v101, v0 offset:64
	s_waitcnt lgkmcnt(0)
	v_mov_b32_dpp v102, v101 row_shr:1 row_mask:0xf bank_mask:0xf
	s_delay_alu instid0(VALU_DEP_1) | instskip(NEXT) | instid1(VALU_DEP_1)
	v_cndmask_b32_e64 v102, v102, 0, s0
	v_add_nc_u32_e32 v101, v102, v101
	s_delay_alu instid0(VALU_DEP_1) | instskip(NEXT) | instid1(VALU_DEP_1)
	v_mov_b32_dpp v102, v101 row_shr:2 row_mask:0xf bank_mask:0xf
	v_cndmask_b32_e64 v102, 0, v102, s1
	s_delay_alu instid0(VALU_DEP_1) | instskip(NEXT) | instid1(VALU_DEP_1)
	v_add_nc_u32_e32 v101, v101, v102
	v_mov_b32_dpp v102, v101 row_shr:4 row_mask:0xf bank_mask:0xf
	s_delay_alu instid0(VALU_DEP_1) | instskip(NEXT) | instid1(VALU_DEP_1)
	v_cndmask_b32_e64 v102, 0, v102, s2
	v_add_nc_u32_e32 v101, v101, v102
	s_delay_alu instid0(VALU_DEP_1) | instskip(NEXT) | instid1(VALU_DEP_1)
	v_mov_b32_dpp v102, v101 row_shr:8 row_mask:0xf bank_mask:0xf
	v_cndmask_b32_e64 v102, 0, v102, s3
	s_delay_alu instid0(VALU_DEP_1) | instskip(SKIP_3) | instid1(VALU_DEP_1)
	v_add_nc_u32_e32 v101, v101, v102
	ds_swizzle_b32 v102, v101 offset:swizzle(BROADCAST,32,15)
	s_waitcnt lgkmcnt(0)
	v_cndmask_b32_e64 v102, v102, 0, s4
	v_add_nc_u32_e32 v101, v101, v102
	s_and_saveexec_b32 s57, s7
	s_cbranch_execz .LBB83_42
; %bb.41:                               ;   in Loop: Header=BB83_2 Depth=1
	ds_store_b32 v3, v101
.LBB83_42:                              ;   in Loop: Header=BB83_2 Depth=1
	s_or_b32 exec_lo, exec_lo, s57
	s_waitcnt lgkmcnt(0)
	s_barrier
	buffer_gl0_inv
	s_and_saveexec_b32 s57, s5
	s_cbranch_execz .LBB83_44
; %bb.43:                               ;   in Loop: Header=BB83_2 Depth=1
	ds_load_b32 v102, v0
	s_waitcnt lgkmcnt(0)
	v_mov_b32_dpp v103, v102 row_shr:1 row_mask:0xf bank_mask:0xf
	s_delay_alu instid0(VALU_DEP_1) | instskip(NEXT) | instid1(VALU_DEP_1)
	v_cndmask_b32_e64 v103, v103, 0, s0
	v_add_nc_u32_e32 v102, v103, v102
	s_delay_alu instid0(VALU_DEP_1) | instskip(NEXT) | instid1(VALU_DEP_1)
	v_mov_b32_dpp v103, v102 row_shr:2 row_mask:0xf bank_mask:0xf
	v_cndmask_b32_e64 v103, 0, v103, s1
	s_delay_alu instid0(VALU_DEP_1) | instskip(NEXT) | instid1(VALU_DEP_1)
	v_add_nc_u32_e32 v102, v102, v103
	v_mov_b32_dpp v103, v102 row_shr:4 row_mask:0xf bank_mask:0xf
	s_delay_alu instid0(VALU_DEP_1) | instskip(NEXT) | instid1(VALU_DEP_1)
	v_cndmask_b32_e64 v103, 0, v103, s2
	v_add_nc_u32_e32 v102, v102, v103
	s_delay_alu instid0(VALU_DEP_1) | instskip(NEXT) | instid1(VALU_DEP_1)
	v_mov_b32_dpp v103, v102 row_shr:8 row_mask:0xf bank_mask:0xf
	v_cndmask_b32_e64 v103, 0, v103, s3
	s_delay_alu instid0(VALU_DEP_1)
	v_add_nc_u32_e32 v102, v102, v103
	ds_store_b32 v0, v102
.LBB83_44:                              ;   in Loop: Header=BB83_2 Depth=1
	s_or_b32 exec_lo, exec_lo, s57
	v_mov_b32_e32 v102, 0
	s_waitcnt lgkmcnt(0)
	s_barrier
	buffer_gl0_inv
	s_and_saveexec_b32 s57, s6
	s_cbranch_execz .LBB83_1
; %bb.45:                               ;   in Loop: Header=BB83_2 Depth=1
	ds_load_b32 v102, v5
	s_branch .LBB83_1
.LBB83_46:
	ds_load_b32 v0, v37 offset:64
	ds_load_b32 v2, v39 offset:64
	;; [unrolled: 1-line block ×8, first 2 shown]
	s_lshl_b64 s[0:1], s[64:65], 2
	v_lshlrev_b32_e32 v9, 2, v1
	s_add_u32 s0, s62, s0
	s_addc_u32 s1, s63, s1
	s_waitcnt lgkmcnt(7)
	v_add_nc_u32_e32 v0, v0, v86
	s_waitcnt lgkmcnt(6)
	v_add3_u32 v1, v88, v87, v2
	s_waitcnt lgkmcnt(5)
	v_add3_u32 v2, v90, v89, v3
	;; [unrolled: 2-line block ×7, first 2 shown]
	s_clause 0x1
	global_store_b128 v9, v[0:3], s[0:1]
	global_store_b128 v9, v[4:7], s[0:1] offset:16
	s_nop 0
	s_sendmsg sendmsg(MSG_DEALLOC_VGPRS)
	s_endpgm
	.section	.rodata,"a",@progbits
	.p2align	6, 0x0
	.amdhsa_kernel _Z11rank_kernelIhLj4ELb0EL18RadixRankAlgorithm2ELj512ELj8ELj10EEvPKT_Pi
		.amdhsa_group_segment_fixed_size 2112
		.amdhsa_private_segment_fixed_size 0
		.amdhsa_kernarg_size 272
		.amdhsa_user_sgpr_count 15
		.amdhsa_user_sgpr_dispatch_ptr 0
		.amdhsa_user_sgpr_queue_ptr 0
		.amdhsa_user_sgpr_kernarg_segment_ptr 1
		.amdhsa_user_sgpr_dispatch_id 0
		.amdhsa_user_sgpr_private_segment_size 0
		.amdhsa_wavefront_size32 1
		.amdhsa_uses_dynamic_stack 0
		.amdhsa_enable_private_segment 0
		.amdhsa_system_sgpr_workgroup_id_x 1
		.amdhsa_system_sgpr_workgroup_id_y 0
		.amdhsa_system_sgpr_workgroup_id_z 0
		.amdhsa_system_sgpr_workgroup_info 0
		.amdhsa_system_vgpr_workitem_id 2
		.amdhsa_next_free_vgpr 104
		.amdhsa_next_free_sgpr 80
		.amdhsa_reserve_vcc 1
		.amdhsa_float_round_mode_32 0
		.amdhsa_float_round_mode_16_64 0
		.amdhsa_float_denorm_mode_32 3
		.amdhsa_float_denorm_mode_16_64 3
		.amdhsa_dx10_clamp 1
		.amdhsa_ieee_mode 1
		.amdhsa_fp16_overflow 0
		.amdhsa_workgroup_processor_mode 1
		.amdhsa_memory_ordered 1
		.amdhsa_forward_progress 0
		.amdhsa_shared_vgpr_count 0
		.amdhsa_exception_fp_ieee_invalid_op 0
		.amdhsa_exception_fp_denorm_src 0
		.amdhsa_exception_fp_ieee_div_zero 0
		.amdhsa_exception_fp_ieee_overflow 0
		.amdhsa_exception_fp_ieee_underflow 0
		.amdhsa_exception_fp_ieee_inexact 0
		.amdhsa_exception_int_div_zero 0
	.end_amdhsa_kernel
	.section	.text._Z11rank_kernelIhLj4ELb0EL18RadixRankAlgorithm2ELj512ELj8ELj10EEvPKT_Pi,"axG",@progbits,_Z11rank_kernelIhLj4ELb0EL18RadixRankAlgorithm2ELj512ELj8ELj10EEvPKT_Pi,comdat
.Lfunc_end83:
	.size	_Z11rank_kernelIhLj4ELb0EL18RadixRankAlgorithm2ELj512ELj8ELj10EEvPKT_Pi, .Lfunc_end83-_Z11rank_kernelIhLj4ELb0EL18RadixRankAlgorithm2ELj512ELj8ELj10EEvPKT_Pi
                                        ; -- End function
	.section	.AMDGPU.csdata,"",@progbits
; Kernel info:
; codeLenInByte = 5996
; NumSgprs: 82
; NumVgprs: 104
; ScratchSize: 0
; MemoryBound: 0
; FloatMode: 240
; IeeeMode: 1
; LDSByteSize: 2112 bytes/workgroup (compile time only)
; SGPRBlocks: 10
; VGPRBlocks: 12
; NumSGPRsForWavesPerEU: 82
; NumVGPRsForWavesPerEU: 104
; Occupancy: 12
; WaveLimiterHint : 0
; COMPUTE_PGM_RSRC2:SCRATCH_EN: 0
; COMPUTE_PGM_RSRC2:USER_SGPR: 15
; COMPUTE_PGM_RSRC2:TRAP_HANDLER: 0
; COMPUTE_PGM_RSRC2:TGID_X_EN: 1
; COMPUTE_PGM_RSRC2:TGID_Y_EN: 0
; COMPUTE_PGM_RSRC2:TGID_Z_EN: 0
; COMPUTE_PGM_RSRC2:TIDIG_COMP_CNT: 2
	.section	.text._Z11rank_kernelIhLj4ELb0EL18RadixRankAlgorithm0ELj512ELj16ELj10EEvPKT_Pi,"axG",@progbits,_Z11rank_kernelIhLj4ELb0EL18RadixRankAlgorithm0ELj512ELj16ELj10EEvPKT_Pi,comdat
	.protected	_Z11rank_kernelIhLj4ELb0EL18RadixRankAlgorithm0ELj512ELj16ELj10EEvPKT_Pi ; -- Begin function _Z11rank_kernelIhLj4ELb0EL18RadixRankAlgorithm0ELj512ELj16ELj10EEvPKT_Pi
	.globl	_Z11rank_kernelIhLj4ELb0EL18RadixRankAlgorithm0ELj512ELj16ELj10EEvPKT_Pi
	.p2align	8
	.type	_Z11rank_kernelIhLj4ELb0EL18RadixRankAlgorithm0ELj512ELj16ELj10EEvPKT_Pi,@function
_Z11rank_kernelIhLj4ELb0EL18RadixRankAlgorithm0ELj512ELj16ELj10EEvPKT_Pi: ; @_Z11rank_kernelIhLj4ELb0EL18RadixRankAlgorithm0ELj512ELj16ELj10EEvPKT_Pi
; %bb.0:
	s_load_b128 s[8:11], s[0:1], 0x0
	s_lshl_b32 s12, s15, 13
	v_dual_mov_b32 v2, 0 :: v_dual_lshlrev_b32 v1, 4, v0
	v_mbcnt_lo_u32_b32 v5, -1, 0
	v_or_b32_e32 v8, 31, v0
	v_lshrrev_b32_e32 v10, 3, v0
	v_lshlrev_b32_e32 v3, 5, v0
	v_or_b32_e32 v23, 0xfffffe00, v0
	v_add_nc_u32_e32 v9, -1, v5
	v_and_b32_e32 v6, 15, v5
	v_and_b32_e32 v7, 16, v5
	v_cmp_eq_u32_e64 s2, 0, v5
	s_mov_b32 s13, 0
	v_cmp_gt_i32_e32 vcc_lo, 0, v9
	v_lshlrev_b32_e32 v4, 2, v0
	v_cmp_eq_u32_e64 s3, 0, v6
	v_cmp_lt_u32_e64 s4, 1, v6
	v_cmp_lt_u32_e64 s5, 3, v6
	v_cndmask_b32_e32 v9, v9, v5, vcc_lo
	s_waitcnt lgkmcnt(0)
	s_add_u32 s0, s8, s12
	s_addc_u32 s1, s9, 0
	v_cmp_lt_u32_e64 s6, 7, v6
	global_load_b128 v[19:22], v1, s[0:1]
	v_cmp_gt_u32_e64 s0, 16, v0
	v_cmp_lt_u32_e64 s1, 31, v0
	v_cmp_eq_u32_e64 s7, 0, v7
	v_cmp_eq_u32_e64 s8, v8, v0
	v_and_b32_e32 v5, 60, v10
	v_lshlrev_b32_e32 v6, 2, v9
	s_mov_b32 s9, s13
	s_waitcnt vmcnt(0)
	v_lshrrev_b32_e32 v7, 24, v19
	v_lshrrev_b32_e32 v8, 24, v20
	;; [unrolled: 1-line block ×4, first 2 shown]
	v_and_b32_e32 v11, 0xff, v19
	v_bfe_u32 v12, v19, 8, 8
	v_bfe_u32 v13, v19, 16, 8
	v_and_b32_e32 v14, 0xff, v20
	v_bfe_u32 v15, v20, 8, 8
	v_bfe_u32 v16, v20, 16, 8
	;; [unrolled: 3-line block ×4, first 2 shown]
	s_branch .LBB84_2
.LBB84_1:                               ;   in Loop: Header=BB84_2 Depth=1
	s_add_i32 s9, s9, 1
	s_delay_alu instid0(SALU_CYCLE_1)
	s_cmp_eq_u32 s9, 10
	s_cbranch_scc1 .LBB84_12
.LBB84_2:                               ; =>This Loop Header: Depth=1
                                        ;     Child Loop BB84_4 Depth 2
                                        ;       Child Loop BB84_5 Depth 3
	s_mov_b32 s15, 28
	s_mov_b32 s16, -1
	s_branch .LBB84_4
.LBB84_3:                               ;   in Loop: Header=BB84_4 Depth=2
	s_or_b32 exec_lo, exec_lo, s15
	s_waitcnt lgkmcnt(0)
	v_add_nc_u32_e32 v56, v57, v56
	ds_load_b32 v60, v2 offset:16444
	ds_load_2addr_b32 v[58:59], v3 offset1:1
	s_mov_b32 s15, 24
	s_mov_b32 s16, 0
	s_and_not1_b32 vcc_lo, exec_lo, s14
	ds_bpermute_b32 v56, v6, v56
	s_waitcnt lgkmcnt(0)
	v_cndmask_b32_e64 v61, v56, v57, s2
	ds_load_2addr_b32 v[56:57], v3 offset0:2 offset1:3
	v_lshl_add_u32 v62, v60, 16, v61
	ds_load_2addr_b32 v[60:61], v3 offset0:4 offset1:5
	ds_load_b32 v63, v3 offset:24
	v_add_nc_u32_e32 v58, v62, v58
	s_delay_alu instid0(VALU_DEP_1) | instskip(SKIP_1) | instid1(VALU_DEP_1)
	v_add_nc_u32_e32 v59, v59, v58
	s_waitcnt lgkmcnt(2)
	v_add_nc_u32_e32 v56, v56, v59
	s_delay_alu instid0(VALU_DEP_1) | instskip(SKIP_1) | instid1(VALU_DEP_1)
	v_add_nc_u32_e32 v57, v57, v56
	s_waitcnt lgkmcnt(1)
	;; [unrolled: 4-line block ×3, first 2 shown]
	v_add_nc_u32_e32 v63, v63, v61
	ds_store_2addr_b32 v3, v62, v58 offset1:1
	ds_store_2addr_b32 v3, v59, v56 offset0:2 offset1:3
	ds_store_2addr_b32 v3, v57, v60 offset0:4 offset1:5
	;; [unrolled: 1-line block ×3, first 2 shown]
	s_waitcnt lgkmcnt(0)
	s_barrier
	buffer_gl0_inv
	s_cbranch_vccz .LBB84_1
.LBB84_4:                               ;   Parent Loop BB84_2 Depth=1
                                        ; =>  This Loop Header: Depth=2
                                        ;       Child Loop BB84_5 Depth 3
	v_dual_mov_b32 v24, v23 :: v_dual_mov_b32 v25, v4
	s_xor_b32 s14, s16, -1
	s_mov_b32 s16, 0
.LBB84_5:                               ;   Parent Loop BB84_2 Depth=1
                                        ;     Parent Loop BB84_4 Depth=2
                                        ; =>    This Inner Loop Header: Depth=3
	s_delay_alu instid0(VALU_DEP_1) | instskip(SKIP_4) | instid1(SALU_CYCLE_1)
	v_add_nc_u32_e32 v24, 0x200, v24
	ds_store_b32 v25, v2
	v_add_nc_u32_e32 v25, 0x800, v25
	v_cmp_lt_u32_e32 vcc_lo, 0xdff, v24
	s_or_b32 s16, vcc_lo, s16
	s_and_not1_b32 exec_lo, exec_lo, s16
	s_cbranch_execnz .LBB84_5
; %bb.6:                                ;   in Loop: Header=BB84_4 Depth=2
	s_or_b32 exec_lo, exec_lo, s16
	v_lshlrev_b32_e32 v24, s15, v11
	s_delay_alu instid0(VALU_DEP_1) | instskip(NEXT) | instid1(VALU_DEP_1)
	v_lshrrev_b32_e32 v25, 19, v24
	v_and_or_b32 v25, 0xe00, v25, v0
	s_delay_alu instid0(VALU_DEP_1) | instskip(SKIP_1) | instid1(VALU_DEP_2)
	v_alignbit_b32 v24, v25, v24, 31
	v_lshlrev_b32_e32 v25, s15, v12
	v_lshlrev_b32_e32 v24, 1, v24
	s_delay_alu instid0(VALU_DEP_2) | instskip(SKIP_2) | instid1(VALU_DEP_1)
	v_lshrrev_b32_e32 v26, 19, v25
	ds_load_u16 v27, v24
	v_and_or_b32 v26, 0xe00, v26, v0
	v_alignbit_b32 v25, v26, v25, 31
	s_delay_alu instid0(VALU_DEP_1)
	v_lshlrev_b32_e32 v25, 1, v25
	s_waitcnt lgkmcnt(0)
	v_add_nc_u16 v26, v27, 1
	ds_store_b16 v24, v26
	ds_load_u16 v29, v25
	v_lshlrev_b32_e32 v26, s15, v13
	s_delay_alu instid0(VALU_DEP_1) | instskip(NEXT) | instid1(VALU_DEP_1)
	v_lshrrev_b32_e32 v28, 19, v26
	v_and_or_b32 v28, 0xe00, v28, v0
	s_delay_alu instid0(VALU_DEP_1) | instskip(SKIP_2) | instid1(VALU_DEP_2)
	v_alignbit_b32 v26, v28, v26, 31
	s_waitcnt lgkmcnt(0)
	v_add_nc_u16 v28, v29, 1
	v_lshlrev_b32_e32 v26, 1, v26
	ds_store_b16 v25, v28
	ds_load_u16 v31, v26
	v_lshlrev_b32_e32 v28, s15, v7
	s_delay_alu instid0(VALU_DEP_1) | instskip(NEXT) | instid1(VALU_DEP_1)
	v_lshrrev_b32_e32 v30, 19, v28
	v_and_or_b32 v30, 0xe00, v30, v0
	s_delay_alu instid0(VALU_DEP_1) | instskip(SKIP_2) | instid1(VALU_DEP_2)
	v_alignbit_b32 v28, v30, v28, 31
	s_waitcnt lgkmcnt(0)
	v_add_nc_u16 v30, v31, 1
	v_lshlrev_b32_e32 v28, 1, v28
	ds_store_b16 v26, v30
	ds_load_u16 v33, v28
	v_lshlrev_b32_e32 v30, s15, v14
	s_delay_alu instid0(VALU_DEP_1) | instskip(NEXT) | instid1(VALU_DEP_1)
	v_lshrrev_b32_e32 v32, 19, v30
	v_and_or_b32 v32, 0xe00, v32, v0
	s_delay_alu instid0(VALU_DEP_1) | instskip(SKIP_2) | instid1(VALU_DEP_2)
	v_alignbit_b32 v30, v32, v30, 31
	s_waitcnt lgkmcnt(0)
	v_add_nc_u16 v32, v33, 1
	v_lshlrev_b32_e32 v30, 1, v30
	ds_store_b16 v28, v32
	ds_load_u16 v35, v30
	v_lshlrev_b32_e32 v32, s15, v15
	s_delay_alu instid0(VALU_DEP_1) | instskip(NEXT) | instid1(VALU_DEP_1)
	v_lshrrev_b32_e32 v34, 19, v32
	v_and_or_b32 v34, 0xe00, v34, v0
	s_delay_alu instid0(VALU_DEP_1) | instskip(SKIP_2) | instid1(VALU_DEP_2)
	v_alignbit_b32 v32, v34, v32, 31
	s_waitcnt lgkmcnt(0)
	v_add_nc_u16 v34, v35, 1
	v_lshlrev_b32_e32 v32, 1, v32
	ds_store_b16 v30, v34
	ds_load_u16 v37, v32
	v_lshlrev_b32_e32 v34, s15, v16
	s_delay_alu instid0(VALU_DEP_1) | instskip(NEXT) | instid1(VALU_DEP_1)
	v_lshrrev_b32_e32 v36, 19, v34
	v_and_or_b32 v36, 0xe00, v36, v0
	s_delay_alu instid0(VALU_DEP_1) | instskip(SKIP_2) | instid1(VALU_DEP_2)
	v_alignbit_b32 v34, v36, v34, 31
	s_waitcnt lgkmcnt(0)
	v_add_nc_u16 v36, v37, 1
	v_lshlrev_b32_e32 v34, 1, v34
	ds_store_b16 v32, v36
	ds_load_u16 v38, v34
	v_lshlrev_b32_e32 v36, s15, v8
	s_delay_alu instid0(VALU_DEP_1) | instskip(NEXT) | instid1(VALU_DEP_1)
	v_lshrrev_b32_e32 v39, 19, v36
	v_and_or_b32 v39, 0xe00, v39, v0
	s_delay_alu instid0(VALU_DEP_1) | instskip(SKIP_2) | instid1(VALU_DEP_2)
	v_alignbit_b32 v36, v39, v36, 31
	s_waitcnt lgkmcnt(0)
	v_add_nc_u16 v39, v38, 1
	v_lshlrev_b32_e32 v36, 1, v36
	ds_store_b16 v34, v39
	ds_load_u16 v40, v36
	v_lshlrev_b32_e32 v39, s15, v17
	s_delay_alu instid0(VALU_DEP_1) | instskip(NEXT) | instid1(VALU_DEP_1)
	v_lshrrev_b32_e32 v41, 19, v39
	v_and_or_b32 v41, 0xe00, v41, v0
	s_delay_alu instid0(VALU_DEP_1) | instskip(SKIP_2) | instid1(VALU_DEP_2)
	v_alignbit_b32 v39, v41, v39, 31
	s_waitcnt lgkmcnt(0)
	v_add_nc_u16 v41, v40, 1
	v_lshlrev_b32_e32 v39, 1, v39
	ds_store_b16 v36, v41
	ds_load_u16 v42, v39
	v_lshlrev_b32_e32 v41, s15, v18
	s_delay_alu instid0(VALU_DEP_1) | instskip(NEXT) | instid1(VALU_DEP_1)
	v_lshrrev_b32_e32 v43, 19, v41
	v_and_or_b32 v43, 0xe00, v43, v0
	s_delay_alu instid0(VALU_DEP_1) | instskip(SKIP_2) | instid1(VALU_DEP_2)
	v_alignbit_b32 v41, v43, v41, 31
	s_waitcnt lgkmcnt(0)
	v_add_nc_u16 v43, v42, 1
	v_lshlrev_b32_e32 v41, 1, v41
	ds_store_b16 v39, v43
	ds_load_u16 v45, v41
	v_lshlrev_b32_e32 v43, s15, v19
	s_delay_alu instid0(VALU_DEP_1) | instskip(NEXT) | instid1(VALU_DEP_1)
	v_lshrrev_b32_e32 v44, 19, v43
	v_and_or_b32 v44, 0xe00, v44, v0
	s_delay_alu instid0(VALU_DEP_1) | instskip(SKIP_2) | instid1(VALU_DEP_2)
	v_alignbit_b32 v43, v44, v43, 31
	s_waitcnt lgkmcnt(0)
	v_add_nc_u16 v46, v45, 1
	v_lshlrev_b32_e32 v44, 1, v43
	v_lshlrev_b32_e32 v43, s15, v9
	ds_store_b16 v41, v46
	ds_load_u16 v48, v44
	v_lshrrev_b32_e32 v46, 19, v43
	s_delay_alu instid0(VALU_DEP_1) | instskip(NEXT) | instid1(VALU_DEP_1)
	v_and_or_b32 v46, 0xe00, v46, v0
	v_alignbit_b32 v43, v46, v43, 31
	s_delay_alu instid0(VALU_DEP_1)
	v_lshlrev_b32_e32 v47, 1, v43
	s_waitcnt lgkmcnt(0)
	v_add_nc_u16 v46, v48, 1
	ds_store_b16 v44, v46
	ds_load_u16 v43, v47
	v_lshlrev_b32_e32 v46, s15, v20
	s_delay_alu instid0(VALU_DEP_1) | instskip(NEXT) | instid1(VALU_DEP_1)
	v_lshrrev_b32_e32 v49, 19, v46
	v_and_or_b32 v49, 0xe00, v49, v0
	s_delay_alu instid0(VALU_DEP_1) | instskip(SKIP_2) | instid1(VALU_DEP_2)
	v_alignbit_b32 v46, v49, v46, 31
	s_waitcnt lgkmcnt(0)
	v_add_nc_u16 v49, v43, 1
	v_lshlrev_b32_e32 v50, 1, v46
	ds_store_b16 v47, v49
	ds_load_u16 v46, v50
	v_lshlrev_b32_e32 v49, s15, v21
	s_delay_alu instid0(VALU_DEP_1) | instskip(NEXT) | instid1(VALU_DEP_1)
	v_lshrrev_b32_e32 v51, 19, v49
	v_and_or_b32 v51, 0xe00, v51, v0
	s_delay_alu instid0(VALU_DEP_1) | instskip(SKIP_2) | instid1(VALU_DEP_2)
	v_alignbit_b32 v49, v51, v49, 31
	s_waitcnt lgkmcnt(0)
	v_add_nc_u16 v51, v46, 1
	v_lshlrev_b32_e32 v52, 1, v49
	;; [unrolled: 11-line block ×4, first 2 shown]
	ds_store_b16 v54, v56
	ds_load_u16 v53, v55
	s_waitcnt lgkmcnt(0)
	v_add_nc_u16 v56, v53, 1
	ds_store_b16 v55, v56
	s_waitcnt lgkmcnt(0)
	s_barrier
	buffer_gl0_inv
	ds_load_2addr_b32 v[56:57], v3 offset1:1
	ds_load_2addr_b32 v[58:59], v3 offset0:2 offset1:3
	ds_load_2addr_b32 v[60:61], v3 offset0:4 offset1:5
	;; [unrolled: 1-line block ×3, first 2 shown]
	s_waitcnt lgkmcnt(3)
	v_add_nc_u32_e32 v56, v57, v56
	s_waitcnt lgkmcnt(2)
	s_delay_alu instid0(VALU_DEP_1) | instskip(SKIP_1) | instid1(VALU_DEP_1)
	v_add3_u32 v56, v56, v58, v59
	s_waitcnt lgkmcnt(1)
	v_add3_u32 v56, v56, v60, v61
	s_waitcnt lgkmcnt(0)
	s_delay_alu instid0(VALU_DEP_1) | instskip(NEXT) | instid1(VALU_DEP_1)
	v_add3_u32 v56, v56, v62, v63
	v_mov_b32_dpp v57, v56 row_shr:1 row_mask:0xf bank_mask:0xf
	s_delay_alu instid0(VALU_DEP_1) | instskip(NEXT) | instid1(VALU_DEP_1)
	v_cndmask_b32_e64 v57, v57, 0, s3
	v_add_nc_u32_e32 v56, v57, v56
	s_delay_alu instid0(VALU_DEP_1) | instskip(NEXT) | instid1(VALU_DEP_1)
	v_mov_b32_dpp v57, v56 row_shr:2 row_mask:0xf bank_mask:0xf
	v_cndmask_b32_e64 v57, 0, v57, s4
	s_delay_alu instid0(VALU_DEP_1) | instskip(NEXT) | instid1(VALU_DEP_1)
	v_add_nc_u32_e32 v56, v56, v57
	v_mov_b32_dpp v57, v56 row_shr:4 row_mask:0xf bank_mask:0xf
	s_delay_alu instid0(VALU_DEP_1) | instskip(NEXT) | instid1(VALU_DEP_1)
	v_cndmask_b32_e64 v57, 0, v57, s5
	v_add_nc_u32_e32 v56, v56, v57
	s_delay_alu instid0(VALU_DEP_1) | instskip(NEXT) | instid1(VALU_DEP_1)
	v_mov_b32_dpp v57, v56 row_shr:8 row_mask:0xf bank_mask:0xf
	v_cndmask_b32_e64 v57, 0, v57, s6
	s_delay_alu instid0(VALU_DEP_1) | instskip(SKIP_3) | instid1(VALU_DEP_1)
	v_add_nc_u32_e32 v56, v56, v57
	ds_swizzle_b32 v57, v56 offset:swizzle(BROADCAST,32,15)
	s_waitcnt lgkmcnt(0)
	v_cndmask_b32_e64 v57, v57, 0, s7
	v_add_nc_u32_e32 v56, v56, v57
	s_and_saveexec_b32 s15, s8
	s_cbranch_execz .LBB84_8
; %bb.7:                                ;   in Loop: Header=BB84_4 Depth=2
	ds_store_b32 v5, v56 offset:16384
.LBB84_8:                               ;   in Loop: Header=BB84_4 Depth=2
	s_or_b32 exec_lo, exec_lo, s15
	s_waitcnt lgkmcnt(0)
	s_barrier
	buffer_gl0_inv
	s_and_saveexec_b32 s15, s0
	s_cbranch_execz .LBB84_10
; %bb.9:                                ;   in Loop: Header=BB84_4 Depth=2
	ds_load_b32 v57, v4 offset:16384
	s_waitcnt lgkmcnt(0)
	v_mov_b32_dpp v58, v57 row_shr:1 row_mask:0xf bank_mask:0xf
	s_delay_alu instid0(VALU_DEP_1) | instskip(NEXT) | instid1(VALU_DEP_1)
	v_cndmask_b32_e64 v58, v58, 0, s3
	v_add_nc_u32_e32 v57, v58, v57
	s_delay_alu instid0(VALU_DEP_1) | instskip(NEXT) | instid1(VALU_DEP_1)
	v_mov_b32_dpp v58, v57 row_shr:2 row_mask:0xf bank_mask:0xf
	v_cndmask_b32_e64 v58, 0, v58, s4
	s_delay_alu instid0(VALU_DEP_1) | instskip(NEXT) | instid1(VALU_DEP_1)
	v_add_nc_u32_e32 v57, v57, v58
	v_mov_b32_dpp v58, v57 row_shr:4 row_mask:0xf bank_mask:0xf
	s_delay_alu instid0(VALU_DEP_1) | instskip(NEXT) | instid1(VALU_DEP_1)
	v_cndmask_b32_e64 v58, 0, v58, s5
	v_add_nc_u32_e32 v57, v57, v58
	s_delay_alu instid0(VALU_DEP_1) | instskip(NEXT) | instid1(VALU_DEP_1)
	v_mov_b32_dpp v58, v57 row_shr:8 row_mask:0xf bank_mask:0xf
	v_cndmask_b32_e64 v58, 0, v58, s6
	s_delay_alu instid0(VALU_DEP_1)
	v_add_nc_u32_e32 v57, v57, v58
	ds_store_b32 v4, v57 offset:16384
.LBB84_10:                              ;   in Loop: Header=BB84_4 Depth=2
	s_or_b32 exec_lo, exec_lo, s15
	v_mov_b32_e32 v57, 0
	s_waitcnt lgkmcnt(0)
	s_barrier
	buffer_gl0_inv
	s_and_saveexec_b32 s15, s1
	s_cbranch_execz .LBB84_3
; %bb.11:                               ;   in Loop: Header=BB84_4 Depth=2
	ds_load_b32 v57, v5 offset:16380
	s_branch .LBB84_3
.LBB84_12:
	v_and_b32_e32 v0, 0xffff, v27
	v_and_b32_e32 v10, 0xffff, v29
	ds_load_u16 v2, v55
	ds_load_u16 v3, v54
	;; [unrolled: 1-line block ×16, first 2 shown]
	v_and_b32_e32 v14, 0xffff, v31
	v_and_b32_e32 v15, 0xffff, v33
	;; [unrolled: 1-line block ×14, first 2 shown]
	s_waitcnt lgkmcnt(15)
	v_add_nc_u32_e32 v5, v2, v4
	s_waitcnt lgkmcnt(14)
	v_add_nc_u32_e32 v4, v3, v30
	;; [unrolled: 2-line block ×9, first 2 shown]
	s_lshl_b64 s[0:1], s[12:13], 2
	v_lshlrev_b32_e32 v0, 2, v1
	v_add_nc_u32_e32 v13, v22, v13
	v_add_nc_u32_e32 v12, v23, v12
	;; [unrolled: 1-line block ×7, first 2 shown]
	s_add_u32 s0, s10, s0
	s_addc_u32 s1, s11, s1
	s_clause 0x3
	global_store_b128 v0, v[14:17], s[0:1]
	global_store_b128 v0, v[10:13], s[0:1] offset:16
	global_store_b128 v0, v[6:9], s[0:1] offset:32
	;; [unrolled: 1-line block ×3, first 2 shown]
	s_nop 0
	s_sendmsg sendmsg(MSG_DEALLOC_VGPRS)
	s_endpgm
	.section	.rodata,"a",@progbits
	.p2align	6, 0x0
	.amdhsa_kernel _Z11rank_kernelIhLj4ELb0EL18RadixRankAlgorithm0ELj512ELj16ELj10EEvPKT_Pi
		.amdhsa_group_segment_fixed_size 16448
		.amdhsa_private_segment_fixed_size 0
		.amdhsa_kernarg_size 16
		.amdhsa_user_sgpr_count 15
		.amdhsa_user_sgpr_dispatch_ptr 0
		.amdhsa_user_sgpr_queue_ptr 0
		.amdhsa_user_sgpr_kernarg_segment_ptr 1
		.amdhsa_user_sgpr_dispatch_id 0
		.amdhsa_user_sgpr_private_segment_size 0
		.amdhsa_wavefront_size32 1
		.amdhsa_uses_dynamic_stack 0
		.amdhsa_enable_private_segment 0
		.amdhsa_system_sgpr_workgroup_id_x 1
		.amdhsa_system_sgpr_workgroup_id_y 0
		.amdhsa_system_sgpr_workgroup_id_z 0
		.amdhsa_system_sgpr_workgroup_info 0
		.amdhsa_system_vgpr_workitem_id 0
		.amdhsa_next_free_vgpr 64
		.amdhsa_next_free_sgpr 17
		.amdhsa_reserve_vcc 1
		.amdhsa_float_round_mode_32 0
		.amdhsa_float_round_mode_16_64 0
		.amdhsa_float_denorm_mode_32 3
		.amdhsa_float_denorm_mode_16_64 3
		.amdhsa_dx10_clamp 1
		.amdhsa_ieee_mode 1
		.amdhsa_fp16_overflow 0
		.amdhsa_workgroup_processor_mode 1
		.amdhsa_memory_ordered 1
		.amdhsa_forward_progress 0
		.amdhsa_shared_vgpr_count 0
		.amdhsa_exception_fp_ieee_invalid_op 0
		.amdhsa_exception_fp_denorm_src 0
		.amdhsa_exception_fp_ieee_div_zero 0
		.amdhsa_exception_fp_ieee_overflow 0
		.amdhsa_exception_fp_ieee_underflow 0
		.amdhsa_exception_fp_ieee_inexact 0
		.amdhsa_exception_int_div_zero 0
	.end_amdhsa_kernel
	.section	.text._Z11rank_kernelIhLj4ELb0EL18RadixRankAlgorithm0ELj512ELj16ELj10EEvPKT_Pi,"axG",@progbits,_Z11rank_kernelIhLj4ELb0EL18RadixRankAlgorithm0ELj512ELj16ELj10EEvPKT_Pi,comdat
.Lfunc_end84:
	.size	_Z11rank_kernelIhLj4ELb0EL18RadixRankAlgorithm0ELj512ELj16ELj10EEvPKT_Pi, .Lfunc_end84-_Z11rank_kernelIhLj4ELb0EL18RadixRankAlgorithm0ELj512ELj16ELj10EEvPKT_Pi
                                        ; -- End function
	.section	.AMDGPU.csdata,"",@progbits
; Kernel info:
; codeLenInByte = 2540
; NumSgprs: 19
; NumVgprs: 64
; ScratchSize: 0
; MemoryBound: 0
; FloatMode: 240
; IeeeMode: 1
; LDSByteSize: 16448 bytes/workgroup (compile time only)
; SGPRBlocks: 2
; VGPRBlocks: 7
; NumSGPRsForWavesPerEU: 19
; NumVGPRsForWavesPerEU: 64
; Occupancy: 16
; WaveLimiterHint : 0
; COMPUTE_PGM_RSRC2:SCRATCH_EN: 0
; COMPUTE_PGM_RSRC2:USER_SGPR: 15
; COMPUTE_PGM_RSRC2:TRAP_HANDLER: 0
; COMPUTE_PGM_RSRC2:TGID_X_EN: 1
; COMPUTE_PGM_RSRC2:TGID_Y_EN: 0
; COMPUTE_PGM_RSRC2:TGID_Z_EN: 0
; COMPUTE_PGM_RSRC2:TIDIG_COMP_CNT: 0
	.section	.text._Z11rank_kernelIhLj4ELb0EL18RadixRankAlgorithm1ELj512ELj16ELj10EEvPKT_Pi,"axG",@progbits,_Z11rank_kernelIhLj4ELb0EL18RadixRankAlgorithm1ELj512ELj16ELj10EEvPKT_Pi,comdat
	.protected	_Z11rank_kernelIhLj4ELb0EL18RadixRankAlgorithm1ELj512ELj16ELj10EEvPKT_Pi ; -- Begin function _Z11rank_kernelIhLj4ELb0EL18RadixRankAlgorithm1ELj512ELj16ELj10EEvPKT_Pi
	.globl	_Z11rank_kernelIhLj4ELb0EL18RadixRankAlgorithm1ELj512ELj16ELj10EEvPKT_Pi
	.p2align	8
	.type	_Z11rank_kernelIhLj4ELb0EL18RadixRankAlgorithm1ELj512ELj16ELj10EEvPKT_Pi,@function
_Z11rank_kernelIhLj4ELb0EL18RadixRankAlgorithm1ELj512ELj16ELj10EEvPKT_Pi: ; @_Z11rank_kernelIhLj4ELb0EL18RadixRankAlgorithm1ELj512ELj16ELj10EEvPKT_Pi
; %bb.0:
	s_load_b128 s[8:11], s[0:1], 0x0
	s_lshl_b32 s12, s15, 13
	v_dual_mov_b32 v10, 0 :: v_dual_lshlrev_b32 v9, 4, v0
	v_mbcnt_lo_u32_b32 v5, -1, 0
	v_or_b32_e32 v8, 31, v0
	v_lshrrev_b32_e32 v14, 3, v0
	v_lshlrev_b32_e32 v11, 5, v0
	v_or_b32_e32 v31, 0xfffffe00, v0
	v_add_nc_u32_e32 v13, -1, v5
	v_and_b32_e32 v6, 15, v5
	v_and_b32_e32 v7, 16, v5
	v_cmp_eq_u32_e64 s2, 0, v5
	s_mov_b32 s13, 0
	v_cmp_gt_i32_e32 vcc_lo, 0, v13
	v_lshlrev_b32_e32 v12, 2, v0
	v_cmp_eq_u32_e64 s3, 0, v6
	v_cmp_lt_u32_e64 s4, 1, v6
	v_cmp_lt_u32_e64 s5, 3, v6
	v_cndmask_b32_e32 v5, v13, v5, vcc_lo
	s_waitcnt lgkmcnt(0)
	s_add_u32 s0, s8, s12
	s_addc_u32 s1, s9, 0
	v_cmp_lt_u32_e64 s6, 7, v6
	global_load_b128 v[1:4], v9, s[0:1]
	v_cmp_gt_u32_e64 s0, 16, v0
	v_cmp_lt_u32_e64 s1, 31, v0
	v_cmp_eq_u32_e64 s7, 0, v7
	v_cmp_eq_u32_e64 s8, v8, v0
	v_and_b32_e32 v13, 60, v14
	v_lshlrev_b32_e32 v14, 2, v5
	s_mov_b32 s9, s13
	s_waitcnt vmcnt(0)
	v_lshrrev_b32_e32 v15, 24, v1
	v_lshrrev_b32_e32 v16, 24, v2
	;; [unrolled: 1-line block ×4, first 2 shown]
	v_and_b32_e32 v19, 0xff, v1
	v_bfe_u32 v20, v1, 8, 8
	v_bfe_u32 v21, v1, 16, 8
	v_and_b32_e32 v22, 0xff, v2
	v_bfe_u32 v23, v2, 8, 8
	v_bfe_u32 v24, v2, 16, 8
	;; [unrolled: 3-line block ×4, first 2 shown]
	s_branch .LBB85_2
.LBB85_1:                               ;   in Loop: Header=BB85_2 Depth=1
	s_add_i32 s9, s9, 1
	s_delay_alu instid0(SALU_CYCLE_1)
	s_cmp_eq_u32 s9, 10
	s_cbranch_scc1 .LBB85_12
.LBB85_2:                               ; =>This Loop Header: Depth=1
                                        ;     Child Loop BB85_4 Depth 2
                                        ;       Child Loop BB85_5 Depth 3
	s_mov_b32 s15, 28
	s_mov_b32 s16, -1
	s_branch .LBB85_4
.LBB85_3:                               ;   in Loop: Header=BB85_4 Depth=2
	s_or_b32 exec_lo, exec_lo, s15
	s_waitcnt lgkmcnt(0)
	v_add_nc_u32_e32 v2, v64, v2
	ds_load_b32 v65, v10 offset:16444
	s_mov_b32 s15, 24
	s_mov_b32 s16, 0
	s_and_not1_b32 vcc_lo, exec_lo, s14
	ds_bpermute_b32 v2, v14, v2
	s_waitcnt lgkmcnt(0)
	v_cndmask_b32_e64 v2, v2, v64, s2
	s_delay_alu instid0(VALU_DEP_1) | instskip(NEXT) | instid1(VALU_DEP_1)
	v_lshl_add_u32 v2, v65, 16, v2
	v_add_nc_u32_e32 v7, v2, v7
	s_delay_alu instid0(VALU_DEP_1) | instskip(NEXT) | instid1(VALU_DEP_1)
	v_add_nc_u32_e32 v8, v7, v8
	v_add_nc_u32_e32 v5, v8, v5
	s_delay_alu instid0(VALU_DEP_1) | instskip(NEXT) | instid1(VALU_DEP_1)
	v_add_nc_u32_e32 v6, v5, v6
	;; [unrolled: 3-line block ×3, first 2 shown]
	v_add_nc_u32_e32 v1, v4, v1
	ds_store_2addr_b32 v11, v2, v7 offset1:1
	ds_store_2addr_b32 v11, v8, v5 offset0:2 offset1:3
	ds_store_2addr_b32 v11, v6, v3 offset0:4 offset1:5
	;; [unrolled: 1-line block ×3, first 2 shown]
	s_waitcnt lgkmcnt(0)
	s_barrier
	buffer_gl0_inv
	s_cbranch_vccz .LBB85_1
.LBB85_4:                               ;   Parent Loop BB85_2 Depth=1
                                        ; =>  This Loop Header: Depth=2
                                        ;       Child Loop BB85_5 Depth 3
	v_dual_mov_b32 v1, v31 :: v_dual_mov_b32 v2, v12
	s_xor_b32 s14, s16, -1
	s_mov_b32 s16, 0
.LBB85_5:                               ;   Parent Loop BB85_2 Depth=1
                                        ;     Parent Loop BB85_4 Depth=2
                                        ; =>    This Inner Loop Header: Depth=3
	s_delay_alu instid0(VALU_DEP_1) | instskip(SKIP_4) | instid1(SALU_CYCLE_1)
	v_add_nc_u32_e32 v1, 0x200, v1
	ds_store_b32 v2, v10
	v_add_nc_u32_e32 v2, 0x800, v2
	v_cmp_lt_u32_e32 vcc_lo, 0xdff, v1
	s_or_b32 s16, vcc_lo, s16
	s_and_not1_b32 exec_lo, exec_lo, s16
	s_cbranch_execnz .LBB85_5
; %bb.6:                                ;   in Loop: Header=BB85_4 Depth=2
	s_or_b32 exec_lo, exec_lo, s16
	v_lshlrev_b32_e32 v1, s15, v19
	s_delay_alu instid0(VALU_DEP_1) | instskip(NEXT) | instid1(VALU_DEP_1)
	v_lshrrev_b32_e32 v2, 19, v1
	v_and_or_b32 v2, 0xe00, v2, v0
	s_delay_alu instid0(VALU_DEP_1) | instskip(NEXT) | instid1(VALU_DEP_1)
	v_alignbit_b32 v1, v2, v1, 31
	v_lshlrev_b32_e32 v32, 1, v1
	v_lshlrev_b32_e32 v1, s15, v20
	ds_load_u16 v35, v32
	v_lshrrev_b32_e32 v2, 19, v1
	s_delay_alu instid0(VALU_DEP_1) | instskip(NEXT) | instid1(VALU_DEP_1)
	v_and_or_b32 v2, 0xe00, v2, v0
	v_alignbit_b32 v1, v2, v1, 31
	s_delay_alu instid0(VALU_DEP_1)
	v_lshlrev_b32_e32 v33, 1, v1
	v_lshlrev_b32_e32 v1, s15, v21
	s_waitcnt lgkmcnt(0)
	v_add_nc_u16 v2, v35, 1
	ds_store_b16 v32, v2
	ds_load_u16 v37, v33
	v_lshrrev_b32_e32 v2, 19, v1
	s_delay_alu instid0(VALU_DEP_1) | instskip(NEXT) | instid1(VALU_DEP_1)
	v_and_or_b32 v2, 0xe00, v2, v0
	v_alignbit_b32 v1, v2, v1, 31
	s_delay_alu instid0(VALU_DEP_1)
	v_lshlrev_b32_e32 v34, 1, v1
	v_lshlrev_b32_e32 v1, s15, v15
	s_waitcnt lgkmcnt(0)
	v_add_nc_u16 v2, v37, 1
	ds_store_b16 v33, v2
	;; [unrolled: 11-line block ×14, first 2 shown]
	ds_load_u16 v59, v62
	v_lshrrev_b32_e32 v2, 19, v1
	s_delay_alu instid0(VALU_DEP_1) | instskip(NEXT) | instid1(VALU_DEP_1)
	v_and_or_b32 v2, 0xe00, v2, v0
	v_alignbit_b32 v1, v2, v1, 31
	s_delay_alu instid0(VALU_DEP_1)
	v_lshlrev_b32_e32 v63, 1, v1
	s_waitcnt lgkmcnt(0)
	v_add_nc_u16 v2, v59, 1
	ds_store_b16 v62, v2
	ds_load_u16 v61, v63
	s_waitcnt lgkmcnt(0)
	v_add_nc_u16 v1, v61, 1
	ds_store_b16 v63, v1
	s_waitcnt lgkmcnt(0)
	s_barrier
	buffer_gl0_inv
	ds_load_2addr_b32 v[7:8], v11 offset1:1
	ds_load_2addr_b32 v[5:6], v11 offset0:2 offset1:3
	ds_load_2addr_b32 v[3:4], v11 offset0:4 offset1:5
	ds_load_2addr_b32 v[1:2], v11 offset0:6 offset1:7
	s_waitcnt lgkmcnt(3)
	v_add_nc_u32_e32 v64, v8, v7
	s_waitcnt lgkmcnt(2)
	s_delay_alu instid0(VALU_DEP_1) | instskip(SKIP_1) | instid1(VALU_DEP_1)
	v_add3_u32 v64, v64, v5, v6
	s_waitcnt lgkmcnt(1)
	v_add3_u32 v64, v64, v3, v4
	s_waitcnt lgkmcnt(0)
	s_delay_alu instid0(VALU_DEP_1) | instskip(NEXT) | instid1(VALU_DEP_1)
	v_add3_u32 v2, v64, v1, v2
	v_mov_b32_dpp v64, v2 row_shr:1 row_mask:0xf bank_mask:0xf
	s_delay_alu instid0(VALU_DEP_1) | instskip(NEXT) | instid1(VALU_DEP_1)
	v_cndmask_b32_e64 v64, v64, 0, s3
	v_add_nc_u32_e32 v2, v64, v2
	s_delay_alu instid0(VALU_DEP_1) | instskip(NEXT) | instid1(VALU_DEP_1)
	v_mov_b32_dpp v64, v2 row_shr:2 row_mask:0xf bank_mask:0xf
	v_cndmask_b32_e64 v64, 0, v64, s4
	s_delay_alu instid0(VALU_DEP_1) | instskip(NEXT) | instid1(VALU_DEP_1)
	v_add_nc_u32_e32 v2, v2, v64
	v_mov_b32_dpp v64, v2 row_shr:4 row_mask:0xf bank_mask:0xf
	s_delay_alu instid0(VALU_DEP_1) | instskip(NEXT) | instid1(VALU_DEP_1)
	v_cndmask_b32_e64 v64, 0, v64, s5
	v_add_nc_u32_e32 v2, v2, v64
	s_delay_alu instid0(VALU_DEP_1) | instskip(NEXT) | instid1(VALU_DEP_1)
	v_mov_b32_dpp v64, v2 row_shr:8 row_mask:0xf bank_mask:0xf
	v_cndmask_b32_e64 v64, 0, v64, s6
	s_delay_alu instid0(VALU_DEP_1) | instskip(SKIP_3) | instid1(VALU_DEP_1)
	v_add_nc_u32_e32 v2, v2, v64
	ds_swizzle_b32 v64, v2 offset:swizzle(BROADCAST,32,15)
	s_waitcnt lgkmcnt(0)
	v_cndmask_b32_e64 v64, v64, 0, s7
	v_add_nc_u32_e32 v2, v2, v64
	s_and_saveexec_b32 s15, s8
	s_cbranch_execz .LBB85_8
; %bb.7:                                ;   in Loop: Header=BB85_4 Depth=2
	ds_store_b32 v13, v2 offset:16384
.LBB85_8:                               ;   in Loop: Header=BB85_4 Depth=2
	s_or_b32 exec_lo, exec_lo, s15
	s_waitcnt lgkmcnt(0)
	s_barrier
	buffer_gl0_inv
	s_and_saveexec_b32 s15, s0
	s_cbranch_execz .LBB85_10
; %bb.9:                                ;   in Loop: Header=BB85_4 Depth=2
	ds_load_b32 v64, v12 offset:16384
	s_waitcnt lgkmcnt(0)
	v_mov_b32_dpp v65, v64 row_shr:1 row_mask:0xf bank_mask:0xf
	s_delay_alu instid0(VALU_DEP_1) | instskip(NEXT) | instid1(VALU_DEP_1)
	v_cndmask_b32_e64 v65, v65, 0, s3
	v_add_nc_u32_e32 v64, v65, v64
	s_delay_alu instid0(VALU_DEP_1) | instskip(NEXT) | instid1(VALU_DEP_1)
	v_mov_b32_dpp v65, v64 row_shr:2 row_mask:0xf bank_mask:0xf
	v_cndmask_b32_e64 v65, 0, v65, s4
	s_delay_alu instid0(VALU_DEP_1) | instskip(NEXT) | instid1(VALU_DEP_1)
	v_add_nc_u32_e32 v64, v64, v65
	v_mov_b32_dpp v65, v64 row_shr:4 row_mask:0xf bank_mask:0xf
	s_delay_alu instid0(VALU_DEP_1) | instskip(NEXT) | instid1(VALU_DEP_1)
	v_cndmask_b32_e64 v65, 0, v65, s5
	v_add_nc_u32_e32 v64, v64, v65
	s_delay_alu instid0(VALU_DEP_1) | instskip(NEXT) | instid1(VALU_DEP_1)
	v_mov_b32_dpp v65, v64 row_shr:8 row_mask:0xf bank_mask:0xf
	v_cndmask_b32_e64 v65, 0, v65, s6
	s_delay_alu instid0(VALU_DEP_1)
	v_add_nc_u32_e32 v64, v64, v65
	ds_store_b32 v12, v64 offset:16384
.LBB85_10:                              ;   in Loop: Header=BB85_4 Depth=2
	s_or_b32 exec_lo, exec_lo, s15
	v_mov_b32_e32 v64, 0
	s_waitcnt lgkmcnt(0)
	s_barrier
	buffer_gl0_inv
	s_and_saveexec_b32 s15, s1
	s_cbranch_execz .LBB85_3
; %bb.11:                               ;   in Loop: Header=BB85_4 Depth=2
	ds_load_b32 v64, v13 offset:16380
	s_branch .LBB85_3
.LBB85_12:
	ds_load_u16 v0, v63
	ds_load_u16 v1, v62
	ds_load_u16 v7, v60
	ds_load_u16 v16, v58
	ds_load_u16 v18, v55
	ds_load_u16 v19, v52
	ds_load_u16 v20, v49
	ds_load_u16 v21, v47
	ds_load_u16 v22, v44
	ds_load_u16 v23, v42
	ds_load_u16 v24, v40
	ds_load_u16 v25, v38
	ds_load_u16 v26, v36
	ds_load_u16 v27, v34
	ds_load_u16 v28, v33
	ds_load_u16 v29, v32
	v_and_b32_e32 v8, 0xffff, v35
	v_and_b32_e32 v13, 0xffff, v37
	v_and_b32_e32 v14, 0xffff, v39
	v_and_b32_e32 v15, 0xffff, v41
	v_and_b32_e32 v2, 0xffff, v61
	v_and_b32_e32 v32, 0xffff, v54
	v_and_b32_e32 v17, 0xffff, v43
	v_and_b32_e32 v10, 0xffff, v45
	v_and_b32_e32 v11, 0xffff, v46
	v_and_b32_e32 v12, 0xffff, v48
	v_and_b32_e32 v4, 0xffff, v50
	v_and_b32_e32 v5, 0xffff, v53
	v_and_b32_e32 v6, 0xffff, v56
	v_and_b32_e32 v30, 0xffff, v59
	v_and_b32_e32 v31, 0xffff, v57
	v_and_b32_e32 v33, 0xffff, v51
	s_waitcnt lgkmcnt(15)
	v_add_nc_u32_e32 v3, v0, v2
	s_waitcnt lgkmcnt(12)
	v_add_nc_u32_e32 v0, v16, v32
	;; [unrolled: 2-line block ×6, first 2 shown]
	s_lshl_b64 s[0:1], s[12:13], 2
	v_lshlrev_b32_e32 v8, 2, v9
	v_add_nc_u32_e32 v12, v22, v12
	v_add_nc_u32_e32 v11, v23, v11
	;; [unrolled: 1-line block ×10, first 2 shown]
	s_add_u32 s0, s10, s0
	s_addc_u32 s1, s11, s1
	s_clause 0x3
	global_store_b128 v8, v[13:16], s[0:1]
	global_store_b128 v8, v[9:12], s[0:1] offset:16
	global_store_b128 v8, v[4:7], s[0:1] offset:32
	;; [unrolled: 1-line block ×3, first 2 shown]
	s_nop 0
	s_sendmsg sendmsg(MSG_DEALLOC_VGPRS)
	s_endpgm
	.section	.rodata,"a",@progbits
	.p2align	6, 0x0
	.amdhsa_kernel _Z11rank_kernelIhLj4ELb0EL18RadixRankAlgorithm1ELj512ELj16ELj10EEvPKT_Pi
		.amdhsa_group_segment_fixed_size 16448
		.amdhsa_private_segment_fixed_size 0
		.amdhsa_kernarg_size 16
		.amdhsa_user_sgpr_count 15
		.amdhsa_user_sgpr_dispatch_ptr 0
		.amdhsa_user_sgpr_queue_ptr 0
		.amdhsa_user_sgpr_kernarg_segment_ptr 1
		.amdhsa_user_sgpr_dispatch_id 0
		.amdhsa_user_sgpr_private_segment_size 0
		.amdhsa_wavefront_size32 1
		.amdhsa_uses_dynamic_stack 0
		.amdhsa_enable_private_segment 0
		.amdhsa_system_sgpr_workgroup_id_x 1
		.amdhsa_system_sgpr_workgroup_id_y 0
		.amdhsa_system_sgpr_workgroup_id_z 0
		.amdhsa_system_sgpr_workgroup_info 0
		.amdhsa_system_vgpr_workitem_id 0
		.amdhsa_next_free_vgpr 66
		.amdhsa_next_free_sgpr 17
		.amdhsa_reserve_vcc 1
		.amdhsa_float_round_mode_32 0
		.amdhsa_float_round_mode_16_64 0
		.amdhsa_float_denorm_mode_32 3
		.amdhsa_float_denorm_mode_16_64 3
		.amdhsa_dx10_clamp 1
		.amdhsa_ieee_mode 1
		.amdhsa_fp16_overflow 0
		.amdhsa_workgroup_processor_mode 1
		.amdhsa_memory_ordered 1
		.amdhsa_forward_progress 0
		.amdhsa_shared_vgpr_count 0
		.amdhsa_exception_fp_ieee_invalid_op 0
		.amdhsa_exception_fp_denorm_src 0
		.amdhsa_exception_fp_ieee_div_zero 0
		.amdhsa_exception_fp_ieee_overflow 0
		.amdhsa_exception_fp_ieee_underflow 0
		.amdhsa_exception_fp_ieee_inexact 0
		.amdhsa_exception_int_div_zero 0
	.end_amdhsa_kernel
	.section	.text._Z11rank_kernelIhLj4ELb0EL18RadixRankAlgorithm1ELj512ELj16ELj10EEvPKT_Pi,"axG",@progbits,_Z11rank_kernelIhLj4ELb0EL18RadixRankAlgorithm1ELj512ELj16ELj10EEvPKT_Pi,comdat
.Lfunc_end85:
	.size	_Z11rank_kernelIhLj4ELb0EL18RadixRankAlgorithm1ELj512ELj16ELj10EEvPKT_Pi, .Lfunc_end85-_Z11rank_kernelIhLj4ELb0EL18RadixRankAlgorithm1ELj512ELj16ELj10EEvPKT_Pi
                                        ; -- End function
	.section	.AMDGPU.csdata,"",@progbits
; Kernel info:
; codeLenInByte = 2488
; NumSgprs: 19
; NumVgprs: 66
; ScratchSize: 0
; MemoryBound: 0
; FloatMode: 240
; IeeeMode: 1
; LDSByteSize: 16448 bytes/workgroup (compile time only)
; SGPRBlocks: 2
; VGPRBlocks: 8
; NumSGPRsForWavesPerEU: 19
; NumVGPRsForWavesPerEU: 66
; Occupancy: 16
; WaveLimiterHint : 0
; COMPUTE_PGM_RSRC2:SCRATCH_EN: 0
; COMPUTE_PGM_RSRC2:USER_SGPR: 15
; COMPUTE_PGM_RSRC2:TRAP_HANDLER: 0
; COMPUTE_PGM_RSRC2:TGID_X_EN: 1
; COMPUTE_PGM_RSRC2:TGID_Y_EN: 0
; COMPUTE_PGM_RSRC2:TGID_Z_EN: 0
; COMPUTE_PGM_RSRC2:TIDIG_COMP_CNT: 0
	.section	.text._Z11rank_kernelIhLj4ELb0EL18RadixRankAlgorithm2ELj512ELj16ELj10EEvPKT_Pi,"axG",@progbits,_Z11rank_kernelIhLj4ELb0EL18RadixRankAlgorithm2ELj512ELj16ELj10EEvPKT_Pi,comdat
	.protected	_Z11rank_kernelIhLj4ELb0EL18RadixRankAlgorithm2ELj512ELj16ELj10EEvPKT_Pi ; -- Begin function _Z11rank_kernelIhLj4ELb0EL18RadixRankAlgorithm2ELj512ELj16ELj10EEvPKT_Pi
	.globl	_Z11rank_kernelIhLj4ELb0EL18RadixRankAlgorithm2ELj512ELj16ELj10EEvPKT_Pi
	.p2align	8
	.type	_Z11rank_kernelIhLj4ELb0EL18RadixRankAlgorithm2ELj512ELj16ELj10EEvPKT_Pi,@function
_Z11rank_kernelIhLj4ELb0EL18RadixRankAlgorithm2ELj512ELj16ELj10EEvPKT_Pi: ; @_Z11rank_kernelIhLj4ELb0EL18RadixRankAlgorithm2ELj512ELj16ELj10EEvPKT_Pi
; %bb.0:
	s_clause 0x1
	s_load_b128 s[8:11], s[0:1], 0x0
	s_load_b32 s7, s[0:1], 0x1c
	v_dual_mov_b32 v132, 0 :: v_dual_and_b32 v1, 0x3ff, v0
	s_lshl_b32 s12, s15, 13
                                        ; implicit-def: $vgpr201 : SGPR spill to VGPR lane
	v_mbcnt_lo_u32_b32 v35, -1, 0
	s_mov_b32 s13, 0
	s_delay_alu instid0(VALU_DEP_2) | instskip(SKIP_3) | instid1(VALU_DEP_1)
	v_lshlrev_b32_e32 v2, 4, v1
	v_cmp_lt_u32_e64 s6, 31, v1
	v_lshrrev_b32_e32 v34, 3, v1
                                        ; implicit-def: $vgpr200 : SGPR spill to VGPR lane
	s_mov_b32 s42, 10
	v_and_b32_e32 v34, 60, v34
	s_delay_alu instid0(VALU_DEP_1)
	v_add_nc_u32_e32 v133, -4, v34
	s_waitcnt lgkmcnt(0)
	s_add_u32 s0, s8, s12
	v_writelane_b32 v201, s8, 0
	s_addc_u32 s1, s9, 0
	s_lshr_b32 s5, s7, 16
	global_load_b128 v[30:33], v2, s[0:1]
	s_and_b32 s7, s7, 0xffff
	v_writelane_b32 v201, s9, 1
	v_writelane_b32 v201, s10, 2
	;; [unrolled: 1-line block ×3, first 2 shown]
	s_waitcnt vmcnt(0)
	v_lshrrev_b32_e32 v41, 8, v31
	v_lshrrev_b32_e32 v40, 16, v31
	;; [unrolled: 1-line block ×6, first 2 shown]
	v_and_b32_e32 v7, 15, v31
	v_and_b32_e32 v138, 1, v31
	v_lshlrev_b32_e32 v53, 30, v31
	v_lshlrev_b32_e32 v52, 29, v31
	v_lshlrev_b32_e32 v51, 28, v31
	v_bfe_u32 v8, v31, 8, 4
	v_bfe_u32 v139, v31, 8, 1
	v_bfe_u32 v9, v31, 16, 4
	v_bfe_u32 v140, v31, 16, 1
	v_bfe_u32 v10, v31, 24, 4
	v_bfe_u32 v141, v31, 24, 1
	v_and_b32_e32 v11, 15, v32
	v_and_b32_e32 v142, 1, v32
	v_lshlrev_b32_e32 v50, 30, v32
	v_lshlrev_b32_e32 v49, 29, v32
	;; [unrolled: 1-line block ×3, first 2 shown]
	v_bfe_u32 v12, v32, 8, 4
	v_bfe_u32 v143, v32, 8, 1
	;; [unrolled: 1-line block ×6, first 2 shown]
	v_lshrrev_b32_e32 v96, 4, v31
	v_bfe_u32 v22, v31, 4, 4
	v_bfe_u32 v154, v31, 4, 1
	v_lshrrev_b32_e32 v97, 12, v31
	v_bfe_u32 v23, v31, 12, 4
	v_bfe_u32 v155, v31, 12, 1
	;; [unrolled: 3-line block ×3, first 2 shown]
	v_lshrrev_b32_e32 v103, 28, v31
	v_bfe_u32 v157, v31, 28, 1
	v_and_b32_e32 v58, 0xf0000000, v31
	v_not_b32_e32 v107, v31
	v_lshrrev_b32_e32 v108, 4, v32
	v_bfe_u32 v25, v32, 4, 4
	v_bfe_u32 v158, v32, 4, 1
	v_lshrrev_b32_e32 v109, 12, v32
	v_bfe_u32 v26, v32, 12, 4
	v_bfe_u32 v159, v32, 12, 1
	;; [unrolled: 3-line block ×3, first 2 shown]
	v_lshrrev_b32_e32 v116, 28, v32
	v_bfe_u32 v161, v32, 28, 1
	v_and_b32_e32 v31, 0xf0000000, v32
	v_not_b32_e32 v119, v32
	v_and_b32_e32 v32, 15, v35
	v_lshrrev_b32_e32 v45, 8, v30
	v_lshrrev_b32_e32 v43, 16, v30
	;; [unrolled: 1-line block ×4, first 2 shown]
	v_cmp_eq_u32_e64 s9, 0, v32
	v_cmp_lt_u32_e64 s0, 1, v32
	v_cmp_lt_u32_e64 s1, 3, v32
	;; [unrolled: 1-line block ×3, first 2 shown]
	v_and_b32_e32 v32, 16, v35
	v_lshrrev_b32_e32 v77, 16, v33
	v_lshrrev_b32_e32 v79, 24, v33
	v_and_b32_e32 v3, 15, v30
	v_and_b32_e32 v134, 1, v30
	v_cmp_eq_u32_e64 s3, 0, v32
	v_or_b32_e32 v32, 31, v1
	v_lshlrev_b32_e32 v56, 30, v30
	v_lshlrev_b32_e32 v55, 29, v30
	;; [unrolled: 1-line block ×3, first 2 shown]
	v_bfe_u32 v4, v30, 8, 4
	v_cmp_eq_u32_e64 s4, v32, v1
	v_bfe_u32 v32, v0, 10, 10
	v_bfe_u32 v0, v0, 20, 10
	;; [unrolled: 1-line block ×6, first 2 shown]
	v_mad_u32_u24 v59, v0, s5, v32
	v_bfe_u32 v137, v30, 24, 1
	v_and_b32_e32 v15, 15, v33
	v_and_b32_e32 v146, 1, v33
	v_lshlrev_b32_e32 v47, 30, v33
	v_lshlrev_b32_e32 v46, 29, v33
	;; [unrolled: 1-line block ×3, first 2 shown]
	v_bfe_u32 v16, v33, 8, 4
	v_bfe_u32 v147, v33, 8, 1
	v_bfe_u32 v17, v33, 16, 4
	v_bfe_u32 v148, v33, 16, 1
	v_bfe_u32 v18, v33, 24, 4
	v_bfe_u32 v149, v33, 24, 1
	v_lshrrev_b32_e32 v83, 4, v30
	v_bfe_u32 v19, v30, 4, 4
	v_bfe_u32 v150, v30, 4, 1
	v_lshrrev_b32_e32 v85, 12, v30
	v_bfe_u32 v20, v30, 12, 4
	v_bfe_u32 v151, v30, 12, 1
	;; [unrolled: 3-line block ×3, first 2 shown]
	v_lshrrev_b32_e32 v91, 28, v30
	v_bfe_u32 v153, v30, 28, 1
	v_and_b32_e32 v57, 0xf0000000, v30
	v_not_b32_e32 v95, v30
	v_lshrrev_b32_e32 v121, 4, v33
	v_bfe_u32 v28, v33, 4, 4
	v_bfe_u32 v162, v33, 4, 1
	v_lshrrev_b32_e32 v124, 12, v33
	v_bfe_u32 v29, v33, 12, 4
	v_bfe_u32 v163, v33, 12, 1
	v_lshrrev_b32_e32 v127, 20, v33
	v_bfe_u32 v30, v33, 20, 4
	v_bfe_u32 v164, v33, 20, 1
	v_lshrrev_b32_e32 v129, 28, v33
	v_bfe_u32 v165, v33, 28, 1
	v_and_b32_e32 v166, 0xf0000000, v33
	v_not_b32_e32 v131, v33
	v_cmp_gt_u32_e64 s5, 16, v1
	v_lshlrev_b32_e32 v0, 2, v1
	v_mad_u64_u32 v[32:33], null, v59, s7, v[1:2]
	v_add_nc_u32_e32 v1, -1, v35
	v_cmp_eq_u32_e64 s7, 0, v35
	v_mul_u32_u24_e32 v17, 17, v17
	v_mul_u32_u24_e32 v8, 17, v8
	;; [unrolled: 1-line block ×3, first 2 shown]
	v_cmp_gt_i32_e64 s8, 0, v1
	v_lshrrev_b32_e32 v33, 5, v32
	v_mul_u32_u24_e32 v32, 17, v10
	v_mul_u32_u24_e32 v59, 17, v14
	;; [unrolled: 1-line block ×3, first 2 shown]
	v_cndmask_b32_e64 v35, v1, v35, s8
	v_cmp_gt_i32_e64 s8, 0, v57
	v_mul_u32_u24_e32 v1, 17, v3
	v_mul_u32_u24_e32 v3, 17, v4
	v_mul_u32_u24_e32 v4, 17, v5
	v_mul_u32_u24_e32 v57, 17, v11
	v_writelane_b32 v201, s8, 4
	v_cmp_gt_i32_e64 s8, 0, v58
	v_mul_u32_u24_e32 v5, 17, v6
	v_mul_u32_u24_e32 v6, 17, v7
	v_mul_u32_u24_e32 v58, 17, v13
	v_mul_u32_u24_e32 v61, 17, v16
	v_writelane_b32 v201, s8, 5
	;; [unrolled: 6-line block ×3, first 2 shown]
	v_cmp_gt_i32_e64 s8, 0, v56
	v_mul_u32_u24_e32 v21, 17, v21
	v_mul_u32_u24_e32 v65, 17, v22
	;; [unrolled: 1-line block ×3, first 2 shown]
	v_writelane_b32 v201, s12, 7
	v_mul_u32_u24_e32 v67, 17, v24
	v_mul_u32_u24_e32 v25, 17, v25
	;; [unrolled: 1-line block ×4, first 2 shown]
	v_writelane_b32 v201, s13, 8
	v_mul_u32_u24_e32 v70, 17, v28
	v_mul_u32_u24_e32 v71, 17, v29
	;; [unrolled: 1-line block ×3, first 2 shown]
	v_add_lshl_u32 v10, v33, v4, 2
	v_writelane_b32 v201, s8, 9
	v_cmp_gt_i32_e64 s8, 0, v55
	v_add_lshl_u32 v18, v33, v57, 2
	v_add_lshl_u32 v26, v33, v17, 2
	v_mul_u32_u24_e32 v4, 17, v91
	v_mul_u32_u24_e32 v17, 17, v103
	v_writelane_b32 v201, s8, 10
	v_cmp_gt_i32_e64 s8, 0, v54
	v_mul_u32_u24_e32 v29, 17, v116
	v_mul_u32_u24_e32 v57, 17, v129
	v_add_lshl_u32 v7, v33, v1, 2
	v_add_lshl_u32 v9, v33, v3, 2
	v_writelane_b32 v201, s8, 11
	v_cmp_gt_i32_e64 s8, 0, v53
	v_add_lshl_u32 v11, v33, v5, 2
	v_add_lshl_u32 v13, v33, v6, 2
	v_add_lshl_u32 v14, v33, v8, 2
	v_add_lshl_u32 v15, v33, v31, 2
	v_writelane_b32 v201, s8, 12
	v_cmp_gt_i32_e64 s8, 0, v52
	v_add_lshl_u32 v16, v33, v32, 2
	v_add_lshl_u32 v19, v33, v12, 2
	v_add_lshl_u32 v20, v33, v58, 2
	v_add_lshl_u32 v22, v33, v59, 2
	v_writelane_b32 v201, s8, 13
	v_cmp_gt_i32_e64 s8, 0, v51
	v_add_lshl_u32 v23, v33, v60, 2
	v_add_lshl_u32 v24, v33, v61, 2
	v_add_lshl_u32 v27, v33, v62, 2
	v_add_lshl_u32 v1, v33, v63, 2
	v_writelane_b32 v201, s8, 14
	v_cmp_gt_i32_e64 s8, 0, v50
	v_add_lshl_u32 v3, v33, v64, 2
	v_add_lshl_u32 v5, v33, v21, 2
	v_add_lshl_u32 v6, v33, v4, 2
	v_add_lshl_u32 v4, v33, v65, 2
	v_writelane_b32 v201, s8, 15
	v_cmp_gt_i32_e64 s8, 0, v49
	v_add_lshl_u32 v8, v33, v66, 2
	v_add_lshl_u32 v12, v33, v67, 2
	v_add_lshl_u32 v17, v33, v17, 2
	v_add_lshl_u32 v21, v33, v25, 2
	v_writelane_b32 v201, s8, 16
	v_cmp_gt_i32_e64 s8, 0, v48
	v_add_lshl_u32 v25, v33, v68, 2
	v_add_lshl_u32 v28, v33, v69, 2
	v_add_lshl_u32 v29, v33, v29, 2
	v_add_lshl_u32 v30, v33, v70, 2
	v_writelane_b32 v201, s8, 17
	v_cmp_gt_i32_e64 s8, 0, v47
	v_add_lshl_u32 v31, v33, v71, 2
	v_add_lshl_u32 v32, v33, v72, 2
	v_add_lshl_u32 v33, v33, v57, 2
	v_lshlrev_b32_e32 v57, 30, v45
	v_writelane_b32 v201, s8, 18
	v_cmp_gt_i32_e64 s8, 0, v46
	v_lshlrev_b32_e32 v58, 29, v45
	v_lshlrev_b32_e32 v45, 28, v45
	v_lshlrev_b32_e32 v59, 30, v43
	v_lshlrev_b32_e32 v60, 29, v43
	v_writelane_b32 v201, s8, 19
	v_cmp_gt_i32_e64 s8, 0, v44
	v_lshlrev_b32_e32 v43, 28, v43
	v_lshlrev_b32_e32 v61, 30, v42
	v_lshlrev_b32_e32 v62, 29, v42
	;; [unrolled: 6-line block ×4, first 2 shown]
	v_lshlrev_b32_e32 v70, 29, v39
	v_writelane_b32 v201, s8, 22
	v_cmp_gt_i32_e64 s8, 0, v45
	v_lshlrev_b32_e32 v71, 28, v39
	v_not_b32_e32 v56, v56
	v_not_b32_e32 v55, v55
	v_lshlrev_b32_e32 v72, 30, v38
	v_writelane_b32 v201, s8, 23
	v_cmp_gt_i32_e64 s8, 0, v59
	v_lshlrev_b32_e32 v74, 29, v38
	v_lshlrev_b32_e32 v75, 28, v38
	v_lshlrev_b32_e32 v76, 30, v37
	v_lshlrev_b32_e32 v78, 29, v37
	v_writelane_b32 v201, s8, 24
	v_cmp_gt_i32_e64 s8, 0, v60
	v_lshlrev_b32_e32 v80, 28, v37
	v_lshlrev_b32_e32 v81, 30, v36
	v_not_b32_e32 v54, v54
	v_not_b32_e32 v49, v49
	v_writelane_b32 v201, s8, 25
	v_cmp_gt_i32_e64 s8, 0, v43
	v_not_b32_e32 v48, v48
	v_lshlrev_b32_e32 v82, 29, v36
	v_lshlrev_b32_e32 v84, 28, v36
	v_not_b32_e32 v47, v47
	v_writelane_b32 v201, s8, 26
	v_cmp_gt_i32_e64 s8, 0, v61
	v_not_b32_e32 v86, v46
	v_ashrrev_i32_e32 v36, 31, v56
	v_ashrrev_i32_e32 v37, 31, v55
	v_not_b32_e32 v46, v57
	v_writelane_b32 v201, s8, 27
	v_cmp_gt_i32_e64 s8, 0, v62
	v_not_b32_e32 v55, v45
	v_not_b32_e32 v56, v59
	;; [unrolled: 1-line block ×4, first 2 shown]
	v_writelane_b32 v201, s8, 28
	v_cmp_gt_i32_e64 s8, 0, v42
	v_not_b32_e32 v62, v63
	v_cmp_gt_i32_e64 s43, 0, v74
	v_cmp_gt_i32_e64 s44, 0, v75
	v_cmp_gt_i32_e64 s45, 0, v76
	v_writelane_b32 v201, s8, 29
	v_cmp_gt_i32_e64 s8, 0, v63
	v_not_b32_e32 v63, v64
	v_cmp_gt_i32_e64 s46, 0, v78
	v_cmp_gt_i32_e64 s47, 0, v80
	v_not_b32_e32 v51, v51
	v_writelane_b32 v201, s8, 30
	v_cmp_gt_i32_e64 s8, 0, v64
	v_not_b32_e32 v64, v65
	v_not_b32_e32 v50, v50
	;; [unrolled: 1-line block ×3, first 2 shown]
	v_ashrrev_i32_e32 v38, 31, v54
	v_writelane_b32 v201, s8, 31
	v_cmp_gt_i32_e64 s8, 0, v65
	v_not_b32_e32 v65, v66
	v_not_b32_e32 v54, v58
	v_not_b32_e32 v58, v43
	v_ashrrev_i32_e32 v43, 31, v49
	v_writelane_b32 v200, s8, 0
	v_cmp_gt_i32_e64 s8, 0, v66
	v_not_b32_e32 v66, v67
	v_ashrrev_i32_e32 v44, 31, v48
	v_cmp_gt_i32_e64 s48, 0, v81
	v_cmp_gt_i32_e64 s49, 0, v82
	v_writelane_b32 v200, s8, 1
	v_cmp_gt_i32_e64 s8, 0, v67
	v_not_b32_e32 v67, v68
	v_ashrrev_i32_e32 v45, 31, v47
	v_lshlrev_b32_e32 v47, 30, v73
	v_ashrrev_i32_e32 v48, 31, v55
	v_writelane_b32 v200, s8, 2
	v_cmp_gt_i32_e64 s8, 0, v68
	v_not_b32_e32 v68, v69
	v_ashrrev_i32_e32 v49, 31, v56
	v_ashrrev_i32_e32 v55, 31, v62
	;; [unrolled: 1-line block ×3, first 2 shown]
	v_writelane_b32 v200, s8, 3
	v_cmp_gt_i32_e64 s8, 0, v69
	v_not_b32_e32 v69, v70
	v_not_b32_e32 v53, v53
	;; [unrolled: 1-line block ×4, first 2 shown]
	v_writelane_b32 v200, s8, 4
	v_cmp_gt_i32_e64 s8, 0, v70
	v_not_b32_e32 v70, v71
	v_ashrrev_i32_e32 v62, 31, v69
	v_ashrrev_i32_e32 v41, 31, v51
	;; [unrolled: 1-line block ×3, first 2 shown]
	v_writelane_b32 v200, s8, 5
	v_cmp_gt_i32_e64 s8, 0, v71
	v_not_b32_e32 v71, v72
	v_ashrrev_i32_e32 v63, 31, v70
	v_cmp_gt_i32_e64 s50, 0, v84
	v_ashrrev_i32_e32 v50, 31, v57
	v_writelane_b32 v200, s8, 6
	v_cmp_gt_i32_e64 s8, 0, v72
	v_not_b32_e32 v72, v74
	v_not_b32_e32 v74, v75
	;; [unrolled: 1-line block ×9, first 2 shown]
	v_ashrrev_i32_e32 v69, 31, v78
	v_ashrrev_i32_e32 v70, 31, v80
	v_lshlrev_b32_e32 v78, 28, v73
	v_lshlrev_b32_e32 v80, 30, v77
	v_ashrrev_i32_e32 v51, 31, v58
	v_ashrrev_i32_e32 v57, 31, v64
	;; [unrolled: 1-line block ×7, first 2 shown]
	v_cmp_gt_i32_e64 s53, 0, v78
	v_not_b32_e32 v78, v78
	v_cmp_gt_i32_e64 s54, 0, v80
	v_not_b32_e32 v80, v80
	v_lshlrev_b32_e32 v81, 29, v77
	v_lshlrev_b32_e32 v82, 28, v77
	v_ashrrev_i32_e32 v39, 31, v53
	v_ashrrev_i32_e32 v53, 31, v60
	;; [unrolled: 1-line block ×7, first 2 shown]
	v_cmp_gt_i32_e64 s55, 0, v81
	v_not_b32_e32 v80, v81
	v_cmp_gt_i32_e64 s56, 0, v82
	v_not_b32_e32 v81, v82
	v_lshlrev_b32_e32 v82, 30, v79
	v_lshlrev_b32_e32 v84, 29, v79
	;; [unrolled: 1-line block ×3, first 2 shown]
	v_ashrrev_i32_e32 v73, 31, v86
	v_lshlrev_b32_e32 v86, 28, v79
	v_cmp_gt_i32_e64 s57, 0, v82
	v_not_b32_e32 v82, v82
	v_cmp_gt_i32_e64 s58, 0, v84
	v_not_b32_e32 v84, v84
	v_not_b32_e32 v52, v52
	v_ashrrev_i32_e32 v79, 31, v80
	v_ashrrev_i32_e32 v80, 31, v81
	;; [unrolled: 1-line block ×4, first 2 shown]
	v_cmp_gt_i32_e64 s59, 0, v86
	v_not_b32_e32 v84, v86
	v_lshlrev_b32_e32 v86, 30, v83
	v_ashrrev_i32_e32 v40, 31, v52
	v_cmp_gt_i32_e64 s51, 0, v47
	v_cmp_gt_i32_e64 s52, 0, v88
	v_ashrrev_i32_e32 v47, 31, v54
	v_ashrrev_i32_e32 v52, 31, v59
	v_ashrrev_i32_e32 v54, 31, v61
	v_ashrrev_i32_e32 v59, 31, v66
	v_ashrrev_i32_e32 v61, 31, v68
	v_ashrrev_i32_e32 v66, 31, v74
	v_ashrrev_i32_e32 v68, 31, v76
	v_not_b32_e32 v76, v88
	v_ashrrev_i32_e32 v74, 31, v87
	v_cmp_gt_i32_e64 s60, 0, v86
	v_not_b32_e32 v86, v86
	v_lshlrev_b32_e32 v87, 29, v83
	v_lshlrev_b32_e32 v88, 28, v83
	v_ashrrev_i32_e32 v83, 31, v84
	v_lshlrev_b32_e32 v89, 29, v85
	v_ashrrev_i32_e32 v84, 31, v86
	v_cmp_gt_i32_e64 s61, 0, v87
	v_not_b32_e32 v86, v87
	v_cmp_gt_i32_e64 s62, 0, v88
	v_not_b32_e32 v87, v88
	v_lshlrev_b32_e32 v88, 30, v85
	v_lshlrev_b32_e32 v85, 28, v85
	v_cmp_gt_i32_e64 s64, 0, v89
	v_not_b32_e32 v89, v89
	v_lshlrev_b32_e32 v93, 29, v90
	v_cmp_gt_i32_e64 s63, 0, v88
	v_not_b32_e32 v88, v88
	v_not_b32_e32 v92, v85
	v_cmp_gt_i32_e64 s65, 0, v85
	v_ashrrev_i32_e32 v85, 31, v86
	v_ashrrev_i32_e32 v86, 31, v87
	;; [unrolled: 1-line block ×5, first 2 shown]
	v_lshlrev_b32_e32 v92, 30, v90
	v_lshlrev_b32_e32 v90, 28, v90
	;; [unrolled: 1-line block ×4, first 2 shown]
	v_cmp_gt_i32_e64 s67, 0, v93
	v_cmp_gt_i32_e64 s66, 0, v92
	v_not_b32_e32 v92, v92
	v_not_b32_e32 v98, v90
	;; [unrolled: 1-line block ×3, first 2 shown]
	v_cmp_gt_i32_e64 s68, 0, v90
	v_cmp_gt_i32_e64 s69, 0, v94
	v_not_b32_e32 v94, v94
	v_not_b32_e32 v99, v91
	v_ashrrev_i32_e32 v90, 31, v92
	v_ashrrev_i32_e32 v92, 31, v98
	v_lshlrev_b32_e32 v98, 30, v96
	v_cmp_gt_i32_e64 s70, 0, v91
	v_ashrrev_i32_e32 v91, 31, v93
	v_ashrrev_i32_e32 v93, 31, v94
	;; [unrolled: 1-line block ×3, first 2 shown]
	v_cmp_gt_i32_e64 s71, 0, v98
	v_not_b32_e32 v98, v98
	v_lshlrev_b32_e32 v99, 29, v96
	v_lshlrev_b32_e32 v100, 28, v96
	;; [unrolled: 1-line block ×4, first 2 shown]
	v_ashrrev_i32_e32 v96, 31, v98
	v_cmp_gt_i32_e64 s72, 0, v99
	v_not_b32_e32 v98, v99
	v_cmp_gt_i32_e64 s73, 0, v100
	v_not_b32_e32 v99, v100
	v_lshlrev_b32_e32 v100, 30, v97
	v_lshlrev_b32_e32 v97, 28, v97
	v_cmp_gt_i32_e64 s75, 0, v101
	v_not_b32_e32 v101, v101
	v_lshlrev_b32_e32 v106, 30, v103
	v_cmp_gt_i32_e64 s74, 0, v100
	v_not_b32_e32 v100, v100
	v_not_b32_e32 v104, v97
	v_cmp_gt_i32_e64 s76, 0, v97
	v_ashrrev_i32_e32 v97, 31, v98
	v_ashrrev_i32_e32 v98, 31, v99
	;; [unrolled: 1-line block ×5, first 2 shown]
	v_lshlrev_b32_e32 v104, 30, v102
	v_lshlrev_b32_e32 v102, 28, v102
	;; [unrolled: 1-line block ×3, first 2 shown]
	v_cmp_gt_i32_e64 s78, 0, v105
	v_not_b32_e32 v105, v105
	v_cmp_gt_i32_e64 s77, 0, v104
	v_not_b32_e32 v104, v104
	v_not_b32_e32 v110, v102
	v_cmp_gt_i32_e64 s79, 0, v102
	v_cmp_gt_i32_e64 s80, 0, v106
	v_not_b32_e32 v106, v106
	v_not_b32_e32 v111, v103
	v_ashrrev_i32_e32 v102, 31, v104
	v_ashrrev_i32_e32 v104, 31, v110
	v_lshlrev_b32_e32 v110, 30, v108
	v_cmp_gt_i32_e64 s81, 0, v103
	v_ashrrev_i32_e32 v103, 31, v105
	v_ashrrev_i32_e32 v105, 31, v106
	;; [unrolled: 1-line block ×3, first 2 shown]
	v_cmp_gt_i32_e64 s82, 0, v110
	v_not_b32_e32 v110, v110
	v_lshlrev_b32_e32 v111, 29, v108
	v_lshlrev_b32_e32 v112, 28, v108
	;; [unrolled: 1-line block ×4, first 2 shown]
	v_ashrrev_i32_e32 v108, 31, v110
	v_cmp_gt_i32_e64 s83, 0, v111
	v_not_b32_e32 v110, v111
	v_cmp_gt_i32_e64 s84, 0, v112
	v_not_b32_e32 v111, v112
	v_lshlrev_b32_e32 v112, 30, v109
	v_lshlrev_b32_e32 v109, 28, v109
	v_cmp_gt_i32_e64 s86, 0, v113
	v_not_b32_e32 v113, v113
	v_lshlrev_b32_e32 v168, 28, v121
	v_cmp_gt_i32_e64 s85, 0, v112
	v_not_b32_e32 v112, v112
	v_cmp_gt_i32_e64 s87, 0, v109
	v_not_b32_e32 v114, v109
	v_ashrrev_i32_e32 v109, 31, v110
	v_ashrrev_i32_e32 v110, 31, v111
	;; [unrolled: 1-line block ×3, first 2 shown]
	v_lshlrev_b32_e32 v112, 30, v115
	v_lshlrev_b32_e32 v169, 30, v124
	;; [unrolled: 1-line block ×5, first 2 shown]
	v_cmp_gt_i32_e64 s88, 0, v112
	v_not_b32_e32 v117, v112
	v_lshlrev_b32_e32 v112, 29, v115
	v_lshlrev_b32_e32 v173, 29, v127
	;; [unrolled: 1-line block ×5, first 2 shown]
	v_not_b32_e32 v118, v112
	v_cmp_gt_i32_e64 s89, 0, v112
	v_ashrrev_i32_e32 v112, 31, v113
	v_ashrrev_i32_e32 v113, 31, v114
	;; [unrolled: 1-line block ×3, first 2 shown]
	v_lshlrev_b32_e32 v117, 28, v115
	v_ashrrev_i32_e32 v115, 31, v118
	v_lshlrev_b32_e32 v118, 30, v116
	v_lshlrev_b32_e32 v116, 29, v116
	v_not_b32_e32 v123, v169
	v_cmp_gt_i32_e64 s90, 0, v117
	v_not_b32_e32 v117, v117
	v_cmp_gt_i32_e64 s91, 0, v118
	v_cmp_gt_i32_e64 s92, 0, v116
	v_not_b32_e32 v120, v116
	v_lshlrev_b32_e32 v116, 30, v121
	v_not_b32_e32 v118, v118
	v_not_b32_e32 v121, v167
	;; [unrolled: 1-line block ×5, first 2 shown]
	v_cmp_gt_i32_e64 s93, 0, v116
	v_ashrrev_i32_e32 v116, 31, v117
	v_ashrrev_i32_e32 v117, 31, v118
	;; [unrolled: 1-line block ×4, first 2 shown]
	v_not_b32_e32 v122, v168
	v_not_b32_e32 v126, v172
	;; [unrolled: 1-line block ×6, first 2 shown]
	v_lshlrev_b32_e32 v35, 2, v35
	v_writelane_b32 v200, s8, 7
	v_ashrrev_i32_e32 v46, 31, v46
	v_ashrrev_i32_e32 v76, 31, v76
	;; [unrolled: 1-line block ×16, first 2 shown]
	v_cmp_gt_i32_e64 s94, 0, v167
	v_cmp_gt_i32_e64 s95, 0, v168
	;; [unrolled: 1-line block ×11, first 2 shown]
	v_add_co_u32 v134, s8, v134, -1
	v_add_co_u32 v135, s10, v135, -1
	;; [unrolled: 1-line block ×32, first 2 shown]
	s_branch .LBB86_2
.LBB86_1:                               ;   in Loop: Header=BB86_2 Depth=1
	s_or_b32 exec_lo, exec_lo, vcc_lo
	s_waitcnt lgkmcnt(0)
	v_add_nc_u32_e32 v197, v198, v197
	s_add_i32 s42, s42, -1
	s_delay_alu instid0(SALU_CYCLE_1)
	s_cmp_eq_u32 s42, 0
	ds_bpermute_b32 v197, v35, v197
	s_waitcnt lgkmcnt(0)
	v_cndmask_b32_e64 v197, v197, v198, s7
	ds_store_b32 v0, v197 offset:64
	s_waitcnt lgkmcnt(0)
	s_barrier
	buffer_gl0_inv
	s_cbranch_scc1 .LBB86_78
.LBB86_2:                               ; =>This Inner Loop Header: Depth=1
	v_readlane_b32 vcc_lo, v201, 9
	v_cndmask_b32_e64 v166, 0, 1, s8
	ds_store_b32 v0, v132 offset:64
	s_waitcnt lgkmcnt(0)
	s_barrier
	v_cndmask_b32_e64 v167, 0, 1, vcc_lo
	v_readlane_b32 vcc_lo, v201, 10
	v_cmp_ne_u32_e64 vcc_hi, 0, v166
	buffer_gl0_inv
	; wave barrier
	v_cndmask_b32_e64 v166, 0, 1, vcc_lo
	v_cmp_ne_u32_e32 vcc_lo, 0, v167
	v_xor_b32_e32 v167, vcc_hi, v134
	v_readlane_b32 vcc_hi, v201, 11
	s_delay_alu instid0(VALU_DEP_2) | instskip(NEXT) | instid1(VALU_DEP_2)
	v_and_b32_e32 v167, exec_lo, v167
	v_cndmask_b32_e64 v168, 0, 1, vcc_hi
	v_cmp_ne_u32_e64 vcc_hi, 0, v166
	v_xor_b32_e32 v166, vcc_lo, v36
	s_delay_alu instid0(VALU_DEP_3) | instskip(NEXT) | instid1(VALU_DEP_2)
	v_cmp_ne_u32_e32 vcc_lo, 0, v168
	v_and_b32_e32 v166, v167, v166
	s_delay_alu instid0(VALU_DEP_4) | instskip(SKIP_1) | instid1(VALU_DEP_2)
	v_xor_b32_e32 v168, vcc_hi, v37
	v_xor_b32_e32 v167, vcc_lo, v38
	v_and_b32_e32 v166, v166, v168
	s_delay_alu instid0(VALU_DEP_1) | instskip(NEXT) | instid1(VALU_DEP_1)
	v_and_b32_e32 v166, v166, v167
	v_mbcnt_lo_u32_b32 v167, v166, 0
	s_delay_alu instid0(VALU_DEP_1) | instskip(SKIP_1) | instid1(VALU_DEP_1)
	v_cmp_eq_u32_e32 vcc_lo, 0, v167
	v_cmp_ne_u32_e64 vcc_hi, 0, v166
	s_and_b32 vcc_hi, vcc_hi, vcc_lo
	s_delay_alu instid0(SALU_CYCLE_1)
	s_and_saveexec_b32 vcc_lo, vcc_hi
	s_cbranch_execz .LBB86_4
; %bb.3:                                ;   in Loop: Header=BB86_2 Depth=1
	v_bcnt_u32_b32 v166, v166, 0
	ds_store_b32 v7, v166 offset:64
.LBB86_4:                               ;   in Loop: Header=BB86_2 Depth=1
	s_or_b32 exec_lo, exec_lo, vcc_lo
	v_cndmask_b32_e64 v166, 0, 1, s10
	v_readlane_b32 vcc_lo, v201, 21
	; wave barrier
	s_delay_alu instid0(VALU_DEP_1) | instskip(NEXT) | instid1(VALU_DEP_3)
	v_cndmask_b32_e64 v167, 0, 1, vcc_lo
	v_cmp_ne_u32_e32 vcc_lo, 0, v166
	v_readlane_b32 vcc_hi, v201, 22
	s_delay_alu instid0(VALU_DEP_1) | instskip(NEXT) | instid1(VALU_DEP_4)
	v_cndmask_b32_e64 v166, 0, 1, vcc_hi
	v_cmp_ne_u32_e64 vcc_hi, 0, v167
	v_xor_b32_e32 v167, vcc_lo, v135
	v_readlane_b32 vcc_lo, v201, 23
	s_delay_alu instid0(VALU_DEP_2) | instskip(NEXT) | instid1(VALU_DEP_2)
	v_and_b32_e32 v167, exec_lo, v167
	v_cndmask_b32_e64 v168, 0, 1, vcc_lo
	v_cmp_ne_u32_e32 vcc_lo, 0, v166
	v_xor_b32_e32 v166, vcc_hi, v46
	s_delay_alu instid0(VALU_DEP_3) | instskip(SKIP_1) | instid1(VALU_DEP_3)
	v_cmp_ne_u32_e64 vcc_hi, 0, v168
	v_xor_b32_e32 v168, vcc_lo, v47
	v_and_b32_e32 v166, v167, v166
	s_delay_alu instid0(VALU_DEP_3) | instskip(NEXT) | instid1(VALU_DEP_2)
	v_xor_b32_e32 v167, vcc_hi, v48
	v_and_b32_e32 v168, v166, v168
	ds_load_b32 v166, v9 offset:64
	; wave barrier
	v_and_b32_e32 v167, v168, v167
	s_delay_alu instid0(VALU_DEP_1) | instskip(NEXT) | instid1(VALU_DEP_1)
	v_mbcnt_lo_u32_b32 v168, v167, 0
	v_cmp_eq_u32_e32 vcc_lo, 0, v168
	v_cmp_ne_u32_e64 vcc_hi, 0, v167
	s_delay_alu instid0(VALU_DEP_1) | instskip(NEXT) | instid1(SALU_CYCLE_1)
	s_and_b32 vcc_hi, vcc_hi, vcc_lo
	s_and_saveexec_b32 vcc_lo, vcc_hi
	s_cbranch_execz .LBB86_6
; %bb.5:                                ;   in Loop: Header=BB86_2 Depth=1
	s_waitcnt lgkmcnt(0)
	v_bcnt_u32_b32 v166, v167, v166
	ds_store_b32 v9, v166 offset:64
.LBB86_6:                               ;   in Loop: Header=BB86_2 Depth=1
	s_or_b32 exec_lo, exec_lo, vcc_lo
	s_waitcnt lgkmcnt(0)
	v_cndmask_b32_e64 v166, 0, 1, s11
	v_readlane_b32 vcc_lo, v201, 24
	; wave barrier
	s_delay_alu instid0(VALU_DEP_1) | instskip(NEXT) | instid1(VALU_DEP_3)
	v_cndmask_b32_e64 v167, 0, 1, vcc_lo
	v_cmp_ne_u32_e32 vcc_lo, 0, v166
	v_readlane_b32 vcc_hi, v201, 25
	s_delay_alu instid0(VALU_DEP_1) | instskip(NEXT) | instid1(VALU_DEP_4)
	v_cndmask_b32_e64 v166, 0, 1, vcc_hi
	v_cmp_ne_u32_e64 vcc_hi, 0, v167
	v_xor_b32_e32 v167, vcc_lo, v136
	v_readlane_b32 vcc_lo, v201, 26
	s_delay_alu instid0(VALU_DEP_2) | instskip(NEXT) | instid1(VALU_DEP_2)
	v_and_b32_e32 v167, exec_lo, v167
	v_cndmask_b32_e64 v168, 0, 1, vcc_lo
	v_cmp_ne_u32_e32 vcc_lo, 0, v166
	v_xor_b32_e32 v166, vcc_hi, v49
	s_delay_alu instid0(VALU_DEP_3) | instskip(SKIP_1) | instid1(VALU_DEP_3)
	v_cmp_ne_u32_e64 vcc_hi, 0, v168
	v_xor_b32_e32 v168, vcc_lo, v50
	v_and_b32_e32 v166, v167, v166
	s_delay_alu instid0(VALU_DEP_3) | instskip(NEXT) | instid1(VALU_DEP_2)
	v_xor_b32_e32 v167, vcc_hi, v51
	v_and_b32_e32 v168, v166, v168
	ds_load_b32 v166, v10 offset:64
	; wave barrier
	v_and_b32_e32 v167, v168, v167
	s_delay_alu instid0(VALU_DEP_1) | instskip(NEXT) | instid1(VALU_DEP_1)
	v_mbcnt_lo_u32_b32 v168, v167, 0
	v_cmp_eq_u32_e32 vcc_lo, 0, v168
	v_cmp_ne_u32_e64 vcc_hi, 0, v167
	s_delay_alu instid0(VALU_DEP_1) | instskip(NEXT) | instid1(SALU_CYCLE_1)
	s_and_b32 vcc_hi, vcc_hi, vcc_lo
	s_and_saveexec_b32 vcc_lo, vcc_hi
	s_cbranch_execz .LBB86_8
; %bb.7:                                ;   in Loop: Header=BB86_2 Depth=1
	s_waitcnt lgkmcnt(0)
	v_bcnt_u32_b32 v166, v167, v166
	ds_store_b32 v10, v166 offset:64
.LBB86_8:                               ;   in Loop: Header=BB86_2 Depth=1
	s_or_b32 exec_lo, exec_lo, vcc_lo
	s_waitcnt lgkmcnt(0)
	v_cndmask_b32_e64 v166, 0, 1, s12
	v_readlane_b32 vcc_lo, v201, 27
	; wave barrier
	s_delay_alu instid0(VALU_DEP_1) | instskip(NEXT) | instid1(VALU_DEP_3)
	v_cndmask_b32_e64 v167, 0, 1, vcc_lo
	v_cmp_ne_u32_e32 vcc_lo, 0, v166
	v_readlane_b32 vcc_hi, v201, 28
	s_delay_alu instid0(VALU_DEP_1) | instskip(NEXT) | instid1(VALU_DEP_4)
	v_cndmask_b32_e64 v166, 0, 1, vcc_hi
	v_cmp_ne_u32_e64 vcc_hi, 0, v167
	v_xor_b32_e32 v167, vcc_lo, v137
	v_readlane_b32 vcc_lo, v201, 29
	s_delay_alu instid0(VALU_DEP_2) | instskip(NEXT) | instid1(VALU_DEP_2)
	v_and_b32_e32 v167, exec_lo, v167
	v_cndmask_b32_e64 v168, 0, 1, vcc_lo
	v_cmp_ne_u32_e32 vcc_lo, 0, v166
	v_xor_b32_e32 v166, vcc_hi, v52
	s_delay_alu instid0(VALU_DEP_3) | instskip(SKIP_1) | instid1(VALU_DEP_3)
	v_cmp_ne_u32_e64 vcc_hi, 0, v168
	v_xor_b32_e32 v168, vcc_lo, v53
	v_and_b32_e32 v166, v167, v166
	s_delay_alu instid0(VALU_DEP_3) | instskip(NEXT) | instid1(VALU_DEP_2)
	v_xor_b32_e32 v167, vcc_hi, v54
	v_and_b32_e32 v168, v166, v168
	ds_load_b32 v166, v11 offset:64
	; wave barrier
	v_and_b32_e32 v167, v168, v167
	s_delay_alu instid0(VALU_DEP_1) | instskip(NEXT) | instid1(VALU_DEP_1)
	v_mbcnt_lo_u32_b32 v168, v167, 0
	v_cmp_eq_u32_e32 vcc_lo, 0, v168
	v_cmp_ne_u32_e64 vcc_hi, 0, v167
	s_delay_alu instid0(VALU_DEP_1) | instskip(NEXT) | instid1(SALU_CYCLE_1)
	s_and_b32 vcc_hi, vcc_hi, vcc_lo
	s_and_saveexec_b32 vcc_lo, vcc_hi
	s_cbranch_execz .LBB86_10
; %bb.9:                                ;   in Loop: Header=BB86_2 Depth=1
	s_waitcnt lgkmcnt(0)
	v_bcnt_u32_b32 v166, v167, v166
	ds_store_b32 v11, v166 offset:64
.LBB86_10:                              ;   in Loop: Header=BB86_2 Depth=1
	s_or_b32 exec_lo, exec_lo, vcc_lo
	s_waitcnt lgkmcnt(0)
	v_cndmask_b32_e64 v166, 0, 1, s13
	v_readlane_b32 vcc_lo, v201, 12
	; wave barrier
	s_delay_alu instid0(VALU_DEP_1) | instskip(NEXT) | instid1(VALU_DEP_3)
	v_cndmask_b32_e64 v167, 0, 1, vcc_lo
	v_cmp_ne_u32_e32 vcc_lo, 0, v166
	v_readlane_b32 vcc_hi, v201, 13
	s_delay_alu instid0(VALU_DEP_1) | instskip(NEXT) | instid1(VALU_DEP_4)
	v_cndmask_b32_e64 v166, 0, 1, vcc_hi
	v_cmp_ne_u32_e64 vcc_hi, 0, v167
	v_xor_b32_e32 v167, vcc_lo, v138
	v_readlane_b32 vcc_lo, v201, 14
	s_delay_alu instid0(VALU_DEP_2) | instskip(NEXT) | instid1(VALU_DEP_2)
	v_and_b32_e32 v167, exec_lo, v167
	v_cndmask_b32_e64 v168, 0, 1, vcc_lo
	v_cmp_ne_u32_e32 vcc_lo, 0, v166
	v_xor_b32_e32 v166, vcc_hi, v39
	s_delay_alu instid0(VALU_DEP_3) | instskip(SKIP_1) | instid1(VALU_DEP_3)
	v_cmp_ne_u32_e64 vcc_hi, 0, v168
	v_xor_b32_e32 v168, vcc_lo, v40
	v_and_b32_e32 v166, v167, v166
	s_delay_alu instid0(VALU_DEP_3) | instskip(NEXT) | instid1(VALU_DEP_2)
	v_xor_b32_e32 v167, vcc_hi, v41
	v_and_b32_e32 v168, v166, v168
	ds_load_b32 v166, v13 offset:64
	; wave barrier
	v_and_b32_e32 v167, v168, v167
	s_delay_alu instid0(VALU_DEP_1) | instskip(NEXT) | instid1(VALU_DEP_1)
	v_mbcnt_lo_u32_b32 v168, v167, 0
	v_cmp_eq_u32_e32 vcc_lo, 0, v168
	v_cmp_ne_u32_e64 vcc_hi, 0, v167
	s_delay_alu instid0(VALU_DEP_1) | instskip(NEXT) | instid1(SALU_CYCLE_1)
	s_and_b32 vcc_hi, vcc_hi, vcc_lo
	s_and_saveexec_b32 vcc_lo, vcc_hi
	s_cbranch_execz .LBB86_12
; %bb.11:                               ;   in Loop: Header=BB86_2 Depth=1
	s_waitcnt lgkmcnt(0)
	v_bcnt_u32_b32 v166, v167, v166
	ds_store_b32 v13, v166 offset:64
.LBB86_12:                              ;   in Loop: Header=BB86_2 Depth=1
	s_or_b32 exec_lo, exec_lo, vcc_lo
	s_waitcnt lgkmcnt(0)
	v_cndmask_b32_e64 v166, 0, 1, s14
	v_readlane_b32 vcc_lo, v201, 30
	; wave barrier
	s_delay_alu instid0(VALU_DEP_1) | instskip(NEXT) | instid1(VALU_DEP_3)
	v_cndmask_b32_e64 v167, 0, 1, vcc_lo
	v_cmp_ne_u32_e32 vcc_lo, 0, v166
	v_readlane_b32 vcc_hi, v201, 31
	s_delay_alu instid0(VALU_DEP_1) | instskip(NEXT) | instid1(VALU_DEP_4)
	v_cndmask_b32_e64 v166, 0, 1, vcc_hi
	v_cmp_ne_u32_e64 vcc_hi, 0, v167
	v_xor_b32_e32 v167, vcc_lo, v139
	v_readlane_b32 vcc_lo, v200, 0
	s_delay_alu instid0(VALU_DEP_2) | instskip(NEXT) | instid1(VALU_DEP_2)
	v_and_b32_e32 v167, exec_lo, v167
	v_cndmask_b32_e64 v168, 0, 1, vcc_lo
	v_cmp_ne_u32_e32 vcc_lo, 0, v166
	v_xor_b32_e32 v166, vcc_hi, v55
	s_delay_alu instid0(VALU_DEP_3) | instskip(SKIP_1) | instid1(VALU_DEP_3)
	v_cmp_ne_u32_e64 vcc_hi, 0, v168
	v_xor_b32_e32 v168, vcc_lo, v56
	v_and_b32_e32 v166, v167, v166
	s_delay_alu instid0(VALU_DEP_3) | instskip(NEXT) | instid1(VALU_DEP_2)
	v_xor_b32_e32 v167, vcc_hi, v57
	v_and_b32_e32 v168, v166, v168
	ds_load_b32 v166, v14 offset:64
	; wave barrier
	v_and_b32_e32 v167, v168, v167
	s_delay_alu instid0(VALU_DEP_1) | instskip(NEXT) | instid1(VALU_DEP_1)
	v_mbcnt_lo_u32_b32 v168, v167, 0
	v_cmp_eq_u32_e32 vcc_lo, 0, v168
	v_cmp_ne_u32_e64 vcc_hi, 0, v167
	s_delay_alu instid0(VALU_DEP_1) | instskip(NEXT) | instid1(SALU_CYCLE_1)
	s_and_b32 vcc_hi, vcc_hi, vcc_lo
	s_and_saveexec_b32 vcc_lo, vcc_hi
	s_cbranch_execz .LBB86_14
; %bb.13:                               ;   in Loop: Header=BB86_2 Depth=1
	s_waitcnt lgkmcnt(0)
	v_bcnt_u32_b32 v166, v167, v166
	ds_store_b32 v14, v166 offset:64
.LBB86_14:                              ;   in Loop: Header=BB86_2 Depth=1
	;; [unrolled: 42-line block ×5, first 2 shown]
	s_or_b32 exec_lo, exec_lo, vcc_lo
	v_readlane_b32 vcc_lo, v200, 7
	s_waitcnt lgkmcnt(0)
	v_cndmask_b32_e64 v166, 0, 1, s18
	v_cndmask_b32_e64 v168, 0, 1, s44
	; wave barrier
	s_delay_alu instid0(VALU_DEP_3) | instskip(NEXT) | instid1(VALU_DEP_3)
	v_cndmask_b32_e64 v167, 0, 1, vcc_lo
	v_cmp_ne_u32_e32 vcc_lo, 0, v166
	v_cndmask_b32_e64 v166, 0, 1, s43
	s_delay_alu instid0(VALU_DEP_3) | instskip(SKIP_1) | instid1(VALU_DEP_3)
	v_cmp_ne_u32_e64 vcc_hi, 0, v167
	v_xor_b32_e32 v167, vcc_lo, v143
	v_cmp_ne_u32_e32 vcc_lo, 0, v166
	s_delay_alu instid0(VALU_DEP_2) | instskip(NEXT) | instid1(VALU_DEP_4)
	v_and_b32_e32 v167, exec_lo, v167
	v_xor_b32_e32 v166, vcc_hi, v64
	v_cmp_ne_u32_e64 vcc_hi, 0, v168
	v_xor_b32_e32 v168, vcc_lo, v65
	s_delay_alu instid0(VALU_DEP_3) | instskip(NEXT) | instid1(VALU_DEP_3)
	v_and_b32_e32 v166, v167, v166
	v_xor_b32_e32 v167, vcc_hi, v66
	s_delay_alu instid0(VALU_DEP_2) | instskip(SKIP_2) | instid1(VALU_DEP_1)
	v_and_b32_e32 v168, v166, v168
	ds_load_b32 v166, v19 offset:64
	; wave barrier
	v_and_b32_e32 v167, v168, v167
	v_mbcnt_lo_u32_b32 v168, v167, 0
	s_delay_alu instid0(VALU_DEP_1) | instskip(SKIP_1) | instid1(VALU_DEP_1)
	v_cmp_eq_u32_e32 vcc_lo, 0, v168
	v_cmp_ne_u32_e64 vcc_hi, 0, v167
	s_and_b32 vcc_hi, vcc_hi, vcc_lo
	s_delay_alu instid0(SALU_CYCLE_1)
	s_and_saveexec_b32 vcc_lo, vcc_hi
	s_cbranch_execz .LBB86_22
; %bb.21:                               ;   in Loop: Header=BB86_2 Depth=1
	s_waitcnt lgkmcnt(0)
	v_bcnt_u32_b32 v166, v167, v166
	ds_store_b32 v19, v166 offset:64
.LBB86_22:                              ;   in Loop: Header=BB86_2 Depth=1
	s_or_b32 exec_lo, exec_lo, vcc_lo
	s_waitcnt lgkmcnt(0)
	v_cndmask_b32_e64 v166, 0, 1, s19
	v_cndmask_b32_e64 v167, 0, 1, s45
	;; [unrolled: 1-line block ×3, first 2 shown]
	; wave barrier
	s_delay_alu instid0(VALU_DEP_3) | instskip(SKIP_1) | instid1(VALU_DEP_4)
	v_cmp_ne_u32_e32 vcc_lo, 0, v166
	v_cndmask_b32_e64 v166, 0, 1, s46
	v_cmp_ne_u32_e64 vcc_hi, 0, v167
	v_xor_b32_e32 v167, vcc_lo, v144
	s_delay_alu instid0(VALU_DEP_3) | instskip(NEXT) | instid1(VALU_DEP_2)
	v_cmp_ne_u32_e32 vcc_lo, 0, v166
	v_and_b32_e32 v167, exec_lo, v167
	s_delay_alu instid0(VALU_DEP_4) | instskip(SKIP_2) | instid1(VALU_DEP_3)
	v_xor_b32_e32 v166, vcc_hi, v67
	v_cmp_ne_u32_e64 vcc_hi, 0, v168
	v_xor_b32_e32 v168, vcc_lo, v68
	v_and_b32_e32 v166, v167, v166
	s_delay_alu instid0(VALU_DEP_3) | instskip(NEXT) | instid1(VALU_DEP_2)
	v_xor_b32_e32 v167, vcc_hi, v69
	v_and_b32_e32 v168, v166, v168
	ds_load_b32 v166, v20 offset:64
	; wave barrier
	v_and_b32_e32 v167, v168, v167
	s_delay_alu instid0(VALU_DEP_1) | instskip(NEXT) | instid1(VALU_DEP_1)
	v_mbcnt_lo_u32_b32 v168, v167, 0
	v_cmp_eq_u32_e32 vcc_lo, 0, v168
	v_cmp_ne_u32_e64 vcc_hi, 0, v167
	s_delay_alu instid0(VALU_DEP_1) | instskip(NEXT) | instid1(SALU_CYCLE_1)
	s_and_b32 vcc_hi, vcc_hi, vcc_lo
	s_and_saveexec_b32 vcc_lo, vcc_hi
	s_cbranch_execz .LBB86_24
; %bb.23:                               ;   in Loop: Header=BB86_2 Depth=1
	s_waitcnt lgkmcnt(0)
	v_bcnt_u32_b32 v166, v167, v166
	ds_store_b32 v20, v166 offset:64
.LBB86_24:                              ;   in Loop: Header=BB86_2 Depth=1
	s_or_b32 exec_lo, exec_lo, vcc_lo
	s_waitcnt lgkmcnt(0)
	v_cndmask_b32_e64 v166, 0, 1, s20
	v_cndmask_b32_e64 v167, 0, 1, s48
	;; [unrolled: 1-line block ×3, first 2 shown]
	; wave barrier
	s_delay_alu instid0(VALU_DEP_3) | instskip(SKIP_1) | instid1(VALU_DEP_4)
	v_cmp_ne_u32_e32 vcc_lo, 0, v166
	v_cndmask_b32_e64 v166, 0, 1, s49
	v_cmp_ne_u32_e64 vcc_hi, 0, v167
	v_xor_b32_e32 v167, vcc_lo, v145
	s_delay_alu instid0(VALU_DEP_3) | instskip(NEXT) | instid1(VALU_DEP_2)
	v_cmp_ne_u32_e32 vcc_lo, 0, v166
	v_and_b32_e32 v167, exec_lo, v167
	s_delay_alu instid0(VALU_DEP_4) | instskip(SKIP_2) | instid1(VALU_DEP_3)
	v_xor_b32_e32 v166, vcc_hi, v70
	v_cmp_ne_u32_e64 vcc_hi, 0, v168
	v_xor_b32_e32 v168, vcc_lo, v71
	v_and_b32_e32 v166, v167, v166
	s_delay_alu instid0(VALU_DEP_3) | instskip(NEXT) | instid1(VALU_DEP_2)
	v_xor_b32_e32 v167, vcc_hi, v72
	v_and_b32_e32 v168, v166, v168
	ds_load_b32 v166, v22 offset:64
	; wave barrier
	v_and_b32_e32 v167, v168, v167
	s_delay_alu instid0(VALU_DEP_1) | instskip(NEXT) | instid1(VALU_DEP_1)
	v_mbcnt_lo_u32_b32 v168, v167, 0
	v_cmp_eq_u32_e32 vcc_lo, 0, v168
	v_cmp_ne_u32_e64 vcc_hi, 0, v167
	s_delay_alu instid0(VALU_DEP_1) | instskip(NEXT) | instid1(SALU_CYCLE_1)
	s_and_b32 vcc_hi, vcc_hi, vcc_lo
	s_and_saveexec_b32 vcc_lo, vcc_hi
	s_cbranch_execz .LBB86_26
; %bb.25:                               ;   in Loop: Header=BB86_2 Depth=1
	s_waitcnt lgkmcnt(0)
	v_bcnt_u32_b32 v166, v167, v166
	ds_store_b32 v22, v166 offset:64
.LBB86_26:                              ;   in Loop: Header=BB86_2 Depth=1
	s_or_b32 exec_lo, exec_lo, vcc_lo
	s_waitcnt lgkmcnt(0)
	v_cndmask_b32_e64 v166, 0, 1, s21
	v_readlane_b32 vcc_lo, v201, 18
	; wave barrier
	s_delay_alu instid0(VALU_DEP_1) | instskip(NEXT) | instid1(VALU_DEP_3)
	v_cndmask_b32_e64 v167, 0, 1, vcc_lo
	v_cmp_ne_u32_e32 vcc_lo, 0, v166
	v_readlane_b32 vcc_hi, v201, 19
	s_delay_alu instid0(VALU_DEP_1) | instskip(NEXT) | instid1(VALU_DEP_4)
	v_cndmask_b32_e64 v166, 0, 1, vcc_hi
	v_cmp_ne_u32_e64 vcc_hi, 0, v167
	v_xor_b32_e32 v167, vcc_lo, v146
	v_readlane_b32 vcc_lo, v201, 20
	s_delay_alu instid0(VALU_DEP_2) | instskip(NEXT) | instid1(VALU_DEP_2)
	v_and_b32_e32 v167, exec_lo, v167
	v_cndmask_b32_e64 v168, 0, 1, vcc_lo
	v_cmp_ne_u32_e32 vcc_lo, 0, v166
	v_xor_b32_e32 v166, vcc_hi, v45
	s_delay_alu instid0(VALU_DEP_3) | instskip(SKIP_1) | instid1(VALU_DEP_3)
	v_cmp_ne_u32_e64 vcc_hi, 0, v168
	v_xor_b32_e32 v168, vcc_lo, v73
	v_and_b32_e32 v166, v167, v166
	s_delay_alu instid0(VALU_DEP_3) | instskip(NEXT) | instid1(VALU_DEP_2)
	v_xor_b32_e32 v167, vcc_hi, v74
	v_and_b32_e32 v168, v166, v168
	ds_load_b32 v166, v23 offset:64
	; wave barrier
	v_and_b32_e32 v167, v168, v167
	s_delay_alu instid0(VALU_DEP_1) | instskip(NEXT) | instid1(VALU_DEP_1)
	v_mbcnt_lo_u32_b32 v168, v167, 0
	v_cmp_eq_u32_e32 vcc_lo, 0, v168
	v_cmp_ne_u32_e64 vcc_hi, 0, v167
	s_delay_alu instid0(VALU_DEP_1) | instskip(NEXT) | instid1(SALU_CYCLE_1)
	s_and_b32 vcc_hi, vcc_hi, vcc_lo
	s_and_saveexec_b32 vcc_lo, vcc_hi
	s_cbranch_execz .LBB86_28
; %bb.27:                               ;   in Loop: Header=BB86_2 Depth=1
	s_waitcnt lgkmcnt(0)
	v_bcnt_u32_b32 v166, v167, v166
	ds_store_b32 v23, v166 offset:64
.LBB86_28:                              ;   in Loop: Header=BB86_2 Depth=1
	s_or_b32 exec_lo, exec_lo, vcc_lo
	s_waitcnt lgkmcnt(0)
	v_cndmask_b32_e64 v166, 0, 1, s22
	v_cndmask_b32_e64 v167, 0, 1, s51
	v_cndmask_b32_e64 v168, 0, 1, s53
	; wave barrier
	s_delay_alu instid0(VALU_DEP_3) | instskip(SKIP_1) | instid1(VALU_DEP_4)
	v_cmp_ne_u32_e32 vcc_lo, 0, v166
	v_cndmask_b32_e64 v166, 0, 1, s52
	v_cmp_ne_u32_e64 vcc_hi, 0, v167
	v_xor_b32_e32 v167, vcc_lo, v147
	s_delay_alu instid0(VALU_DEP_3) | instskip(NEXT) | instid1(VALU_DEP_2)
	v_cmp_ne_u32_e32 vcc_lo, 0, v166
	v_and_b32_e32 v167, exec_lo, v167
	s_delay_alu instid0(VALU_DEP_4) | instskip(SKIP_2) | instid1(VALU_DEP_3)
	v_xor_b32_e32 v166, vcc_hi, v75
	v_cmp_ne_u32_e64 vcc_hi, 0, v168
	v_xor_b32_e32 v168, vcc_lo, v76
	v_and_b32_e32 v166, v167, v166
	s_delay_alu instid0(VALU_DEP_3) | instskip(NEXT) | instid1(VALU_DEP_2)
	v_xor_b32_e32 v167, vcc_hi, v77
	v_and_b32_e32 v168, v166, v168
	ds_load_b32 v166, v24 offset:64
	; wave barrier
	v_and_b32_e32 v167, v168, v167
	s_delay_alu instid0(VALU_DEP_1) | instskip(NEXT) | instid1(VALU_DEP_1)
	v_mbcnt_lo_u32_b32 v168, v167, 0
	v_cmp_eq_u32_e32 vcc_lo, 0, v168
	v_cmp_ne_u32_e64 vcc_hi, 0, v167
	s_delay_alu instid0(VALU_DEP_1) | instskip(NEXT) | instid1(SALU_CYCLE_1)
	s_and_b32 vcc_hi, vcc_hi, vcc_lo
	s_and_saveexec_b32 vcc_lo, vcc_hi
	s_cbranch_execz .LBB86_30
; %bb.29:                               ;   in Loop: Header=BB86_2 Depth=1
	s_waitcnt lgkmcnt(0)
	v_bcnt_u32_b32 v166, v167, v166
	ds_store_b32 v24, v166 offset:64
.LBB86_30:                              ;   in Loop: Header=BB86_2 Depth=1
	s_or_b32 exec_lo, exec_lo, vcc_lo
	s_waitcnt lgkmcnt(0)
	v_cndmask_b32_e64 v166, 0, 1, s23
	v_cndmask_b32_e64 v167, 0, 1, s54
	v_cndmask_b32_e64 v168, 0, 1, s56
	; wave barrier
	s_delay_alu instid0(VALU_DEP_3) | instskip(SKIP_1) | instid1(VALU_DEP_4)
	v_cmp_ne_u32_e32 vcc_lo, 0, v166
	v_cndmask_b32_e64 v166, 0, 1, s55
	v_cmp_ne_u32_e64 vcc_hi, 0, v167
	v_xor_b32_e32 v167, vcc_lo, v148
	s_delay_alu instid0(VALU_DEP_3) | instskip(NEXT) | instid1(VALU_DEP_2)
	v_cmp_ne_u32_e32 vcc_lo, 0, v166
	v_and_b32_e32 v167, exec_lo, v167
	s_delay_alu instid0(VALU_DEP_4) | instskip(SKIP_2) | instid1(VALU_DEP_3)
	v_xor_b32_e32 v166, vcc_hi, v78
	;; [unrolled: 38-line block ×3, first 2 shown]
	v_cmp_ne_u32_e64 vcc_hi, 0, v168
	v_xor_b32_e32 v168, vcc_lo, v82
	v_and_b32_e32 v166, v167, v166
	s_delay_alu instid0(VALU_DEP_3) | instskip(NEXT) | instid1(VALU_DEP_2)
	v_xor_b32_e32 v167, vcc_hi, v83
	v_and_b32_e32 v168, v166, v168
	ds_load_b32 v166, v27 offset:64
	; wave barrier
	v_and_b32_e32 v167, v168, v167
	s_delay_alu instid0(VALU_DEP_1) | instskip(NEXT) | instid1(VALU_DEP_1)
	v_mbcnt_lo_u32_b32 v168, v167, 0
	v_cmp_eq_u32_e32 vcc_lo, 0, v168
	v_cmp_ne_u32_e64 vcc_hi, 0, v167
	s_delay_alu instid0(VALU_DEP_1) | instskip(NEXT) | instid1(SALU_CYCLE_1)
	s_and_b32 vcc_hi, vcc_hi, vcc_lo
	s_and_saveexec_b32 vcc_lo, vcc_hi
	s_cbranch_execz .LBB86_34
; %bb.33:                               ;   in Loop: Header=BB86_2 Depth=1
	s_waitcnt lgkmcnt(0)
	v_bcnt_u32_b32 v166, v167, v166
	ds_store_b32 v27, v166 offset:64
.LBB86_34:                              ;   in Loop: Header=BB86_2 Depth=1
	s_or_b32 exec_lo, exec_lo, vcc_lo
	; wave barrier
	s_waitcnt lgkmcnt(0)
	s_barrier
	buffer_gl0_inv
	ds_load_b32 v166, v0 offset:64
	s_waitcnt lgkmcnt(0)
	v_mov_b32_dpp v167, v166 row_shr:1 row_mask:0xf bank_mask:0xf
	s_delay_alu instid0(VALU_DEP_1) | instskip(NEXT) | instid1(VALU_DEP_1)
	v_cndmask_b32_e64 v167, v167, 0, s9
	v_add_nc_u32_e32 v166, v167, v166
	s_delay_alu instid0(VALU_DEP_1) | instskip(NEXT) | instid1(VALU_DEP_1)
	v_mov_b32_dpp v167, v166 row_shr:2 row_mask:0xf bank_mask:0xf
	v_cndmask_b32_e64 v167, 0, v167, s0
	s_delay_alu instid0(VALU_DEP_1) | instskip(NEXT) | instid1(VALU_DEP_1)
	v_add_nc_u32_e32 v166, v166, v167
	v_mov_b32_dpp v167, v166 row_shr:4 row_mask:0xf bank_mask:0xf
	s_delay_alu instid0(VALU_DEP_1) | instskip(NEXT) | instid1(VALU_DEP_1)
	v_cndmask_b32_e64 v167, 0, v167, s1
	v_add_nc_u32_e32 v166, v166, v167
	s_delay_alu instid0(VALU_DEP_1) | instskip(NEXT) | instid1(VALU_DEP_1)
	v_mov_b32_dpp v167, v166 row_shr:8 row_mask:0xf bank_mask:0xf
	v_cndmask_b32_e64 v167, 0, v167, s2
	s_delay_alu instid0(VALU_DEP_1) | instskip(SKIP_3) | instid1(VALU_DEP_1)
	v_add_nc_u32_e32 v166, v166, v167
	ds_swizzle_b32 v167, v166 offset:swizzle(BROADCAST,32,15)
	s_waitcnt lgkmcnt(0)
	v_cndmask_b32_e64 v167, v167, 0, s3
	v_add_nc_u32_e32 v166, v166, v167
	s_and_saveexec_b32 vcc_lo, s4
	s_delay_alu instid0(SALU_CYCLE_1)
	s_xor_b32 vcc_lo, exec_lo, vcc_lo
	s_cbranch_execz .LBB86_36
; %bb.35:                               ;   in Loop: Header=BB86_2 Depth=1
	ds_store_b32 v34, v166
.LBB86_36:                              ;   in Loop: Header=BB86_2 Depth=1
	s_or_b32 exec_lo, exec_lo, vcc_lo
	s_waitcnt lgkmcnt(0)
	s_barrier
	buffer_gl0_inv
	s_and_saveexec_b32 vcc_lo, s5
	s_cbranch_execz .LBB86_38
; %bb.37:                               ;   in Loop: Header=BB86_2 Depth=1
	ds_load_b32 v167, v0
	s_waitcnt lgkmcnt(0)
	v_mov_b32_dpp v168, v167 row_shr:1 row_mask:0xf bank_mask:0xf
	s_delay_alu instid0(VALU_DEP_1) | instskip(NEXT) | instid1(VALU_DEP_1)
	v_cndmask_b32_e64 v168, v168, 0, s9
	v_add_nc_u32_e32 v167, v168, v167
	s_delay_alu instid0(VALU_DEP_1) | instskip(NEXT) | instid1(VALU_DEP_1)
	v_mov_b32_dpp v168, v167 row_shr:2 row_mask:0xf bank_mask:0xf
	v_cndmask_b32_e64 v168, 0, v168, s0
	s_delay_alu instid0(VALU_DEP_1) | instskip(NEXT) | instid1(VALU_DEP_1)
	v_add_nc_u32_e32 v167, v167, v168
	v_mov_b32_dpp v168, v167 row_shr:4 row_mask:0xf bank_mask:0xf
	s_delay_alu instid0(VALU_DEP_1) | instskip(NEXT) | instid1(VALU_DEP_1)
	v_cndmask_b32_e64 v168, 0, v168, s1
	v_add_nc_u32_e32 v167, v167, v168
	s_delay_alu instid0(VALU_DEP_1) | instskip(NEXT) | instid1(VALU_DEP_1)
	v_mov_b32_dpp v168, v167 row_shr:8 row_mask:0xf bank_mask:0xf
	v_cndmask_b32_e64 v168, 0, v168, s2
	s_delay_alu instid0(VALU_DEP_1)
	v_add_nc_u32_e32 v167, v167, v168
	ds_store_b32 v0, v167
.LBB86_38:                              ;   in Loop: Header=BB86_2 Depth=1
	s_or_b32 exec_lo, exec_lo, vcc_lo
	v_mov_b32_e32 v167, 0
	s_waitcnt lgkmcnt(0)
	s_barrier
	buffer_gl0_inv
	s_and_saveexec_b32 vcc_lo, s6
	s_cbranch_execz .LBB86_40
; %bb.39:                               ;   in Loop: Header=BB86_2 Depth=1
	ds_load_b32 v167, v133
.LBB86_40:                              ;   in Loop: Header=BB86_2 Depth=1
	s_or_b32 exec_lo, exec_lo, vcc_lo
	v_cndmask_b32_e64 v168, 0, 1, s25
	v_cndmask_b32_e64 v169, 0, 1, s60
	s_waitcnt lgkmcnt(0)
	v_add_nc_u32_e32 v166, v167, v166
	v_cndmask_b32_e64 v170, 0, 1, s62
	v_cmp_ne_u32_e32 vcc_lo, 0, v168
	v_cndmask_b32_e64 v168, 0, 1, s61
	v_cmp_ne_u32_e64 vcc_hi, 0, v169
	ds_bpermute_b32 v166, v35, v166
	v_xor_b32_e32 v169, vcc_lo, v150
	v_cmp_ne_u32_e32 vcc_lo, 0, v168
	s_delay_alu instid0(VALU_DEP_2) | instskip(SKIP_3) | instid1(VALU_DEP_3)
	v_and_b32_e32 v169, exec_lo, v169
	v_xor_b32_e32 v168, vcc_hi, v84
	v_cmp_ne_u32_e64 vcc_hi, 0, v170
	v_xor_b32_e32 v170, vcc_lo, v85
	v_and_b32_e32 v168, v169, v168
	s_delay_alu instid0(VALU_DEP_3) | instskip(NEXT) | instid1(VALU_DEP_2)
	v_xor_b32_e32 v169, vcc_hi, v86
	v_and_b32_e32 v168, v168, v170
	s_waitcnt lgkmcnt(0)
	v_cndmask_b32_e64 v166, v166, v167, s7
	s_delay_alu instid0(VALU_DEP_2)
	v_and_b32_e32 v167, v168, v169
	ds_store_b32 v0, v166 offset:64
	s_waitcnt lgkmcnt(0)
	s_barrier
	v_mbcnt_lo_u32_b32 v166, v167, 0
	buffer_gl0_inv
	ds_store_b32 v0, v132 offset:64
	s_waitcnt lgkmcnt(0)
	s_barrier
	v_cmp_eq_u32_e32 vcc_lo, 0, v166
	v_cmp_ne_u32_e64 vcc_hi, 0, v167
	buffer_gl0_inv
	; wave barrier
	s_and_b32 vcc_hi, vcc_hi, vcc_lo
	s_delay_alu instid0(SALU_CYCLE_1)
	s_and_saveexec_b32 vcc_lo, vcc_hi
	s_cbranch_execz .LBB86_42
; %bb.41:                               ;   in Loop: Header=BB86_2 Depth=1
	v_bcnt_u32_b32 v167, v167, 0
	ds_store_b32 v1, v167 offset:64
.LBB86_42:                              ;   in Loop: Header=BB86_2 Depth=1
	s_or_b32 exec_lo, exec_lo, vcc_lo
	v_cndmask_b32_e64 v167, 0, 1, s26
	v_cndmask_b32_e64 v168, 0, 1, s63
	v_cndmask_b32_e64 v169, 0, 1, s65
	; wave barrier
	s_delay_alu instid0(VALU_DEP_3) | instskip(SKIP_1) | instid1(VALU_DEP_4)
	v_cmp_ne_u32_e32 vcc_lo, 0, v167
	v_cndmask_b32_e64 v167, 0, 1, s64
	v_cmp_ne_u32_e64 vcc_hi, 0, v168
	v_xor_b32_e32 v168, vcc_lo, v151
	s_delay_alu instid0(VALU_DEP_3) | instskip(NEXT) | instid1(VALU_DEP_2)
	v_cmp_ne_u32_e32 vcc_lo, 0, v167
	v_and_b32_e32 v168, exec_lo, v168
	s_delay_alu instid0(VALU_DEP_4) | instskip(SKIP_2) | instid1(VALU_DEP_3)
	v_xor_b32_e32 v167, vcc_hi, v87
	v_cmp_ne_u32_e64 vcc_hi, 0, v169
	v_xor_b32_e32 v169, vcc_lo, v88
	v_and_b32_e32 v167, v168, v167
	s_delay_alu instid0(VALU_DEP_3) | instskip(NEXT) | instid1(VALU_DEP_2)
	v_xor_b32_e32 v168, vcc_hi, v89
	v_and_b32_e32 v169, v167, v169
	ds_load_b32 v167, v3 offset:64
	; wave barrier
	v_and_b32_e32 v169, v169, v168
	s_delay_alu instid0(VALU_DEP_1) | instskip(NEXT) | instid1(VALU_DEP_1)
	v_mbcnt_lo_u32_b32 v168, v169, 0
	v_cmp_eq_u32_e32 vcc_lo, 0, v168
	v_cmp_ne_u32_e64 vcc_hi, 0, v169
	s_delay_alu instid0(VALU_DEP_1) | instskip(NEXT) | instid1(SALU_CYCLE_1)
	s_and_b32 vcc_hi, vcc_hi, vcc_lo
	s_and_saveexec_b32 vcc_lo, vcc_hi
	s_cbranch_execz .LBB86_44
; %bb.43:                               ;   in Loop: Header=BB86_2 Depth=1
	s_waitcnt lgkmcnt(0)
	v_bcnt_u32_b32 v169, v169, v167
	ds_store_b32 v3, v169 offset:64
.LBB86_44:                              ;   in Loop: Header=BB86_2 Depth=1
	s_or_b32 exec_lo, exec_lo, vcc_lo
	v_cndmask_b32_e64 v169, 0, 1, s27
	v_cndmask_b32_e64 v170, 0, 1, s66
	;; [unrolled: 1-line block ×3, first 2 shown]
	; wave barrier
	s_delay_alu instid0(VALU_DEP_3) | instskip(SKIP_1) | instid1(VALU_DEP_4)
	v_cmp_ne_u32_e32 vcc_lo, 0, v169
	v_cndmask_b32_e64 v169, 0, 1, s67
	v_cmp_ne_u32_e64 vcc_hi, 0, v170
	v_xor_b32_e32 v170, vcc_lo, v152
	s_delay_alu instid0(VALU_DEP_3) | instskip(NEXT) | instid1(VALU_DEP_2)
	v_cmp_ne_u32_e32 vcc_lo, 0, v169
	v_and_b32_e32 v170, exec_lo, v170
	s_delay_alu instid0(VALU_DEP_4) | instskip(SKIP_2) | instid1(VALU_DEP_3)
	v_xor_b32_e32 v169, vcc_hi, v90
	v_cmp_ne_u32_e64 vcc_hi, 0, v171
	v_xor_b32_e32 v171, vcc_lo, v91
	v_and_b32_e32 v169, v170, v169
	s_delay_alu instid0(VALU_DEP_3) | instskip(NEXT) | instid1(VALU_DEP_2)
	v_xor_b32_e32 v170, vcc_hi, v92
	v_and_b32_e32 v171, v169, v171
	ds_load_b32 v169, v5 offset:64
	; wave barrier
	v_and_b32_e32 v171, v171, v170
	s_delay_alu instid0(VALU_DEP_1) | instskip(NEXT) | instid1(VALU_DEP_1)
	v_mbcnt_lo_u32_b32 v170, v171, 0
	v_cmp_eq_u32_e32 vcc_lo, 0, v170
	v_cmp_ne_u32_e64 vcc_hi, 0, v171
	s_delay_alu instid0(VALU_DEP_1) | instskip(NEXT) | instid1(SALU_CYCLE_1)
	s_and_b32 vcc_hi, vcc_hi, vcc_lo
	s_and_saveexec_b32 vcc_lo, vcc_hi
	s_cbranch_execz .LBB86_46
; %bb.45:                               ;   in Loop: Header=BB86_2 Depth=1
	s_waitcnt lgkmcnt(0)
	v_bcnt_u32_b32 v171, v171, v169
	ds_store_b32 v5, v171 offset:64
.LBB86_46:                              ;   in Loop: Header=BB86_2 Depth=1
	s_or_b32 exec_lo, exec_lo, vcc_lo
	v_cndmask_b32_e64 v171, 0, 1, s28
	v_cndmask_b32_e64 v172, 0, 1, s69
	; wave barrier
	s_delay_alu instid0(VALU_DEP_2) | instskip(SKIP_1) | instid1(VALU_DEP_3)
	v_cmp_ne_u32_e32 vcc_lo, 0, v171
	v_cndmask_b32_e64 v171, 0, 1, s70
	v_cmp_ne_u32_e64 vcc_hi, 0, v172
	v_xor_b32_e32 v172, vcc_lo, v153
	v_readlane_b32 vcc_lo, v201, 4
	s_delay_alu instid0(VALU_DEP_2) | instskip(NEXT) | instid1(VALU_DEP_2)
	v_and_b32_e32 v172, exec_lo, v172
	v_cndmask_b32_e64 v173, 0, 1, vcc_lo
	v_cmp_ne_u32_e32 vcc_lo, 0, v171
	v_xor_b32_e32 v171, vcc_hi, v93
	s_delay_alu instid0(VALU_DEP_3) | instskip(SKIP_1) | instid1(VALU_DEP_3)
	v_cmp_ne_u32_e64 vcc_hi, 0, v173
	v_xor_b32_e32 v173, vcc_lo, v94
	v_and_b32_e32 v171, v172, v171
	s_delay_alu instid0(VALU_DEP_3) | instskip(NEXT) | instid1(VALU_DEP_2)
	v_xor_b32_e32 v172, vcc_hi, v95
	v_and_b32_e32 v173, v171, v173
	ds_load_b32 v171, v6 offset:64
	; wave barrier
	v_and_b32_e32 v173, v173, v172
	s_delay_alu instid0(VALU_DEP_1) | instskip(NEXT) | instid1(VALU_DEP_1)
	v_mbcnt_lo_u32_b32 v172, v173, 0
	v_cmp_eq_u32_e32 vcc_lo, 0, v172
	v_cmp_ne_u32_e64 vcc_hi, 0, v173
	s_delay_alu instid0(VALU_DEP_1) | instskip(NEXT) | instid1(SALU_CYCLE_1)
	s_and_b32 vcc_hi, vcc_hi, vcc_lo
	s_and_saveexec_b32 vcc_lo, vcc_hi
	s_cbranch_execz .LBB86_48
; %bb.47:                               ;   in Loop: Header=BB86_2 Depth=1
	s_waitcnt lgkmcnt(0)
	v_bcnt_u32_b32 v173, v173, v171
	ds_store_b32 v6, v173 offset:64
.LBB86_48:                              ;   in Loop: Header=BB86_2 Depth=1
	s_or_b32 exec_lo, exec_lo, vcc_lo
	v_cndmask_b32_e64 v173, 0, 1, s29
	v_cndmask_b32_e64 v174, 0, 1, s71
	v_cndmask_b32_e64 v175, 0, 1, s73
	; wave barrier
	s_delay_alu instid0(VALU_DEP_3) | instskip(SKIP_1) | instid1(VALU_DEP_4)
	v_cmp_ne_u32_e32 vcc_lo, 0, v173
	v_cndmask_b32_e64 v173, 0, 1, s72
	v_cmp_ne_u32_e64 vcc_hi, 0, v174
	v_xor_b32_e32 v174, vcc_lo, v154
	s_delay_alu instid0(VALU_DEP_3) | instskip(NEXT) | instid1(VALU_DEP_2)
	v_cmp_ne_u32_e32 vcc_lo, 0, v173
	v_and_b32_e32 v174, exec_lo, v174
	s_delay_alu instid0(VALU_DEP_4) | instskip(SKIP_2) | instid1(VALU_DEP_3)
	v_xor_b32_e32 v173, vcc_hi, v96
	v_cmp_ne_u32_e64 vcc_hi, 0, v175
	v_xor_b32_e32 v175, vcc_lo, v97
	v_and_b32_e32 v173, v174, v173
	s_delay_alu instid0(VALU_DEP_3) | instskip(NEXT) | instid1(VALU_DEP_2)
	v_xor_b32_e32 v174, vcc_hi, v98
	v_and_b32_e32 v175, v173, v175
	ds_load_b32 v173, v4 offset:64
	; wave barrier
	v_and_b32_e32 v175, v175, v174
	s_delay_alu instid0(VALU_DEP_1) | instskip(NEXT) | instid1(VALU_DEP_1)
	v_mbcnt_lo_u32_b32 v174, v175, 0
	v_cmp_eq_u32_e32 vcc_lo, 0, v174
	v_cmp_ne_u32_e64 vcc_hi, 0, v175
	s_delay_alu instid0(VALU_DEP_1) | instskip(NEXT) | instid1(SALU_CYCLE_1)
	s_and_b32 vcc_hi, vcc_hi, vcc_lo
	s_and_saveexec_b32 vcc_lo, vcc_hi
	s_cbranch_execz .LBB86_50
; %bb.49:                               ;   in Loop: Header=BB86_2 Depth=1
	s_waitcnt lgkmcnt(0)
	v_bcnt_u32_b32 v175, v175, v173
	ds_store_b32 v4, v175 offset:64
.LBB86_50:                              ;   in Loop: Header=BB86_2 Depth=1
	s_or_b32 exec_lo, exec_lo, vcc_lo
	v_cndmask_b32_e64 v175, 0, 1, s30
	v_cndmask_b32_e64 v176, 0, 1, s74
	v_cndmask_b32_e64 v177, 0, 1, s76
	; wave barrier
	s_delay_alu instid0(VALU_DEP_3) | instskip(SKIP_1) | instid1(VALU_DEP_4)
	v_cmp_ne_u32_e32 vcc_lo, 0, v175
	v_cndmask_b32_e64 v175, 0, 1, s75
	v_cmp_ne_u32_e64 vcc_hi, 0, v176
	v_xor_b32_e32 v176, vcc_lo, v155
	s_delay_alu instid0(VALU_DEP_3) | instskip(NEXT) | instid1(VALU_DEP_2)
	v_cmp_ne_u32_e32 vcc_lo, 0, v175
	v_and_b32_e32 v176, exec_lo, v176
	s_delay_alu instid0(VALU_DEP_4) | instskip(SKIP_2) | instid1(VALU_DEP_3)
	v_xor_b32_e32 v175, vcc_hi, v99
	;; [unrolled: 37-line block ×3, first 2 shown]
	v_cmp_ne_u32_e64 vcc_hi, 0, v179
	v_xor_b32_e32 v179, vcc_lo, v103
	v_and_b32_e32 v177, v178, v177
	s_delay_alu instid0(VALU_DEP_3) | instskip(NEXT) | instid1(VALU_DEP_2)
	v_xor_b32_e32 v178, vcc_hi, v104
	v_and_b32_e32 v179, v177, v179
	ds_load_b32 v177, v12 offset:64
	; wave barrier
	v_and_b32_e32 v179, v179, v178
	s_delay_alu instid0(VALU_DEP_1) | instskip(NEXT) | instid1(VALU_DEP_1)
	v_mbcnt_lo_u32_b32 v178, v179, 0
	v_cmp_eq_u32_e32 vcc_lo, 0, v178
	v_cmp_ne_u32_e64 vcc_hi, 0, v179
	s_delay_alu instid0(VALU_DEP_1) | instskip(NEXT) | instid1(SALU_CYCLE_1)
	s_and_b32 vcc_hi, vcc_hi, vcc_lo
	s_and_saveexec_b32 vcc_lo, vcc_hi
	s_cbranch_execz .LBB86_54
; %bb.53:                               ;   in Loop: Header=BB86_2 Depth=1
	s_waitcnt lgkmcnt(0)
	v_bcnt_u32_b32 v179, v179, v177
	ds_store_b32 v12, v179 offset:64
.LBB86_54:                              ;   in Loop: Header=BB86_2 Depth=1
	s_or_b32 exec_lo, exec_lo, vcc_lo
	v_cndmask_b32_e64 v179, 0, 1, s33
	v_cndmask_b32_e64 v180, 0, 1, s80
	; wave barrier
	s_delay_alu instid0(VALU_DEP_2) | instskip(SKIP_1) | instid1(VALU_DEP_3)
	v_cmp_ne_u32_e32 vcc_lo, 0, v179
	v_cndmask_b32_e64 v179, 0, 1, s81
	v_cmp_ne_u32_e64 vcc_hi, 0, v180
	v_xor_b32_e32 v180, vcc_lo, v157
	v_readlane_b32 vcc_lo, v201, 5
	s_delay_alu instid0(VALU_DEP_2) | instskip(NEXT) | instid1(VALU_DEP_2)
	v_and_b32_e32 v180, exec_lo, v180
	v_cndmask_b32_e64 v181, 0, 1, vcc_lo
	v_cmp_ne_u32_e32 vcc_lo, 0, v179
	v_xor_b32_e32 v179, vcc_hi, v105
	s_delay_alu instid0(VALU_DEP_3) | instskip(SKIP_1) | instid1(VALU_DEP_3)
	v_cmp_ne_u32_e64 vcc_hi, 0, v181
	v_xor_b32_e32 v181, vcc_lo, v106
	v_and_b32_e32 v179, v180, v179
	s_delay_alu instid0(VALU_DEP_3) | instskip(NEXT) | instid1(VALU_DEP_2)
	v_xor_b32_e32 v180, vcc_hi, v107
	v_and_b32_e32 v181, v179, v181
	ds_load_b32 v179, v17 offset:64
	; wave barrier
	v_and_b32_e32 v181, v181, v180
	s_delay_alu instid0(VALU_DEP_1) | instskip(NEXT) | instid1(VALU_DEP_1)
	v_mbcnt_lo_u32_b32 v180, v181, 0
	v_cmp_eq_u32_e32 vcc_lo, 0, v180
	v_cmp_ne_u32_e64 vcc_hi, 0, v181
	s_delay_alu instid0(VALU_DEP_1) | instskip(NEXT) | instid1(SALU_CYCLE_1)
	s_and_b32 vcc_hi, vcc_hi, vcc_lo
	s_and_saveexec_b32 vcc_lo, vcc_hi
	s_cbranch_execz .LBB86_56
; %bb.55:                               ;   in Loop: Header=BB86_2 Depth=1
	s_waitcnt lgkmcnt(0)
	v_bcnt_u32_b32 v181, v181, v179
	ds_store_b32 v17, v181 offset:64
.LBB86_56:                              ;   in Loop: Header=BB86_2 Depth=1
	s_or_b32 exec_lo, exec_lo, vcc_lo
	v_cndmask_b32_e64 v181, 0, 1, s34
	v_cndmask_b32_e64 v182, 0, 1, s82
	v_cndmask_b32_e64 v183, 0, 1, s84
	; wave barrier
	s_delay_alu instid0(VALU_DEP_3) | instskip(SKIP_1) | instid1(VALU_DEP_4)
	v_cmp_ne_u32_e32 vcc_lo, 0, v181
	v_cndmask_b32_e64 v181, 0, 1, s83
	v_cmp_ne_u32_e64 vcc_hi, 0, v182
	v_xor_b32_e32 v182, vcc_lo, v158
	s_delay_alu instid0(VALU_DEP_3) | instskip(NEXT) | instid1(VALU_DEP_2)
	v_cmp_ne_u32_e32 vcc_lo, 0, v181
	v_and_b32_e32 v182, exec_lo, v182
	s_delay_alu instid0(VALU_DEP_4) | instskip(SKIP_2) | instid1(VALU_DEP_3)
	v_xor_b32_e32 v181, vcc_hi, v108
	v_cmp_ne_u32_e64 vcc_hi, 0, v183
	v_xor_b32_e32 v183, vcc_lo, v109
	v_and_b32_e32 v181, v182, v181
	s_delay_alu instid0(VALU_DEP_3) | instskip(NEXT) | instid1(VALU_DEP_2)
	v_xor_b32_e32 v182, vcc_hi, v110
	v_and_b32_e32 v183, v181, v183
	ds_load_b32 v181, v21 offset:64
	; wave barrier
	v_and_b32_e32 v183, v183, v182
	s_delay_alu instid0(VALU_DEP_1) | instskip(NEXT) | instid1(VALU_DEP_1)
	v_mbcnt_lo_u32_b32 v182, v183, 0
	v_cmp_eq_u32_e32 vcc_lo, 0, v182
	v_cmp_ne_u32_e64 vcc_hi, 0, v183
	s_delay_alu instid0(VALU_DEP_1) | instskip(NEXT) | instid1(SALU_CYCLE_1)
	s_and_b32 vcc_hi, vcc_hi, vcc_lo
	s_and_saveexec_b32 vcc_lo, vcc_hi
	s_cbranch_execz .LBB86_58
; %bb.57:                               ;   in Loop: Header=BB86_2 Depth=1
	s_waitcnt lgkmcnt(0)
	v_bcnt_u32_b32 v183, v183, v181
	ds_store_b32 v21, v183 offset:64
.LBB86_58:                              ;   in Loop: Header=BB86_2 Depth=1
	s_or_b32 exec_lo, exec_lo, vcc_lo
	v_cndmask_b32_e64 v183, 0, 1, s35
	v_cndmask_b32_e64 v184, 0, 1, s85
	v_cndmask_b32_e64 v185, 0, 1, s87
	; wave barrier
	s_delay_alu instid0(VALU_DEP_3) | instskip(SKIP_1) | instid1(VALU_DEP_4)
	v_cmp_ne_u32_e32 vcc_lo, 0, v183
	v_cndmask_b32_e64 v183, 0, 1, s86
	v_cmp_ne_u32_e64 vcc_hi, 0, v184
	v_xor_b32_e32 v184, vcc_lo, v159
	s_delay_alu instid0(VALU_DEP_3) | instskip(NEXT) | instid1(VALU_DEP_2)
	v_cmp_ne_u32_e32 vcc_lo, 0, v183
	v_and_b32_e32 v184, exec_lo, v184
	s_delay_alu instid0(VALU_DEP_4) | instskip(SKIP_2) | instid1(VALU_DEP_3)
	v_xor_b32_e32 v183, vcc_hi, v111
	;; [unrolled: 37-line block ×3, first 2 shown]
	v_cmp_ne_u32_e64 vcc_hi, 0, v187
	v_xor_b32_e32 v187, vcc_lo, v115
	v_and_b32_e32 v185, v186, v185
	s_delay_alu instid0(VALU_DEP_3) | instskip(NEXT) | instid1(VALU_DEP_2)
	v_xor_b32_e32 v186, vcc_hi, v116
	v_and_b32_e32 v187, v185, v187
	ds_load_b32 v185, v28 offset:64
	; wave barrier
	v_and_b32_e32 v187, v187, v186
	s_delay_alu instid0(VALU_DEP_1) | instskip(NEXT) | instid1(VALU_DEP_1)
	v_mbcnt_lo_u32_b32 v186, v187, 0
	v_cmp_eq_u32_e32 vcc_lo, 0, v186
	v_cmp_ne_u32_e64 vcc_hi, 0, v187
	s_delay_alu instid0(VALU_DEP_1) | instskip(NEXT) | instid1(SALU_CYCLE_1)
	s_and_b32 vcc_hi, vcc_hi, vcc_lo
	s_and_saveexec_b32 vcc_lo, vcc_hi
	s_cbranch_execz .LBB86_62
; %bb.61:                               ;   in Loop: Header=BB86_2 Depth=1
	s_waitcnt lgkmcnt(0)
	v_bcnt_u32_b32 v187, v187, v185
	ds_store_b32 v28, v187 offset:64
.LBB86_62:                              ;   in Loop: Header=BB86_2 Depth=1
	s_or_b32 exec_lo, exec_lo, vcc_lo
	v_cndmask_b32_e64 v187, 0, 1, s37
	v_cndmask_b32_e64 v188, 0, 1, s91
	; wave barrier
	s_delay_alu instid0(VALU_DEP_2) | instskip(SKIP_1) | instid1(VALU_DEP_3)
	v_cmp_ne_u32_e32 vcc_lo, 0, v187
	v_cndmask_b32_e64 v187, 0, 1, s92
	v_cmp_ne_u32_e64 vcc_hi, 0, v188
	v_xor_b32_e32 v188, vcc_lo, v161
	v_readlane_b32 vcc_lo, v201, 6
	s_delay_alu instid0(VALU_DEP_2) | instskip(NEXT) | instid1(VALU_DEP_2)
	v_and_b32_e32 v188, exec_lo, v188
	v_cndmask_b32_e64 v189, 0, 1, vcc_lo
	v_cmp_ne_u32_e32 vcc_lo, 0, v187
	v_xor_b32_e32 v187, vcc_hi, v117
	s_delay_alu instid0(VALU_DEP_3) | instskip(SKIP_1) | instid1(VALU_DEP_3)
	v_cmp_ne_u32_e64 vcc_hi, 0, v189
	v_xor_b32_e32 v189, vcc_lo, v118
	v_and_b32_e32 v187, v188, v187
	s_delay_alu instid0(VALU_DEP_3) | instskip(NEXT) | instid1(VALU_DEP_2)
	v_xor_b32_e32 v188, vcc_hi, v119
	v_and_b32_e32 v189, v187, v189
	ds_load_b32 v187, v29 offset:64
	; wave barrier
	v_and_b32_e32 v189, v189, v188
	s_delay_alu instid0(VALU_DEP_1) | instskip(NEXT) | instid1(VALU_DEP_1)
	v_mbcnt_lo_u32_b32 v188, v189, 0
	v_cmp_eq_u32_e32 vcc_lo, 0, v188
	v_cmp_ne_u32_e64 vcc_hi, 0, v189
	s_delay_alu instid0(VALU_DEP_1) | instskip(NEXT) | instid1(SALU_CYCLE_1)
	s_and_b32 vcc_hi, vcc_hi, vcc_lo
	s_and_saveexec_b32 vcc_lo, vcc_hi
	s_cbranch_execz .LBB86_64
; %bb.63:                               ;   in Loop: Header=BB86_2 Depth=1
	s_waitcnt lgkmcnt(0)
	v_bcnt_u32_b32 v189, v189, v187
	ds_store_b32 v29, v189 offset:64
.LBB86_64:                              ;   in Loop: Header=BB86_2 Depth=1
	s_or_b32 exec_lo, exec_lo, vcc_lo
	v_cndmask_b32_e64 v189, 0, 1, s38
	v_cndmask_b32_e64 v190, 0, 1, s93
	v_cndmask_b32_e64 v191, 0, 1, s95
	; wave barrier
	s_delay_alu instid0(VALU_DEP_3) | instskip(SKIP_1) | instid1(VALU_DEP_4)
	v_cmp_ne_u32_e32 vcc_lo, 0, v189
	v_cndmask_b32_e64 v189, 0, 1, s94
	v_cmp_ne_u32_e64 vcc_hi, 0, v190
	v_xor_b32_e32 v190, vcc_lo, v162
	s_delay_alu instid0(VALU_DEP_3) | instskip(NEXT) | instid1(VALU_DEP_2)
	v_cmp_ne_u32_e32 vcc_lo, 0, v189
	v_and_b32_e32 v190, exec_lo, v190
	s_delay_alu instid0(VALU_DEP_4) | instskip(SKIP_2) | instid1(VALU_DEP_3)
	v_xor_b32_e32 v189, vcc_hi, v120
	v_cmp_ne_u32_e64 vcc_hi, 0, v191
	v_xor_b32_e32 v191, vcc_lo, v121
	v_and_b32_e32 v189, v190, v189
	s_delay_alu instid0(VALU_DEP_3) | instskip(NEXT) | instid1(VALU_DEP_2)
	v_xor_b32_e32 v190, vcc_hi, v122
	v_and_b32_e32 v191, v189, v191
	ds_load_b32 v189, v30 offset:64
	; wave barrier
	v_and_b32_e32 v191, v191, v190
	s_delay_alu instid0(VALU_DEP_1) | instskip(NEXT) | instid1(VALU_DEP_1)
	v_mbcnt_lo_u32_b32 v190, v191, 0
	v_cmp_eq_u32_e32 vcc_lo, 0, v190
	v_cmp_ne_u32_e64 vcc_hi, 0, v191
	s_delay_alu instid0(VALU_DEP_1) | instskip(NEXT) | instid1(SALU_CYCLE_1)
	s_and_b32 vcc_hi, vcc_hi, vcc_lo
	s_and_saveexec_b32 vcc_lo, vcc_hi
	s_cbranch_execz .LBB86_66
; %bb.65:                               ;   in Loop: Header=BB86_2 Depth=1
	s_waitcnt lgkmcnt(0)
	v_bcnt_u32_b32 v191, v191, v189
	ds_store_b32 v30, v191 offset:64
.LBB86_66:                              ;   in Loop: Header=BB86_2 Depth=1
	s_or_b32 exec_lo, exec_lo, vcc_lo
	v_cndmask_b32_e64 v191, 0, 1, s39
	v_cndmask_b32_e64 v192, 0, 1, s96
	v_cndmask_b32_e64 v193, 0, 1, s98
	; wave barrier
	s_delay_alu instid0(VALU_DEP_3) | instskip(SKIP_1) | instid1(VALU_DEP_4)
	v_cmp_ne_u32_e32 vcc_lo, 0, v191
	v_cndmask_b32_e64 v191, 0, 1, s97
	v_cmp_ne_u32_e64 vcc_hi, 0, v192
	v_xor_b32_e32 v192, vcc_lo, v163
	s_delay_alu instid0(VALU_DEP_3) | instskip(NEXT) | instid1(VALU_DEP_2)
	v_cmp_ne_u32_e32 vcc_lo, 0, v191
	v_and_b32_e32 v192, exec_lo, v192
	s_delay_alu instid0(VALU_DEP_4) | instskip(SKIP_2) | instid1(VALU_DEP_3)
	v_xor_b32_e32 v191, vcc_hi, v123
	;; [unrolled: 37-line block ×4, first 2 shown]
	v_cmp_ne_u32_e64 vcc_hi, 0, v197
	v_xor_b32_e32 v197, vcc_lo, v130
	v_and_b32_e32 v195, v196, v195
	s_delay_alu instid0(VALU_DEP_3) | instskip(NEXT) | instid1(VALU_DEP_2)
	v_xor_b32_e32 v196, vcc_hi, v131
	v_and_b32_e32 v197, v195, v197
	ds_load_b32 v195, v33 offset:64
	; wave barrier
	v_and_b32_e32 v197, v197, v196
	s_delay_alu instid0(VALU_DEP_1) | instskip(NEXT) | instid1(VALU_DEP_1)
	v_mbcnt_lo_u32_b32 v196, v197, 0
	v_cmp_eq_u32_e32 vcc_lo, 0, v196
	v_cmp_ne_u32_e64 vcc_hi, 0, v197
	s_delay_alu instid0(VALU_DEP_1) | instskip(NEXT) | instid1(SALU_CYCLE_1)
	s_and_b32 vcc_hi, vcc_hi, vcc_lo
	s_and_saveexec_b32 vcc_lo, vcc_hi
	s_cbranch_execz .LBB86_72
; %bb.71:                               ;   in Loop: Header=BB86_2 Depth=1
	s_waitcnt lgkmcnt(0)
	v_bcnt_u32_b32 v197, v197, v195
	ds_store_b32 v33, v197 offset:64
.LBB86_72:                              ;   in Loop: Header=BB86_2 Depth=1
	s_or_b32 exec_lo, exec_lo, vcc_lo
	; wave barrier
	s_waitcnt lgkmcnt(0)
	s_barrier
	buffer_gl0_inv
	ds_load_b32 v197, v0 offset:64
	s_waitcnt lgkmcnt(0)
	v_mov_b32_dpp v198, v197 row_shr:1 row_mask:0xf bank_mask:0xf
	s_delay_alu instid0(VALU_DEP_1) | instskip(NEXT) | instid1(VALU_DEP_1)
	v_cndmask_b32_e64 v198, v198, 0, s9
	v_add_nc_u32_e32 v197, v198, v197
	s_delay_alu instid0(VALU_DEP_1) | instskip(NEXT) | instid1(VALU_DEP_1)
	v_mov_b32_dpp v198, v197 row_shr:2 row_mask:0xf bank_mask:0xf
	v_cndmask_b32_e64 v198, 0, v198, s0
	s_delay_alu instid0(VALU_DEP_1) | instskip(NEXT) | instid1(VALU_DEP_1)
	v_add_nc_u32_e32 v197, v197, v198
	v_mov_b32_dpp v198, v197 row_shr:4 row_mask:0xf bank_mask:0xf
	s_delay_alu instid0(VALU_DEP_1) | instskip(NEXT) | instid1(VALU_DEP_1)
	v_cndmask_b32_e64 v198, 0, v198, s1
	v_add_nc_u32_e32 v197, v197, v198
	s_delay_alu instid0(VALU_DEP_1) | instskip(NEXT) | instid1(VALU_DEP_1)
	v_mov_b32_dpp v198, v197 row_shr:8 row_mask:0xf bank_mask:0xf
	v_cndmask_b32_e64 v198, 0, v198, s2
	s_delay_alu instid0(VALU_DEP_1) | instskip(SKIP_3) | instid1(VALU_DEP_1)
	v_add_nc_u32_e32 v197, v197, v198
	ds_swizzle_b32 v198, v197 offset:swizzle(BROADCAST,32,15)
	s_waitcnt lgkmcnt(0)
	v_cndmask_b32_e64 v198, v198, 0, s3
	v_add_nc_u32_e32 v197, v197, v198
	s_and_saveexec_b32 vcc_lo, s4
	s_cbranch_execz .LBB86_74
; %bb.73:                               ;   in Loop: Header=BB86_2 Depth=1
	ds_store_b32 v34, v197
.LBB86_74:                              ;   in Loop: Header=BB86_2 Depth=1
	s_or_b32 exec_lo, exec_lo, vcc_lo
	s_waitcnt lgkmcnt(0)
	s_barrier
	buffer_gl0_inv
	s_and_saveexec_b32 vcc_lo, s5
	s_cbranch_execz .LBB86_76
; %bb.75:                               ;   in Loop: Header=BB86_2 Depth=1
	ds_load_b32 v198, v0
	s_waitcnt lgkmcnt(0)
	v_mov_b32_dpp v199, v198 row_shr:1 row_mask:0xf bank_mask:0xf
	s_delay_alu instid0(VALU_DEP_1) | instskip(NEXT) | instid1(VALU_DEP_1)
	v_cndmask_b32_e64 v199, v199, 0, s9
	v_add_nc_u32_e32 v198, v199, v198
	s_delay_alu instid0(VALU_DEP_1) | instskip(NEXT) | instid1(VALU_DEP_1)
	v_mov_b32_dpp v199, v198 row_shr:2 row_mask:0xf bank_mask:0xf
	v_cndmask_b32_e64 v199, 0, v199, s0
	s_delay_alu instid0(VALU_DEP_1) | instskip(NEXT) | instid1(VALU_DEP_1)
	v_add_nc_u32_e32 v198, v198, v199
	v_mov_b32_dpp v199, v198 row_shr:4 row_mask:0xf bank_mask:0xf
	s_delay_alu instid0(VALU_DEP_1) | instskip(NEXT) | instid1(VALU_DEP_1)
	v_cndmask_b32_e64 v199, 0, v199, s1
	v_add_nc_u32_e32 v198, v198, v199
	s_delay_alu instid0(VALU_DEP_1) | instskip(NEXT) | instid1(VALU_DEP_1)
	v_mov_b32_dpp v199, v198 row_shr:8 row_mask:0xf bank_mask:0xf
	v_cndmask_b32_e64 v199, 0, v199, s2
	s_delay_alu instid0(VALU_DEP_1)
	v_add_nc_u32_e32 v198, v198, v199
	ds_store_b32 v0, v198
.LBB86_76:                              ;   in Loop: Header=BB86_2 Depth=1
	s_or_b32 exec_lo, exec_lo, vcc_lo
	v_mov_b32_e32 v198, 0
	s_waitcnt lgkmcnt(0)
	s_barrier
	buffer_gl0_inv
	s_and_saveexec_b32 vcc_lo, s6
	s_cbranch_execz .LBB86_1
; %bb.77:                               ;   in Loop: Header=BB86_2 Depth=1
	ds_load_b32 v198, v133
	s_branch .LBB86_1
.LBB86_78:
	ds_load_b32 v0, v33 offset:64
	ds_load_b32 v7, v32 offset:64
	;; [unrolled: 1-line block ×16, first 2 shown]
	v_readlane_b32 s0, v201, 7
	v_readlane_b32 s4, v201, 0
	;; [unrolled: 1-line block ×5, first 2 shown]
	s_waitcnt lgkmcnt(15)
	v_add3_u32 v6, v196, v195, v0
	s_waitcnt lgkmcnt(14)
	v_add3_u32 v5, v194, v193, v7
	;; [unrolled: 2-line block ×3, first 2 shown]
	s_lshl_b64 s[0:1], s[0:1], 2
	s_waitcnt lgkmcnt(10)
	v_add3_u32 v9, v186, v185, v13
	s_waitcnt lgkmcnt(9)
	v_add3_u32 v8, v184, v183, v14
	;; [unrolled: 2-line block ×9, first 2 shown]
	s_waitcnt lgkmcnt(1)
	v_add_nc_u32_e32 v15, v1, v166
	v_lshlrev_b32_e32 v0, 2, v2
	s_mov_b64 s[2:3], s[6:7]
	v_add3_u32 v3, v190, v189, v10
	v_add3_u32 v10, v188, v187, v11
	s_waitcnt lgkmcnt(0)
	v_add3_u32 v11, v174, v173, v21
	s_add_u32 s0, s2, s0
	s_addc_u32 s1, s3, s1
	v_readlane_b32 s5, v201, 1
	s_clause 0x3
	global_store_b128 v0, v[15:18], s[0:1]
	global_store_b128 v0, v[11:14], s[0:1] offset:16
	global_store_b128 v0, v[7:10], s[0:1] offset:32
	global_store_b128 v0, v[3:6], s[0:1] offset:48
	s_nop 0
	s_sendmsg sendmsg(MSG_DEALLOC_VGPRS)
	s_endpgm
	.section	.rodata,"a",@progbits
	.p2align	6, 0x0
	.amdhsa_kernel _Z11rank_kernelIhLj4ELb0EL18RadixRankAlgorithm2ELj512ELj16ELj10EEvPKT_Pi
		.amdhsa_group_segment_fixed_size 2112
		.amdhsa_private_segment_fixed_size 0
		.amdhsa_kernarg_size 272
		.amdhsa_user_sgpr_count 15
		.amdhsa_user_sgpr_dispatch_ptr 0
		.amdhsa_user_sgpr_queue_ptr 0
		.amdhsa_user_sgpr_kernarg_segment_ptr 1
		.amdhsa_user_sgpr_dispatch_id 0
		.amdhsa_user_sgpr_private_segment_size 0
		.amdhsa_wavefront_size32 1
		.amdhsa_uses_dynamic_stack 0
		.amdhsa_enable_private_segment 0
		.amdhsa_system_sgpr_workgroup_id_x 1
		.amdhsa_system_sgpr_workgroup_id_y 0
		.amdhsa_system_sgpr_workgroup_id_z 0
		.amdhsa_system_sgpr_workgroup_info 0
		.amdhsa_system_vgpr_workitem_id 2
		.amdhsa_next_free_vgpr 202
		.amdhsa_next_free_sgpr 105
		.amdhsa_reserve_vcc 1
		.amdhsa_float_round_mode_32 0
		.amdhsa_float_round_mode_16_64 0
		.amdhsa_float_denorm_mode_32 3
		.amdhsa_float_denorm_mode_16_64 3
		.amdhsa_dx10_clamp 1
		.amdhsa_ieee_mode 1
		.amdhsa_fp16_overflow 0
		.amdhsa_workgroup_processor_mode 1
		.amdhsa_memory_ordered 1
		.amdhsa_forward_progress 0
		.amdhsa_shared_vgpr_count 0
		.amdhsa_exception_fp_ieee_invalid_op 0
		.amdhsa_exception_fp_denorm_src 0
		.amdhsa_exception_fp_ieee_div_zero 0
		.amdhsa_exception_fp_ieee_overflow 0
		.amdhsa_exception_fp_ieee_underflow 0
		.amdhsa_exception_fp_ieee_inexact 0
		.amdhsa_exception_int_div_zero 0
	.end_amdhsa_kernel
	.section	.text._Z11rank_kernelIhLj4ELb0EL18RadixRankAlgorithm2ELj512ELj16ELj10EEvPKT_Pi,"axG",@progbits,_Z11rank_kernelIhLj4ELb0EL18RadixRankAlgorithm2ELj512ELj16ELj10EEvPKT_Pi,comdat
.Lfunc_end86:
	.size	_Z11rank_kernelIhLj4ELb0EL18RadixRankAlgorithm2ELj512ELj16ELj10EEvPKT_Pi, .Lfunc_end86-_Z11rank_kernelIhLj4ELb0EL18RadixRankAlgorithm2ELj512ELj16ELj10EEvPKT_Pi
                                        ; -- End function
	.section	.AMDGPU.csdata,"",@progbits
; Kernel info:
; codeLenInByte = 11028
; NumSgprs: 107
; NumVgprs: 202
; ScratchSize: 0
; MemoryBound: 0
; FloatMode: 240
; IeeeMode: 1
; LDSByteSize: 2112 bytes/workgroup (compile time only)
; SGPRBlocks: 13
; VGPRBlocks: 25
; NumSGPRsForWavesPerEU: 107
; NumVGPRsForWavesPerEU: 202
; Occupancy: 7
; WaveLimiterHint : 0
; COMPUTE_PGM_RSRC2:SCRATCH_EN: 0
; COMPUTE_PGM_RSRC2:USER_SGPR: 15
; COMPUTE_PGM_RSRC2:TRAP_HANDLER: 0
; COMPUTE_PGM_RSRC2:TGID_X_EN: 1
; COMPUTE_PGM_RSRC2:TGID_Y_EN: 0
; COMPUTE_PGM_RSRC2:TGID_Z_EN: 0
; COMPUTE_PGM_RSRC2:TIDIG_COMP_CNT: 2
	.section	.text._Z11rank_kernelIhLj4ELb0EL18RadixRankAlgorithm0ELj512ELj32ELj10EEvPKT_Pi,"axG",@progbits,_Z11rank_kernelIhLj4ELb0EL18RadixRankAlgorithm0ELj512ELj32ELj10EEvPKT_Pi,comdat
	.protected	_Z11rank_kernelIhLj4ELb0EL18RadixRankAlgorithm0ELj512ELj32ELj10EEvPKT_Pi ; -- Begin function _Z11rank_kernelIhLj4ELb0EL18RadixRankAlgorithm0ELj512ELj32ELj10EEvPKT_Pi
	.globl	_Z11rank_kernelIhLj4ELb0EL18RadixRankAlgorithm0ELj512ELj32ELj10EEvPKT_Pi
	.p2align	8
	.type	_Z11rank_kernelIhLj4ELb0EL18RadixRankAlgorithm0ELj512ELj32ELj10EEvPKT_Pi,@function
_Z11rank_kernelIhLj4ELb0EL18RadixRankAlgorithm0ELj512ELj32ELj10EEvPKT_Pi: ; @_Z11rank_kernelIhLj4ELb0EL18RadixRankAlgorithm0ELj512ELj32ELj10EEvPKT_Pi
; %bb.0:
	s_load_b128 s[8:11], s[0:1], 0x0
	s_lshl_b32 s12, s15, 14
	v_dual_mov_b32 v2, 0 :: v_dual_lshlrev_b32 v1, 5, v0
	v_mbcnt_lo_u32_b32 v4, -1, 0
	v_or_b32_e32 v7, 31, v0
	v_lshrrev_b32_e32 v9, 3, v0
	v_lshlrev_b32_e32 v3, 2, v0
	v_or_b32_e32 v41, 0xfffffe00, v0
	v_add_nc_u32_e32 v8, -1, v4
	v_and_b32_e32 v5, 15, v4
	v_and_b32_e32 v6, 16, v4
	v_cmp_eq_u32_e64 s2, 0, v4
	s_mov_b32 s13, 0
	v_cmp_gt_i32_e32 vcc_lo, 0, v8
	v_cmp_eq_u32_e64 s3, 0, v5
	v_cmp_lt_u32_e64 s4, 1, v5
	v_cmp_lt_u32_e64 s5, 3, v5
	v_cmp_lt_u32_e64 s6, 7, v5
	v_cmp_eq_u32_e64 s7, 0, v6
	s_waitcnt lgkmcnt(0)
	s_add_u32 s0, s8, s12
	s_addc_u32 s1, s9, 0
	v_cmp_eq_u32_e64 s8, v7, v0
	s_clause 0x1
	global_load_b128 v[23:26], v1, s[0:1]
	global_load_b128 v[36:39], v1, s[0:1] offset:16
	v_cndmask_b32_e32 v8, v8, v4, vcc_lo
	v_cmp_gt_u32_e64 s0, 16, v0
	v_cmp_lt_u32_e64 s1, 31, v0
	v_and_b32_e32 v4, 60, v9
	s_mov_b32 s9, s13
	s_waitcnt vmcnt(1)
	v_and_b32_e32 v21, 0xff, v25
	v_lshlrev_b32_e32 v5, 2, v8
	v_lshrrev_b32_e32 v6, 24, v23
	v_lshrrev_b32_e32 v7, 24, v24
	;; [unrolled: 1-line block ×4, first 2 shown]
	s_waitcnt vmcnt(0)
	v_lshrrev_b32_e32 v10, 24, v36
	v_lshrrev_b32_e32 v11, 24, v37
	;; [unrolled: 1-line block ×4, first 2 shown]
	v_and_b32_e32 v14, 0xff, v23
	v_bfe_u32 v15, v23, 8, 8
	v_bfe_u32 v16, v23, 16, 8
	v_and_b32_e32 v18, 0xff, v24
	v_bfe_u32 v19, v24, 8, 8
	v_bfe_u32 v20, v24, 16, 8
	;; [unrolled: 1-line block ×4, first 2 shown]
	v_and_b32_e32 v24, 0xff, v26
	v_bfe_u32 v25, v26, 8, 8
	v_bfe_u32 v26, v26, 16, 8
	v_and_b32_e32 v27, 0xff, v36
	v_bfe_u32 v29, v36, 8, 8
	v_bfe_u32 v30, v36, 16, 8
	;; [unrolled: 3-line block ×5, first 2 shown]
	s_branch .LBB87_2
.LBB87_1:                               ;   in Loop: Header=BB87_2 Depth=1
	s_add_i32 s9, s9, 1
	s_delay_alu instid0(SALU_CYCLE_1)
	s_cmp_eq_u32 s9, 10
	s_cbranch_scc1 .LBB87_12
.LBB87_2:                               ; =>This Loop Header: Depth=1
                                        ;     Child Loop BB87_4 Depth 2
                                        ;       Child Loop BB87_5 Depth 3
	s_mov_b32 s15, 28
	s_mov_b32 s16, -1
	s_branch .LBB87_4
.LBB87_3:                               ;   in Loop: Header=BB87_4 Depth=2
	s_or_b32 exec_lo, exec_lo, s15
	s_waitcnt lgkmcnt(0)
	v_add_nc_u32_e32 v103, v104, v103
	ds_load_b32 v109, v2 offset:16444
	ds_load_2addr_b32 v[105:106], v1 offset1:1
	s_mov_b32 s15, 24
	s_mov_b32 s16, 0
	s_and_not1_b32 vcc_lo, exec_lo, s14
	ds_bpermute_b32 v103, v5, v103
	s_waitcnt lgkmcnt(0)
	v_cndmask_b32_e64 v110, v103, v104, s2
	ds_load_2addr_b32 v[103:104], v1 offset0:2 offset1:3
	ds_load_2addr_b32 v[107:108], v1 offset0:4 offset1:5
	v_lshl_add_u32 v109, v109, 16, v110
	ds_load_b32 v110, v1 offset:24
	v_add_nc_u32_e32 v105, v109, v105
	s_delay_alu instid0(VALU_DEP_1) | instskip(SKIP_1) | instid1(VALU_DEP_1)
	v_add_nc_u32_e32 v106, v106, v105
	s_waitcnt lgkmcnt(2)
	v_add_nc_u32_e32 v103, v103, v106
	s_delay_alu instid0(VALU_DEP_1) | instskip(SKIP_1) | instid1(VALU_DEP_1)
	v_add_nc_u32_e32 v104, v104, v103
	s_waitcnt lgkmcnt(1)
	;; [unrolled: 4-line block ×3, first 2 shown]
	v_add_nc_u32_e32 v110, v110, v108
	ds_store_2addr_b32 v1, v109, v105 offset1:1
	ds_store_2addr_b32 v1, v106, v103 offset0:2 offset1:3
	ds_store_2addr_b32 v1, v104, v107 offset0:4 offset1:5
	;; [unrolled: 1-line block ×3, first 2 shown]
	s_waitcnt lgkmcnt(0)
	s_barrier
	buffer_gl0_inv
	s_cbranch_vccz .LBB87_1
.LBB87_4:                               ;   Parent Loop BB87_2 Depth=1
                                        ; =>  This Loop Header: Depth=2
                                        ;       Child Loop BB87_5 Depth 3
	v_dual_mov_b32 v17, v41 :: v_dual_mov_b32 v28, v3
	s_xor_b32 s14, s16, -1
	s_mov_b32 s16, 0
.LBB87_5:                               ;   Parent Loop BB87_2 Depth=1
                                        ;     Parent Loop BB87_4 Depth=2
                                        ; =>    This Inner Loop Header: Depth=3
	s_delay_alu instid0(VALU_DEP_1) | instskip(SKIP_4) | instid1(SALU_CYCLE_1)
	v_add_nc_u32_e32 v17, 0x200, v17
	ds_store_b32 v28, v2
	v_add_nc_u32_e32 v28, 0x800, v28
	v_cmp_lt_u32_e32 vcc_lo, 0xdff, v17
	s_or_b32 s16, vcc_lo, s16
	s_and_not1_b32 exec_lo, exec_lo, s16
	s_cbranch_execnz .LBB87_5
; %bb.6:                                ;   in Loop: Header=BB87_4 Depth=2
	s_or_b32 exec_lo, exec_lo, s16
	v_lshlrev_b32_e32 v17, s15, v14
	v_lshlrev_b32_e32 v69, s15, v9
	s_delay_alu instid0(VALU_DEP_2) | instskip(NEXT) | instid1(VALU_DEP_2)
	v_lshrrev_b32_e32 v28, 19, v17
	v_lshrrev_b32_e32 v70, 19, v69
	s_delay_alu instid0(VALU_DEP_2) | instskip(NEXT) | instid1(VALU_DEP_2)
	v_and_or_b32 v28, 0xe00, v28, v0
	v_and_or_b32 v70, 0xe00, v70, v0
	s_delay_alu instid0(VALU_DEP_2) | instskip(SKIP_1) | instid1(VALU_DEP_3)
	v_alignbit_b32 v17, v28, v17, 31
	v_lshlrev_b32_e32 v28, s15, v15
	v_alignbit_b32 v69, v70, v69, 31
	s_delay_alu instid0(VALU_DEP_3) | instskip(NEXT) | instid1(VALU_DEP_3)
	v_lshlrev_b32_e32 v17, 1, v17
	v_lshrrev_b32_e32 v40, 19, v28
	s_delay_alu instid0(VALU_DEP_3) | instskip(SKIP_2) | instid1(VALU_DEP_1)
	v_lshlrev_b32_e32 v69, 1, v69
	ds_load_u16 v45, v17
	v_and_or_b32 v40, 0xe00, v40, v0
	v_alignbit_b32 v28, v40, v28, 31
	s_delay_alu instid0(VALU_DEP_1)
	v_lshlrev_b32_e32 v28, 1, v28
	s_waitcnt lgkmcnt(0)
	v_add_nc_u16 v40, v45, 1
	ds_store_b16 v17, v40
	ds_load_u16 v48, v28
	v_lshlrev_b32_e32 v40, s15, v16
	s_delay_alu instid0(VALU_DEP_1) | instskip(NEXT) | instid1(VALU_DEP_1)
	v_lshrrev_b32_e32 v42, 19, v40
	v_and_or_b32 v42, 0xe00, v42, v0
	s_delay_alu instid0(VALU_DEP_1) | instskip(SKIP_2) | instid1(VALU_DEP_2)
	v_alignbit_b32 v40, v42, v40, 31
	s_waitcnt lgkmcnt(0)
	v_add_nc_u16 v42, v48, 1
	v_lshlrev_b32_e32 v40, 1, v40
	ds_store_b16 v28, v42
	ds_load_u16 v50, v40
	v_lshlrev_b32_e32 v42, s15, v6
	s_delay_alu instid0(VALU_DEP_1) | instskip(NEXT) | instid1(VALU_DEP_1)
	v_lshrrev_b32_e32 v43, 19, v42
	v_and_or_b32 v43, 0xe00, v43, v0
	s_delay_alu instid0(VALU_DEP_1) | instskip(SKIP_2) | instid1(VALU_DEP_2)
	v_alignbit_b32 v42, v43, v42, 31
	s_waitcnt lgkmcnt(0)
	v_add_nc_u16 v43, v50, 1
	v_lshlrev_b32_e32 v42, 1, v42
	;; [unrolled: 11-line block ×6, first 2 shown]
	v_lshlrev_b32_e32 v47, s15, v21
	ds_store_b16 v46, v51
	ds_load_u16 v60, v49
	v_lshrrev_b32_e32 v51, 19, v47
	s_delay_alu instid0(VALU_DEP_1) | instskip(NEXT) | instid1(VALU_DEP_1)
	v_and_or_b32 v51, 0xe00, v51, v0
	v_alignbit_b32 v47, v51, v47, 31
	s_delay_alu instid0(VALU_DEP_1)
	v_lshlrev_b32_e32 v47, 1, v47
	s_waitcnt lgkmcnt(0)
	v_add_nc_u16 v51, v60, 1
	ds_store_b16 v49, v51
	ds_load_u16 v61, v47
	v_lshlrev_b32_e32 v51, s15, v22
	s_delay_alu instid0(VALU_DEP_1) | instskip(NEXT) | instid1(VALU_DEP_1)
	v_lshrrev_b32_e32 v53, 19, v51
	v_and_or_b32 v53, 0xe00, v53, v0
	s_delay_alu instid0(VALU_DEP_1) | instskip(SKIP_2) | instid1(VALU_DEP_2)
	v_alignbit_b32 v51, v53, v51, 31
	s_waitcnt lgkmcnt(0)
	v_add_nc_u16 v53, v61, 1
	v_lshlrev_b32_e32 v51, 1, v51
	ds_store_b16 v47, v53
	ds_load_u16 v63, v51
	v_lshlrev_b32_e32 v53, s15, v23
	s_delay_alu instid0(VALU_DEP_1) | instskip(NEXT) | instid1(VALU_DEP_1)
	v_lshrrev_b32_e32 v55, 19, v53
	v_and_or_b32 v55, 0xe00, v55, v0
	s_delay_alu instid0(VALU_DEP_1) | instskip(SKIP_2) | instid1(VALU_DEP_2)
	v_alignbit_b32 v53, v55, v53, 31
	s_waitcnt lgkmcnt(0)
	v_add_nc_u16 v55, v63, 1
	v_lshlrev_b32_e32 v53, 1, v53
	ds_store_b16 v51, v55
	ds_load_u16 v64, v53
	v_lshlrev_b32_e32 v55, s15, v8
	s_delay_alu instid0(VALU_DEP_1) | instskip(NEXT) | instid1(VALU_DEP_1)
	v_lshrrev_b32_e32 v57, 19, v55
	v_and_or_b32 v57, 0xe00, v57, v0
	s_delay_alu instid0(VALU_DEP_1) | instskip(SKIP_2) | instid1(VALU_DEP_2)
	v_alignbit_b32 v55, v57, v55, 31
	s_waitcnt lgkmcnt(0)
	v_add_nc_u16 v57, v64, 1
	v_lshlrev_b32_e32 v55, 1, v55
	ds_store_b16 v53, v57
	ds_load_u16 v65, v55
	v_lshlrev_b32_e32 v57, s15, v24
	s_delay_alu instid0(VALU_DEP_1) | instskip(NEXT) | instid1(VALU_DEP_1)
	v_lshrrev_b32_e32 v59, 19, v57
	v_and_or_b32 v59, 0xe00, v59, v0
	s_delay_alu instid0(VALU_DEP_1) | instskip(SKIP_2) | instid1(VALU_DEP_2)
	v_alignbit_b32 v57, v59, v57, 31
	s_waitcnt lgkmcnt(0)
	v_add_nc_u16 v59, v65, 1
	v_lshlrev_b32_e32 v57, 1, v57
	ds_store_b16 v55, v59
	ds_load_u16 v66, v57
	v_lshlrev_b32_e32 v59, s15, v25
	s_delay_alu instid0(VALU_DEP_1) | instskip(NEXT) | instid1(VALU_DEP_1)
	v_lshrrev_b32_e32 v62, 19, v59
	v_and_or_b32 v62, 0xe00, v62, v0
	s_delay_alu instid0(VALU_DEP_1) | instskip(SKIP_2) | instid1(VALU_DEP_2)
	v_alignbit_b32 v59, v62, v59, 31
	s_waitcnt lgkmcnt(0)
	v_add_nc_u16 v62, v66, 1
	v_lshlrev_b32_e32 v59, 1, v59
	ds_store_b16 v57, v62
	ds_load_u16 v67, v59
	v_lshlrev_b32_e32 v62, s15, v26
	s_delay_alu instid0(VALU_DEP_1) | instskip(NEXT) | instid1(VALU_DEP_1)
	v_lshrrev_b32_e32 v68, 19, v62
	v_and_or_b32 v68, 0xe00, v68, v0
	s_delay_alu instid0(VALU_DEP_1) | instskip(SKIP_2) | instid1(VALU_DEP_2)
	v_alignbit_b32 v62, v68, v62, 31
	s_waitcnt lgkmcnt(0)
	v_add_nc_u16 v68, v67, 1
	v_lshlrev_b32_e32 v62, 1, v62
	ds_store_b16 v59, v68
	ds_load_u16 v68, v62
	s_waitcnt lgkmcnt(0)
	v_add_nc_u16 v70, v68, 1
	ds_store_b16 v62, v70
	ds_load_u16 v71, v69
	v_lshlrev_b32_e32 v70, s15, v27
	s_delay_alu instid0(VALU_DEP_1) | instskip(NEXT) | instid1(VALU_DEP_1)
	v_lshrrev_b32_e32 v72, 19, v70
	v_and_or_b32 v72, 0xe00, v72, v0
	s_delay_alu instid0(VALU_DEP_1) | instskip(SKIP_2) | instid1(VALU_DEP_2)
	v_alignbit_b32 v70, v72, v70, 31
	s_waitcnt lgkmcnt(0)
	v_add_nc_u16 v72, v71, 1
	v_lshlrev_b32_e32 v70, 1, v70
	ds_store_b16 v69, v72
	ds_load_u16 v74, v70
	v_lshlrev_b32_e32 v72, s15, v29
	s_delay_alu instid0(VALU_DEP_1) | instskip(NEXT) | instid1(VALU_DEP_1)
	v_lshrrev_b32_e32 v73, 19, v72
	v_and_or_b32 v73, 0xe00, v73, v0
	s_delay_alu instid0(VALU_DEP_1) | instskip(SKIP_2) | instid1(VALU_DEP_2)
	v_alignbit_b32 v72, v73, v72, 31
	s_waitcnt lgkmcnt(0)
	v_add_nc_u16 v73, v74, 1
	v_lshlrev_b32_e32 v72, 1, v72
	;; [unrolled: 11-line block ×8, first 2 shown]
	v_lshlrev_b32_e32 v80, s15, v34
	ds_store_b16 v79, v82
	ds_load_u16 v92, v81
	v_lshrrev_b32_e32 v82, 19, v80
	s_delay_alu instid0(VALU_DEP_1) | instskip(NEXT) | instid1(VALU_DEP_1)
	v_and_or_b32 v82, 0xe00, v82, v0
	v_alignbit_b32 v80, v82, v80, 31
	s_delay_alu instid0(VALU_DEP_1)
	v_lshlrev_b32_e32 v80, 1, v80
	s_waitcnt lgkmcnt(0)
	v_add_nc_u16 v82, v92, 1
	ds_store_b16 v81, v82
	ds_load_u16 v94, v80
	v_lshlrev_b32_e32 v82, s15, v35
	s_delay_alu instid0(VALU_DEP_1) | instskip(NEXT) | instid1(VALU_DEP_1)
	v_lshrrev_b32_e32 v84, 19, v82
	v_and_or_b32 v84, 0xe00, v84, v0
	s_delay_alu instid0(VALU_DEP_1) | instskip(SKIP_2) | instid1(VALU_DEP_2)
	v_alignbit_b32 v82, v84, v82, 31
	s_waitcnt lgkmcnt(0)
	v_add_nc_u16 v84, v94, 1
	v_lshlrev_b32_e32 v82, 1, v82
	ds_store_b16 v80, v84
	ds_load_u16 v96, v82
	v_lshlrev_b32_e32 v84, s15, v36
	s_delay_alu instid0(VALU_DEP_1) | instskip(NEXT) | instid1(VALU_DEP_1)
	v_lshrrev_b32_e32 v86, 19, v84
	v_and_or_b32 v86, 0xe00, v86, v0
	s_delay_alu instid0(VALU_DEP_1) | instskip(SKIP_2) | instid1(VALU_DEP_2)
	v_alignbit_b32 v84, v86, v84, 31
	s_waitcnt lgkmcnt(0)
	v_add_nc_u16 v86, v96, 1
	v_lshlrev_b32_e32 v84, 1, v84
	ds_store_b16 v82, v86
	ds_load_u16 v97, v84
	v_lshlrev_b32_e32 v86, s15, v12
	s_delay_alu instid0(VALU_DEP_1) | instskip(NEXT) | instid1(VALU_DEP_1)
	v_lshrrev_b32_e32 v89, 19, v86
	v_and_or_b32 v89, 0xe00, v89, v0
	s_delay_alu instid0(VALU_DEP_1) | instskip(SKIP_2) | instid1(VALU_DEP_2)
	v_alignbit_b32 v86, v89, v86, 31
	s_waitcnt lgkmcnt(0)
	v_add_nc_u16 v89, v97, 1
	v_lshlrev_b32_e32 v86, 1, v86
	ds_store_b16 v84, v89
	ds_load_u16 v98, v86
	v_lshlrev_b32_e32 v89, s15, v37
	s_delay_alu instid0(VALU_DEP_1) | instskip(NEXT) | instid1(VALU_DEP_1)
	v_lshrrev_b32_e32 v91, 19, v89
	v_and_or_b32 v91, 0xe00, v91, v0
	s_delay_alu instid0(VALU_DEP_1) | instskip(SKIP_2) | instid1(VALU_DEP_2)
	v_alignbit_b32 v89, v91, v89, 31
	s_waitcnt lgkmcnt(0)
	v_add_nc_u16 v91, v98, 1
	v_lshlrev_b32_e32 v89, 1, v89
	ds_store_b16 v86, v91
	ds_load_u16 v99, v89
	v_lshlrev_b32_e32 v91, s15, v38
	s_delay_alu instid0(VALU_DEP_1) | instskip(NEXT) | instid1(VALU_DEP_1)
	v_lshrrev_b32_e32 v93, 19, v91
	v_and_or_b32 v93, 0xe00, v93, v0
	s_delay_alu instid0(VALU_DEP_1) | instskip(SKIP_2) | instid1(VALU_DEP_2)
	v_alignbit_b32 v91, v93, v91, 31
	s_waitcnt lgkmcnt(0)
	v_add_nc_u16 v93, v99, 1
	v_lshlrev_b32_e32 v91, 1, v91
	ds_store_b16 v89, v93
	ds_load_u16 v100, v91
	v_lshlrev_b32_e32 v93, s15, v39
	s_delay_alu instid0(VALU_DEP_1) | instskip(NEXT) | instid1(VALU_DEP_1)
	v_lshrrev_b32_e32 v95, 19, v93
	v_and_or_b32 v95, 0xe00, v95, v0
	s_delay_alu instid0(VALU_DEP_1) | instskip(SKIP_2) | instid1(VALU_DEP_2)
	v_alignbit_b32 v93, v95, v93, 31
	s_waitcnt lgkmcnt(0)
	v_add_nc_u16 v95, v100, 1
	v_lshlrev_b32_e32 v93, 1, v93
	ds_store_b16 v91, v95
	ds_load_u16 v101, v93
	v_lshlrev_b32_e32 v95, s15, v13
	s_delay_alu instid0(VALU_DEP_1) | instskip(NEXT) | instid1(VALU_DEP_1)
	v_lshrrev_b32_e32 v102, 19, v95
	v_and_or_b32 v102, 0xe00, v102, v0
	s_delay_alu instid0(VALU_DEP_1) | instskip(SKIP_2) | instid1(VALU_DEP_2)
	v_alignbit_b32 v95, v102, v95, 31
	s_waitcnt lgkmcnt(0)
	v_add_nc_u16 v102, v101, 1
	v_lshlrev_b32_e32 v95, 1, v95
	ds_store_b16 v93, v102
	ds_load_u16 v102, v95
	s_waitcnt lgkmcnt(0)
	v_add_nc_u16 v103, v102, 1
	ds_store_b16 v95, v103
	s_waitcnt lgkmcnt(0)
	s_barrier
	buffer_gl0_inv
	ds_load_2addr_b32 v[103:104], v1 offset1:1
	ds_load_2addr_b32 v[105:106], v1 offset0:2 offset1:3
	ds_load_2addr_b32 v[107:108], v1 offset0:4 offset1:5
	;; [unrolled: 1-line block ×3, first 2 shown]
	s_waitcnt lgkmcnt(3)
	v_add_nc_u32_e32 v103, v104, v103
	s_waitcnt lgkmcnt(2)
	s_delay_alu instid0(VALU_DEP_1) | instskip(SKIP_1) | instid1(VALU_DEP_1)
	v_add3_u32 v103, v103, v105, v106
	s_waitcnt lgkmcnt(1)
	v_add3_u32 v103, v103, v107, v108
	s_waitcnt lgkmcnt(0)
	s_delay_alu instid0(VALU_DEP_1) | instskip(NEXT) | instid1(VALU_DEP_1)
	v_add3_u32 v103, v103, v109, v110
	v_mov_b32_dpp v104, v103 row_shr:1 row_mask:0xf bank_mask:0xf
	s_delay_alu instid0(VALU_DEP_1) | instskip(NEXT) | instid1(VALU_DEP_1)
	v_cndmask_b32_e64 v104, v104, 0, s3
	v_add_nc_u32_e32 v103, v104, v103
	s_delay_alu instid0(VALU_DEP_1) | instskip(NEXT) | instid1(VALU_DEP_1)
	v_mov_b32_dpp v104, v103 row_shr:2 row_mask:0xf bank_mask:0xf
	v_cndmask_b32_e64 v104, 0, v104, s4
	s_delay_alu instid0(VALU_DEP_1) | instskip(NEXT) | instid1(VALU_DEP_1)
	v_add_nc_u32_e32 v103, v103, v104
	v_mov_b32_dpp v104, v103 row_shr:4 row_mask:0xf bank_mask:0xf
	s_delay_alu instid0(VALU_DEP_1) | instskip(NEXT) | instid1(VALU_DEP_1)
	v_cndmask_b32_e64 v104, 0, v104, s5
	v_add_nc_u32_e32 v103, v103, v104
	s_delay_alu instid0(VALU_DEP_1) | instskip(NEXT) | instid1(VALU_DEP_1)
	v_mov_b32_dpp v104, v103 row_shr:8 row_mask:0xf bank_mask:0xf
	v_cndmask_b32_e64 v104, 0, v104, s6
	s_delay_alu instid0(VALU_DEP_1) | instskip(SKIP_3) | instid1(VALU_DEP_1)
	v_add_nc_u32_e32 v103, v103, v104
	ds_swizzle_b32 v104, v103 offset:swizzle(BROADCAST,32,15)
	s_waitcnt lgkmcnt(0)
	v_cndmask_b32_e64 v104, v104, 0, s7
	v_add_nc_u32_e32 v103, v103, v104
	s_and_saveexec_b32 s15, s8
	s_cbranch_execz .LBB87_8
; %bb.7:                                ;   in Loop: Header=BB87_4 Depth=2
	ds_store_b32 v4, v103 offset:16384
.LBB87_8:                               ;   in Loop: Header=BB87_4 Depth=2
	s_or_b32 exec_lo, exec_lo, s15
	s_waitcnt lgkmcnt(0)
	s_barrier
	buffer_gl0_inv
	s_and_saveexec_b32 s15, s0
	s_cbranch_execz .LBB87_10
; %bb.9:                                ;   in Loop: Header=BB87_4 Depth=2
	ds_load_b32 v104, v3 offset:16384
	s_waitcnt lgkmcnt(0)
	v_mov_b32_dpp v105, v104 row_shr:1 row_mask:0xf bank_mask:0xf
	s_delay_alu instid0(VALU_DEP_1) | instskip(NEXT) | instid1(VALU_DEP_1)
	v_cndmask_b32_e64 v105, v105, 0, s3
	v_add_nc_u32_e32 v104, v105, v104
	s_delay_alu instid0(VALU_DEP_1) | instskip(NEXT) | instid1(VALU_DEP_1)
	v_mov_b32_dpp v105, v104 row_shr:2 row_mask:0xf bank_mask:0xf
	v_cndmask_b32_e64 v105, 0, v105, s4
	s_delay_alu instid0(VALU_DEP_1) | instskip(NEXT) | instid1(VALU_DEP_1)
	v_add_nc_u32_e32 v104, v104, v105
	v_mov_b32_dpp v105, v104 row_shr:4 row_mask:0xf bank_mask:0xf
	s_delay_alu instid0(VALU_DEP_1) | instskip(NEXT) | instid1(VALU_DEP_1)
	v_cndmask_b32_e64 v105, 0, v105, s5
	v_add_nc_u32_e32 v104, v104, v105
	s_delay_alu instid0(VALU_DEP_1) | instskip(NEXT) | instid1(VALU_DEP_1)
	v_mov_b32_dpp v105, v104 row_shr:8 row_mask:0xf bank_mask:0xf
	v_cndmask_b32_e64 v105, 0, v105, s6
	s_delay_alu instid0(VALU_DEP_1)
	v_add_nc_u32_e32 v104, v104, v105
	ds_store_b32 v3, v104 offset:16384
.LBB87_10:                              ;   in Loop: Header=BB87_4 Depth=2
	s_or_b32 exec_lo, exec_lo, s15
	v_mov_b32_e32 v104, 0
	s_waitcnt lgkmcnt(0)
	s_barrier
	buffer_gl0_inv
	s_and_saveexec_b32 s15, s1
	s_cbranch_execz .LBB87_3
; %bb.11:                               ;   in Loop: Header=BB87_4 Depth=2
	ds_load_b32 v104, v4 offset:16380
	s_branch .LBB87_3
.LBB87_12:
	v_and_b32_e32 v0, 0xffff, v45
	v_and_b32_e32 v3, 0xffff, v48
	;; [unrolled: 1-line block ×11, first 2 shown]
	ds_load_u16 v36, v49
	ds_load_u16 v37, v46
	;; [unrolled: 1-line block ×32, first 2 shown]
	v_and_b32_e32 v13, 0xffff, v65
	v_and_b32_e32 v14, 0xffff, v66
	;; [unrolled: 1-line block ×21, first 2 shown]
	s_waitcnt lgkmcnt(24)
	v_add_nc_u32_e32 v2, v2, v0
	v_add_nc_u32_e32 v3, v28, v3
	;; [unrolled: 1-line block ×4, first 2 shown]
	s_lshl_b64 s[0:1], s[12:13], 2
	v_lshlrev_b32_e32 v0, 2, v1
	v_add_nc_u32_e32 v6, v39, v6
	v_add_nc_u32_e32 v7, v38, v7
	;; [unrolled: 1-line block ×4, first 2 shown]
	s_waitcnt lgkmcnt(16)
	v_add_nc_u32_e32 v10, v47, v10
	v_add_nc_u32_e32 v11, v48, v11
	;; [unrolled: 1-line block ×4, first 2 shown]
	s_add_u32 s0, s10, s0
	v_add_nc_u32_e32 v14, v44, v14
	v_add_nc_u32_e32 v15, v43, v15
	;; [unrolled: 1-line block ×4, first 2 shown]
	s_addc_u32 s1, s11, s1
	s_waitcnt lgkmcnt(8)
	v_add_nc_u32_e32 v18, v56, v19
	v_add_nc_u32_e32 v19, v55, v20
	v_add_nc_u32_e32 v20, v54, v21
	v_add_nc_u32_e32 v21, v53, v22
	v_add_nc_u32_e32 v22, v52, v23
	v_add_nc_u32_e32 v23, v51, v24
	v_add_nc_u32_e32 v24, v50, v25
	v_add_nc_u32_e32 v25, v49, v26
	s_waitcnt lgkmcnt(0)
	v_add_nc_u32_e32 v26, v64, v27
	v_add_nc_u32_e32 v27, v63, v29
	;; [unrolled: 1-line block ×8, first 2 shown]
	s_clause 0x7
	global_store_b128 v0, v[2:5], s[0:1]
	global_store_b128 v0, v[6:9], s[0:1] offset:16
	global_store_b128 v0, v[10:13], s[0:1] offset:32
	;; [unrolled: 1-line block ×7, first 2 shown]
	s_nop 0
	s_sendmsg sendmsg(MSG_DEALLOC_VGPRS)
	s_endpgm
	.section	.rodata,"a",@progbits
	.p2align	6, 0x0
	.amdhsa_kernel _Z11rank_kernelIhLj4ELb0EL18RadixRankAlgorithm0ELj512ELj32ELj10EEvPKT_Pi
		.amdhsa_group_segment_fixed_size 16448
		.amdhsa_private_segment_fixed_size 0
		.amdhsa_kernarg_size 16
		.amdhsa_user_sgpr_count 15
		.amdhsa_user_sgpr_dispatch_ptr 0
		.amdhsa_user_sgpr_queue_ptr 0
		.amdhsa_user_sgpr_kernarg_segment_ptr 1
		.amdhsa_user_sgpr_dispatch_id 0
		.amdhsa_user_sgpr_private_segment_size 0
		.amdhsa_wavefront_size32 1
		.amdhsa_uses_dynamic_stack 0
		.amdhsa_enable_private_segment 0
		.amdhsa_system_sgpr_workgroup_id_x 1
		.amdhsa_system_sgpr_workgroup_id_y 0
		.amdhsa_system_sgpr_workgroup_id_z 0
		.amdhsa_system_sgpr_workgroup_info 0
		.amdhsa_system_vgpr_workitem_id 0
		.amdhsa_next_free_vgpr 111
		.amdhsa_next_free_sgpr 17
		.amdhsa_reserve_vcc 1
		.amdhsa_float_round_mode_32 0
		.amdhsa_float_round_mode_16_64 0
		.amdhsa_float_denorm_mode_32 3
		.amdhsa_float_denorm_mode_16_64 3
		.amdhsa_dx10_clamp 1
		.amdhsa_ieee_mode 1
		.amdhsa_fp16_overflow 0
		.amdhsa_workgroup_processor_mode 1
		.amdhsa_memory_ordered 1
		.amdhsa_forward_progress 0
		.amdhsa_shared_vgpr_count 0
		.amdhsa_exception_fp_ieee_invalid_op 0
		.amdhsa_exception_fp_denorm_src 0
		.amdhsa_exception_fp_ieee_div_zero 0
		.amdhsa_exception_fp_ieee_overflow 0
		.amdhsa_exception_fp_ieee_underflow 0
		.amdhsa_exception_fp_ieee_inexact 0
		.amdhsa_exception_int_div_zero 0
	.end_amdhsa_kernel
	.section	.text._Z11rank_kernelIhLj4ELb0EL18RadixRankAlgorithm0ELj512ELj32ELj10EEvPKT_Pi,"axG",@progbits,_Z11rank_kernelIhLj4ELb0EL18RadixRankAlgorithm0ELj512ELj32ELj10EEvPKT_Pi,comdat
.Lfunc_end87:
	.size	_Z11rank_kernelIhLj4ELb0EL18RadixRankAlgorithm0ELj512ELj32ELj10EEvPKT_Pi, .Lfunc_end87-_Z11rank_kernelIhLj4ELb0EL18RadixRankAlgorithm0ELj512ELj32ELj10EEvPKT_Pi
                                        ; -- End function
	.section	.AMDGPU.csdata,"",@progbits
; Kernel info:
; codeLenInByte = 4084
; NumSgprs: 19
; NumVgprs: 111
; ScratchSize: 0
; MemoryBound: 0
; FloatMode: 240
; IeeeMode: 1
; LDSByteSize: 16448 bytes/workgroup (compile time only)
; SGPRBlocks: 2
; VGPRBlocks: 13
; NumSGPRsForWavesPerEU: 19
; NumVGPRsForWavesPerEU: 111
; Occupancy: 12
; WaveLimiterHint : 0
; COMPUTE_PGM_RSRC2:SCRATCH_EN: 0
; COMPUTE_PGM_RSRC2:USER_SGPR: 15
; COMPUTE_PGM_RSRC2:TRAP_HANDLER: 0
; COMPUTE_PGM_RSRC2:TGID_X_EN: 1
; COMPUTE_PGM_RSRC2:TGID_Y_EN: 0
; COMPUTE_PGM_RSRC2:TGID_Z_EN: 0
; COMPUTE_PGM_RSRC2:TIDIG_COMP_CNT: 0
	.section	.text._Z11rank_kernelIhLj4ELb0EL18RadixRankAlgorithm1ELj512ELj32ELj10EEvPKT_Pi,"axG",@progbits,_Z11rank_kernelIhLj4ELb0EL18RadixRankAlgorithm1ELj512ELj32ELj10EEvPKT_Pi,comdat
	.protected	_Z11rank_kernelIhLj4ELb0EL18RadixRankAlgorithm1ELj512ELj32ELj10EEvPKT_Pi ; -- Begin function _Z11rank_kernelIhLj4ELb0EL18RadixRankAlgorithm1ELj512ELj32ELj10EEvPKT_Pi
	.globl	_Z11rank_kernelIhLj4ELb0EL18RadixRankAlgorithm1ELj512ELj32ELj10EEvPKT_Pi
	.p2align	8
	.type	_Z11rank_kernelIhLj4ELb0EL18RadixRankAlgorithm1ELj512ELj32ELj10EEvPKT_Pi,@function
_Z11rank_kernelIhLj4ELb0EL18RadixRankAlgorithm1ELj512ELj32ELj10EEvPKT_Pi: ; @_Z11rank_kernelIhLj4ELb0EL18RadixRankAlgorithm1ELj512ELj32ELj10EEvPKT_Pi
; %bb.0:
	s_load_b128 s[8:11], s[0:1], 0x0
	s_lshl_b32 s12, s15, 14
	v_dual_mov_b32 v10, 0 :: v_dual_lshlrev_b32 v9, 5, v0
	v_mbcnt_lo_u32_b32 v12, -1, 0
	v_or_b32_e32 v15, 31, v0
	v_lshrrev_b32_e32 v17, 3, v0
	v_lshlrev_b32_e32 v11, 2, v0
	v_or_b32_e32 v49, 0xfffffe00, v0
	v_add_nc_u32_e32 v16, -1, v12
	v_and_b32_e32 v13, 15, v12
	v_and_b32_e32 v14, 16, v12
	v_cmp_eq_u32_e64 s2, 0, v12
	s_mov_b32 s13, 0
	v_cmp_gt_i32_e32 vcc_lo, 0, v16
	v_cmp_eq_u32_e64 s3, 0, v13
	v_cmp_lt_u32_e64 s4, 1, v13
	v_cmp_lt_u32_e64 s5, 3, v13
	;; [unrolled: 1-line block ×3, first 2 shown]
	v_cmp_eq_u32_e64 s7, 0, v14
	s_waitcnt lgkmcnt(0)
	s_add_u32 s0, s8, s12
	s_addc_u32 s1, s9, 0
	v_cmp_eq_u32_e64 s8, v15, v0
	s_clause 0x1
	global_load_b128 v[1:4], v9, s[0:1]
	global_load_b128 v[5:8], v9, s[0:1] offset:16
	v_cndmask_b32_e32 v16, v16, v12, vcc_lo
	v_cmp_gt_u32_e64 s0, 16, v0
	v_cmp_lt_u32_e64 s1, 31, v0
	v_and_b32_e32 v12, 60, v17
	s_mov_b32 s9, s13
	s_waitcnt vmcnt(1)
	v_and_b32_e32 v29, 0xff, v3
	v_lshlrev_b32_e32 v13, 2, v16
	v_lshrrev_b32_e32 v14, 24, v1
	v_lshrrev_b32_e32 v15, 24, v2
	;; [unrolled: 1-line block ×4, first 2 shown]
	s_waitcnt vmcnt(0)
	v_lshrrev_b32_e32 v18, 24, v5
	v_lshrrev_b32_e32 v19, 24, v6
	;; [unrolled: 1-line block ×4, first 2 shown]
	v_and_b32_e32 v22, 0xff, v1
	v_bfe_u32 v23, v1, 8, 8
	v_bfe_u32 v24, v1, 16, 8
	v_and_b32_e32 v26, 0xff, v2
	v_bfe_u32 v27, v2, 8, 8
	v_bfe_u32 v28, v2, 16, 8
	;; [unrolled: 1-line block ×4, first 2 shown]
	v_and_b32_e32 v32, 0xff, v4
	v_bfe_u32 v33, v4, 8, 8
	v_bfe_u32 v34, v4, 16, 8
	v_and_b32_e32 v35, 0xff, v5
	v_bfe_u32 v37, v5, 8, 8
	v_bfe_u32 v38, v5, 16, 8
	;; [unrolled: 3-line block ×5, first 2 shown]
	s_branch .LBB88_2
.LBB88_1:                               ;   in Loop: Header=BB88_2 Depth=1
	s_add_i32 s9, s9, 1
	s_delay_alu instid0(SALU_CYCLE_1)
	s_cmp_eq_u32 s9, 10
	s_cbranch_scc1 .LBB88_12
.LBB88_2:                               ; =>This Loop Header: Depth=1
                                        ;     Child Loop BB88_4 Depth 2
                                        ;       Child Loop BB88_5 Depth 3
	s_mov_b32 s15, 28
	s_mov_b32 s16, -1
	s_branch .LBB88_4
.LBB88_3:                               ;   in Loop: Header=BB88_4 Depth=2
	s_or_b32 exec_lo, exec_lo, s15
	s_waitcnt lgkmcnt(0)
	v_add_nc_u32_e32 v2, v111, v2
	ds_load_b32 v112, v10 offset:16444
	s_mov_b32 s15, 24
	s_mov_b32 s16, 0
	s_and_not1_b32 vcc_lo, exec_lo, s14
	ds_bpermute_b32 v2, v13, v2
	s_waitcnt lgkmcnt(0)
	v_cndmask_b32_e64 v2, v2, v111, s2
	s_delay_alu instid0(VALU_DEP_1) | instskip(NEXT) | instid1(VALU_DEP_1)
	v_lshl_add_u32 v2, v112, 16, v2
	v_add_nc_u32_e32 v5, v2, v5
	s_delay_alu instid0(VALU_DEP_1) | instskip(NEXT) | instid1(VALU_DEP_1)
	v_add_nc_u32_e32 v6, v5, v6
	v_add_nc_u32_e32 v7, v6, v7
	s_delay_alu instid0(VALU_DEP_1) | instskip(NEXT) | instid1(VALU_DEP_1)
	v_add_nc_u32_e32 v8, v7, v8
	;; [unrolled: 3-line block ×3, first 2 shown]
	v_add_nc_u32_e32 v1, v4, v1
	ds_store_2addr_b32 v9, v2, v5 offset1:1
	ds_store_2addr_b32 v9, v6, v7 offset0:2 offset1:3
	ds_store_2addr_b32 v9, v8, v3 offset0:4 offset1:5
	;; [unrolled: 1-line block ×3, first 2 shown]
	s_waitcnt lgkmcnt(0)
	s_barrier
	buffer_gl0_inv
	s_cbranch_vccz .LBB88_1
.LBB88_4:                               ;   Parent Loop BB88_2 Depth=1
                                        ; =>  This Loop Header: Depth=2
                                        ;       Child Loop BB88_5 Depth 3
	v_dual_mov_b32 v1, v49 :: v_dual_mov_b32 v2, v11
	s_xor_b32 s14, s16, -1
	s_mov_b32 s16, 0
.LBB88_5:                               ;   Parent Loop BB88_2 Depth=1
                                        ;     Parent Loop BB88_4 Depth=2
                                        ; =>    This Inner Loop Header: Depth=3
	s_delay_alu instid0(VALU_DEP_1) | instskip(SKIP_4) | instid1(SALU_CYCLE_1)
	v_add_nc_u32_e32 v1, 0x200, v1
	ds_store_b32 v2, v10
	v_add_nc_u32_e32 v2, 0x800, v2
	v_cmp_lt_u32_e32 vcc_lo, 0xdff, v1
	s_or_b32 s16, vcc_lo, s16
	s_and_not1_b32 exec_lo, exec_lo, s16
	s_cbranch_execnz .LBB88_5
; %bb.6:                                ;   in Loop: Header=BB88_4 Depth=2
	s_or_b32 exec_lo, exec_lo, s16
	v_lshlrev_b32_e32 v1, s15, v22
	s_delay_alu instid0(VALU_DEP_1) | instskip(NEXT) | instid1(VALU_DEP_1)
	v_lshrrev_b32_e32 v2, 19, v1
	v_and_or_b32 v2, 0xe00, v2, v0
	s_delay_alu instid0(VALU_DEP_1) | instskip(NEXT) | instid1(VALU_DEP_1)
	v_alignbit_b32 v1, v2, v1, 31
	v_lshlrev_b32_e32 v25, 1, v1
	v_lshlrev_b32_e32 v1, s15, v23
	ds_load_u16 v53, v25
	v_lshrrev_b32_e32 v2, 19, v1
	s_delay_alu instid0(VALU_DEP_1) | instskip(NEXT) | instid1(VALU_DEP_1)
	v_and_or_b32 v2, 0xe00, v2, v0
	v_alignbit_b32 v1, v2, v1, 31
	s_delay_alu instid0(VALU_DEP_1)
	v_lshlrev_b32_e32 v36, 1, v1
	v_lshlrev_b32_e32 v1, s15, v24
	s_waitcnt lgkmcnt(0)
	v_add_nc_u16 v2, v53, 1
	ds_store_b16 v25, v2
	ds_load_u16 v56, v36
	v_lshrrev_b32_e32 v2, 19, v1
	s_delay_alu instid0(VALU_DEP_1) | instskip(NEXT) | instid1(VALU_DEP_1)
	v_and_or_b32 v2, 0xe00, v2, v0
	v_alignbit_b32 v1, v2, v1, 31
	s_delay_alu instid0(VALU_DEP_1)
	v_lshlrev_b32_e32 v48, 1, v1
	v_lshlrev_b32_e32 v1, s15, v14
	s_waitcnt lgkmcnt(0)
	v_add_nc_u16 v2, v56, 1
	ds_store_b16 v36, v2
	;; [unrolled: 11-line block ×30, first 2 shown]
	ds_load_u16 v109, v101
	v_lshrrev_b32_e32 v2, 19, v1
	s_delay_alu instid0(VALU_DEP_1) | instskip(NEXT) | instid1(VALU_DEP_1)
	v_and_or_b32 v2, 0xe00, v2, v0
	v_alignbit_b32 v1, v2, v1, 31
	s_delay_alu instid0(VALU_DEP_1)
	v_lshlrev_b32_e32 v103, 1, v1
	s_waitcnt lgkmcnt(0)
	v_add_nc_u16 v2, v109, 1
	ds_store_b16 v101, v2
	ds_load_u16 v110, v103
	s_waitcnt lgkmcnt(0)
	v_add_nc_u16 v1, v110, 1
	ds_store_b16 v103, v1
	s_waitcnt lgkmcnt(0)
	s_barrier
	buffer_gl0_inv
	ds_load_2addr_b32 v[5:6], v9 offset1:1
	ds_load_2addr_b32 v[7:8], v9 offset0:2 offset1:3
	ds_load_2addr_b32 v[3:4], v9 offset0:4 offset1:5
	;; [unrolled: 1-line block ×3, first 2 shown]
	s_waitcnt lgkmcnt(3)
	v_add_nc_u32_e32 v111, v6, v5
	s_waitcnt lgkmcnt(2)
	s_delay_alu instid0(VALU_DEP_1) | instskip(SKIP_1) | instid1(VALU_DEP_1)
	v_add3_u32 v111, v111, v7, v8
	s_waitcnt lgkmcnt(1)
	v_add3_u32 v111, v111, v3, v4
	s_waitcnt lgkmcnt(0)
	s_delay_alu instid0(VALU_DEP_1) | instskip(NEXT) | instid1(VALU_DEP_1)
	v_add3_u32 v2, v111, v1, v2
	v_mov_b32_dpp v111, v2 row_shr:1 row_mask:0xf bank_mask:0xf
	s_delay_alu instid0(VALU_DEP_1) | instskip(NEXT) | instid1(VALU_DEP_1)
	v_cndmask_b32_e64 v111, v111, 0, s3
	v_add_nc_u32_e32 v2, v111, v2
	s_delay_alu instid0(VALU_DEP_1) | instskip(NEXT) | instid1(VALU_DEP_1)
	v_mov_b32_dpp v111, v2 row_shr:2 row_mask:0xf bank_mask:0xf
	v_cndmask_b32_e64 v111, 0, v111, s4
	s_delay_alu instid0(VALU_DEP_1) | instskip(NEXT) | instid1(VALU_DEP_1)
	v_add_nc_u32_e32 v2, v2, v111
	v_mov_b32_dpp v111, v2 row_shr:4 row_mask:0xf bank_mask:0xf
	s_delay_alu instid0(VALU_DEP_1) | instskip(NEXT) | instid1(VALU_DEP_1)
	v_cndmask_b32_e64 v111, 0, v111, s5
	v_add_nc_u32_e32 v2, v2, v111
	s_delay_alu instid0(VALU_DEP_1) | instskip(NEXT) | instid1(VALU_DEP_1)
	v_mov_b32_dpp v111, v2 row_shr:8 row_mask:0xf bank_mask:0xf
	v_cndmask_b32_e64 v111, 0, v111, s6
	s_delay_alu instid0(VALU_DEP_1) | instskip(SKIP_3) | instid1(VALU_DEP_1)
	v_add_nc_u32_e32 v2, v2, v111
	ds_swizzle_b32 v111, v2 offset:swizzle(BROADCAST,32,15)
	s_waitcnt lgkmcnt(0)
	v_cndmask_b32_e64 v111, v111, 0, s7
	v_add_nc_u32_e32 v2, v2, v111
	s_and_saveexec_b32 s15, s8
	s_cbranch_execz .LBB88_8
; %bb.7:                                ;   in Loop: Header=BB88_4 Depth=2
	ds_store_b32 v12, v2 offset:16384
.LBB88_8:                               ;   in Loop: Header=BB88_4 Depth=2
	s_or_b32 exec_lo, exec_lo, s15
	s_waitcnt lgkmcnt(0)
	s_barrier
	buffer_gl0_inv
	s_and_saveexec_b32 s15, s0
	s_cbranch_execz .LBB88_10
; %bb.9:                                ;   in Loop: Header=BB88_4 Depth=2
	ds_load_b32 v111, v11 offset:16384
	s_waitcnt lgkmcnt(0)
	v_mov_b32_dpp v112, v111 row_shr:1 row_mask:0xf bank_mask:0xf
	s_delay_alu instid0(VALU_DEP_1) | instskip(NEXT) | instid1(VALU_DEP_1)
	v_cndmask_b32_e64 v112, v112, 0, s3
	v_add_nc_u32_e32 v111, v112, v111
	s_delay_alu instid0(VALU_DEP_1) | instskip(NEXT) | instid1(VALU_DEP_1)
	v_mov_b32_dpp v112, v111 row_shr:2 row_mask:0xf bank_mask:0xf
	v_cndmask_b32_e64 v112, 0, v112, s4
	s_delay_alu instid0(VALU_DEP_1) | instskip(NEXT) | instid1(VALU_DEP_1)
	v_add_nc_u32_e32 v111, v111, v112
	v_mov_b32_dpp v112, v111 row_shr:4 row_mask:0xf bank_mask:0xf
	s_delay_alu instid0(VALU_DEP_1) | instskip(NEXT) | instid1(VALU_DEP_1)
	v_cndmask_b32_e64 v112, 0, v112, s5
	v_add_nc_u32_e32 v111, v111, v112
	s_delay_alu instid0(VALU_DEP_1) | instskip(NEXT) | instid1(VALU_DEP_1)
	v_mov_b32_dpp v112, v111 row_shr:8 row_mask:0xf bank_mask:0xf
	v_cndmask_b32_e64 v112, 0, v112, s6
	s_delay_alu instid0(VALU_DEP_1)
	v_add_nc_u32_e32 v111, v111, v112
	ds_store_b32 v11, v111 offset:16384
.LBB88_10:                              ;   in Loop: Header=BB88_4 Depth=2
	s_or_b32 exec_lo, exec_lo, s15
	v_mov_b32_e32 v111, 0
	s_waitcnt lgkmcnt(0)
	s_barrier
	buffer_gl0_inv
	s_and_saveexec_b32 s15, s1
	s_cbranch_execz .LBB88_3
; %bb.11:                               ;   in Loop: Header=BB88_4 Depth=2
	ds_load_b32 v111, v12 offset:16380
	s_branch .LBB88_3
.LBB88_12:
	v_and_b32_e32 v0, 0xffff, v53
	v_and_b32_e32 v1, 0xffff, v56
	;; [unrolled: 1-line block ×6, first 2 shown]
	ds_load_u16 v10, v57
	ds_load_u16 v35, v54
	;; [unrolled: 1-line block ×32, first 2 shown]
	v_and_b32_e32 v7, 0xffff, v68
	v_and_b32_e32 v8, 0xffff, v69
	;; [unrolled: 1-line block ×26, first 2 shown]
	s_waitcnt lgkmcnt(24)
	v_add_nc_u32_e32 v0, v25, v0
	v_add_nc_u32_e32 v1, v36, v1
	;; [unrolled: 1-line block ×5, first 2 shown]
	s_waitcnt lgkmcnt(16)
	v_add_nc_u32_e32 v10, v48, v8
	s_lshl_b64 s[0:1], s[12:13], 2
	v_lshlrev_b32_e32 v8, 2, v9
	v_add_nc_u32_e32 v4, v38, v4
	v_add_nc_u32_e32 v5, v37, v5
	;; [unrolled: 1-line block ×6, first 2 shown]
	s_add_u32 s0, s10, s0
	v_add_nc_u32_e32 v14, v44, v14
	v_add_nc_u32_e32 v15, v43, v15
	;; [unrolled: 1-line block ×4, first 2 shown]
	s_addc_u32 s1, s11, s1
	s_waitcnt lgkmcnt(8)
	v_add_nc_u32_e32 v18, v56, v18
	v_add_nc_u32_e32 v19, v55, v19
	;; [unrolled: 1-line block ×8, first 2 shown]
	s_waitcnt lgkmcnt(0)
	v_add_nc_u32_e32 v26, v64, v27
	v_add_nc_u32_e32 v27, v63, v28
	;; [unrolled: 1-line block ×8, first 2 shown]
	s_clause 0x7
	global_store_b128 v8, v[0:3], s[0:1]
	global_store_b128 v8, v[4:7], s[0:1] offset:16
	global_store_b128 v8, v[10:13], s[0:1] offset:32
	;; [unrolled: 1-line block ×7, first 2 shown]
	s_nop 0
	s_sendmsg sendmsg(MSG_DEALLOC_VGPRS)
	s_endpgm
	.section	.rodata,"a",@progbits
	.p2align	6, 0x0
	.amdhsa_kernel _Z11rank_kernelIhLj4ELb0EL18RadixRankAlgorithm1ELj512ELj32ELj10EEvPKT_Pi
		.amdhsa_group_segment_fixed_size 16448
		.amdhsa_private_segment_fixed_size 0
		.amdhsa_kernarg_size 16
		.amdhsa_user_sgpr_count 15
		.amdhsa_user_sgpr_dispatch_ptr 0
		.amdhsa_user_sgpr_queue_ptr 0
		.amdhsa_user_sgpr_kernarg_segment_ptr 1
		.amdhsa_user_sgpr_dispatch_id 0
		.amdhsa_user_sgpr_private_segment_size 0
		.amdhsa_wavefront_size32 1
		.amdhsa_uses_dynamic_stack 0
		.amdhsa_enable_private_segment 0
		.amdhsa_system_sgpr_workgroup_id_x 1
		.amdhsa_system_sgpr_workgroup_id_y 0
		.amdhsa_system_sgpr_workgroup_id_z 0
		.amdhsa_system_sgpr_workgroup_info 0
		.amdhsa_system_vgpr_workitem_id 0
		.amdhsa_next_free_vgpr 113
		.amdhsa_next_free_sgpr 17
		.amdhsa_reserve_vcc 1
		.amdhsa_float_round_mode_32 0
		.amdhsa_float_round_mode_16_64 0
		.amdhsa_float_denorm_mode_32 3
		.amdhsa_float_denorm_mode_16_64 3
		.amdhsa_dx10_clamp 1
		.amdhsa_ieee_mode 1
		.amdhsa_fp16_overflow 0
		.amdhsa_workgroup_processor_mode 1
		.amdhsa_memory_ordered 1
		.amdhsa_forward_progress 0
		.amdhsa_shared_vgpr_count 0
		.amdhsa_exception_fp_ieee_invalid_op 0
		.amdhsa_exception_fp_denorm_src 0
		.amdhsa_exception_fp_ieee_div_zero 0
		.amdhsa_exception_fp_ieee_overflow 0
		.amdhsa_exception_fp_ieee_underflow 0
		.amdhsa_exception_fp_ieee_inexact 0
		.amdhsa_exception_int_div_zero 0
	.end_amdhsa_kernel
	.section	.text._Z11rank_kernelIhLj4ELb0EL18RadixRankAlgorithm1ELj512ELj32ELj10EEvPKT_Pi,"axG",@progbits,_Z11rank_kernelIhLj4ELb0EL18RadixRankAlgorithm1ELj512ELj32ELj10EEvPKT_Pi,comdat
.Lfunc_end88:
	.size	_Z11rank_kernelIhLj4ELb0EL18RadixRankAlgorithm1ELj512ELj32ELj10EEvPKT_Pi, .Lfunc_end88-_Z11rank_kernelIhLj4ELb0EL18RadixRankAlgorithm1ELj512ELj32ELj10EEvPKT_Pi
                                        ; -- End function
	.section	.AMDGPU.csdata,"",@progbits
; Kernel info:
; codeLenInByte = 4044
; NumSgprs: 19
; NumVgprs: 113
; ScratchSize: 0
; MemoryBound: 0
; FloatMode: 240
; IeeeMode: 1
; LDSByteSize: 16448 bytes/workgroup (compile time only)
; SGPRBlocks: 2
; VGPRBlocks: 14
; NumSGPRsForWavesPerEU: 19
; NumVGPRsForWavesPerEU: 113
; Occupancy: 12
; WaveLimiterHint : 0
; COMPUTE_PGM_RSRC2:SCRATCH_EN: 0
; COMPUTE_PGM_RSRC2:USER_SGPR: 15
; COMPUTE_PGM_RSRC2:TRAP_HANDLER: 0
; COMPUTE_PGM_RSRC2:TGID_X_EN: 1
; COMPUTE_PGM_RSRC2:TGID_Y_EN: 0
; COMPUTE_PGM_RSRC2:TGID_Z_EN: 0
; COMPUTE_PGM_RSRC2:TIDIG_COMP_CNT: 0
	.section	.text._Z11rank_kernelIhLj4ELb0EL18RadixRankAlgorithm2ELj512ELj32ELj10EEvPKT_Pi,"axG",@progbits,_Z11rank_kernelIhLj4ELb0EL18RadixRankAlgorithm2ELj512ELj32ELj10EEvPKT_Pi,comdat
	.protected	_Z11rank_kernelIhLj4ELb0EL18RadixRankAlgorithm2ELj512ELj32ELj10EEvPKT_Pi ; -- Begin function _Z11rank_kernelIhLj4ELb0EL18RadixRankAlgorithm2ELj512ELj32ELj10EEvPKT_Pi
	.globl	_Z11rank_kernelIhLj4ELb0EL18RadixRankAlgorithm2ELj512ELj32ELj10EEvPKT_Pi
	.p2align	8
	.type	_Z11rank_kernelIhLj4ELb0EL18RadixRankAlgorithm2ELj512ELj32ELj10EEvPKT_Pi,@function
_Z11rank_kernelIhLj4ELb0EL18RadixRankAlgorithm2ELj512ELj32ELj10EEvPKT_Pi: ; @_Z11rank_kernelIhLj4ELb0EL18RadixRankAlgorithm2ELj512ELj32ELj10EEvPKT_Pi
; %bb.0:
	s_clause 0x1
	s_load_b128 s[8:11], s[0:1], 0x0
	s_load_b32 s6, s[0:1], 0x1c
	v_mbcnt_lo_u32_b32 v3, -1, 0
	s_lshl_b32 s12, s15, 14
	v_bfe_u32 v5, v0, 10, 10
	v_bfe_u32 v6, v0, 20, 10
	s_mov_b32 s13, 0
	v_add_nc_u32_e32 v9, -1, v3
	v_and_b32_e32 v7, 15, v3
	v_and_b32_e32 v8, 16, v3
	s_mov_b32 s14, s13
	v_mov_b32_e32 v2, 0
	v_cmp_gt_i32_e32 vcc_lo, 0, v9
	v_and_b32_e32 v4, 0x3ff, v0
	v_cmp_lt_u32_e64 s2, 1, v7
	v_cmp_lt_u32_e64 s3, 3, v7
	;; [unrolled: 1-line block ×3, first 2 shown]
	v_cmp_eq_u32_e64 s5, 0, v8
	v_lshlrev_b32_e32 v1, 5, v4
	s_waitcnt lgkmcnt(0)
	s_add_u32 s0, s8, s12
	s_addc_u32 s1, s9, 0
	s_lshr_b32 s7, s6, 16
	s_clause 0x1
	global_load_b128 v[23:26], v1, s[0:1]
	global_load_b128 v[35:38], v1, s[0:1] offset:16
	v_mad_u32_u24 v5, v6, s7, v5
	s_and_b32 s6, s6, 0xffff
	v_cmp_eq_u32_e64 s1, 0, v7
	v_cmp_eq_u32_e64 s0, 0, v3
	s_delay_alu instid0(VALU_DEP_3)
	v_mad_u64_u32 v[6:7], null, v5, s6, v[4:5]
	v_cndmask_b32_e32 v5, v9, v3, vcc_lo
	v_lshrrev_b32_e32 v10, 3, v4
	v_or_b32_e32 v8, 31, v4
	v_lshlrev_b32_e32 v0, 2, v4
	v_cmp_gt_u32_e64 s6, 16, v4
	v_cmp_lt_u32_e64 s7, 31, v4
	v_and_b32_e32 v3, 60, v10
	v_cmp_eq_u32_e64 s8, v8, v4
	v_lshlrev_b32_e32 v4, 2, v5
	v_lshrrev_b32_e32 v6, 5, v6
	s_delay_alu instid0(VALU_DEP_4)
	v_add_nc_u32_e32 v5, -4, v3
	s_waitcnt vmcnt(1)
	v_lshrrev_b32_e32 v7, 24, v23
	v_lshrrev_b32_e32 v8, 24, v24
	;; [unrolled: 1-line block ×4, first 2 shown]
	s_waitcnt vmcnt(0)
	v_lshrrev_b32_e32 v11, 24, v35
	v_lshrrev_b32_e32 v12, 24, v36
	;; [unrolled: 1-line block ×4, first 2 shown]
	v_and_b32_e32 v15, 0xff, v23
	v_bfe_u32 v16, v23, 8, 8
	v_bfe_u32 v17, v23, 16, 8
	v_and_b32_e32 v18, 0xff, v24
	v_bfe_u32 v19, v24, 8, 8
	v_bfe_u32 v20, v24, 16, 8
	;; [unrolled: 3-line block ×8, first 2 shown]
	s_branch .LBB89_2
.LBB89_1:                               ;   in Loop: Header=BB89_2 Depth=1
	s_add_i32 s14, s14, 1
	s_delay_alu instid0(SALU_CYCLE_1)
	s_cmp_eq_u32 s14, 10
	s_cbranch_scc1 .LBB89_74
.LBB89_2:                               ; =>This Loop Header: Depth=1
                                        ;     Child Loop BB89_4 Depth 2
	s_mov_b32 s15, -1
	s_mov_b32 s16, 28
	s_branch .LBB89_4
.LBB89_3:                               ;   in Loop: Header=BB89_4 Depth=2
	s_or_b32 exec_lo, exec_lo, s9
	s_waitcnt lgkmcnt(0)
	v_add_nc_u32_e32 v134, v135, v134
	s_xor_b32 s9, s15, -1
	s_mov_b32 s16, 24
	s_mov_b32 s15, 0
	s_and_not1_b32 vcc_lo, exec_lo, s9
	ds_bpermute_b32 v134, v4, v134
	s_waitcnt lgkmcnt(0)
	v_cndmask_b32_e64 v134, v134, v135, s0
	ds_store_b32 v0, v134 offset:64
	s_waitcnt lgkmcnt(0)
	s_barrier
	buffer_gl0_inv
	s_cbranch_vccz .LBB89_1
.LBB89_4:                               ;   Parent Loop BB89_2 Depth=1
                                        ; =>  This Inner Loop Header: Depth=2
	v_lshlrev_b32_e32 v39, s16, v15
	ds_store_b32 v0, v2 offset:64
	s_waitcnt lgkmcnt(0)
	s_barrier
	buffer_gl0_inv
	v_bfe_u32 v40, v39, 28, 1
	v_lshrrev_b32_e32 v42, 28, v39
	v_not_b32_e32 v45, v39
	; wave barrier
	s_delay_alu instid0(VALU_DEP_3) | instskip(NEXT) | instid1(VALU_DEP_1)
	v_add_co_u32 v40, s9, v40, -1
	v_cndmask_b32_e64 v41, 0, 1, s9
	s_delay_alu instid0(VALU_DEP_4) | instskip(SKIP_1) | instid1(VALU_DEP_3)
	v_lshlrev_b32_e32 v43, 30, v42
	v_lshlrev_b32_e32 v44, 29, v42
	v_cmp_ne_u32_e32 vcc_lo, 0, v41
	s_delay_alu instid0(VALU_DEP_3) | instskip(SKIP_1) | instid1(VALU_DEP_4)
	v_not_b32_e32 v41, v43
	v_cmp_gt_i32_e64 s9, 0, v43
	v_not_b32_e32 v43, v44
	v_xor_b32_e32 v40, vcc_lo, v40
	s_delay_alu instid0(VALU_DEP_4) | instskip(SKIP_1) | instid1(VALU_DEP_4)
	v_ashrrev_i32_e32 v41, 31, v41
	v_cmp_gt_i32_e32 vcc_lo, 0, v44
	v_ashrrev_i32_e32 v43, 31, v43
	s_delay_alu instid0(VALU_DEP_4) | instskip(NEXT) | instid1(VALU_DEP_4)
	v_and_b32_e32 v40, exec_lo, v40
	v_xor_b32_e32 v41, s9, v41
	v_cmp_gt_i32_e64 s9, 0, v39
	v_ashrrev_i32_e32 v39, 31, v45
	v_xor_b32_e32 v43, vcc_lo, v43
	s_delay_alu instid0(VALU_DEP_4) | instskip(NEXT) | instid1(VALU_DEP_3)
	v_and_b32_e32 v40, v40, v41
	v_xor_b32_e32 v39, s9, v39
	s_delay_alu instid0(VALU_DEP_2) | instskip(NEXT) | instid1(VALU_DEP_1)
	v_and_b32_e32 v40, v40, v43
	v_and_b32_e32 v41, v40, v39
	v_mad_u32_u24 v40, v42, 17, v6
	s_delay_alu instid0(VALU_DEP_2) | instskip(SKIP_1) | instid1(VALU_DEP_3)
	v_mbcnt_lo_u32_b32 v39, v41, 0
	v_cmp_ne_u32_e64 s9, 0, v41
	v_lshl_add_u32 v40, v40, 2, 64
	s_delay_alu instid0(VALU_DEP_3) | instskip(NEXT) | instid1(VALU_DEP_3)
	v_cmp_eq_u32_e32 vcc_lo, 0, v39
	s_and_b32 s17, vcc_lo, s9
	s_delay_alu instid0(SALU_CYCLE_1)
	s_and_saveexec_b32 s9, s17
	s_cbranch_execz .LBB89_6
; %bb.5:                                ;   in Loop: Header=BB89_4 Depth=2
	v_bcnt_u32_b32 v41, v41, 0
	ds_store_b32 v40, v41
.LBB89_6:                               ;   in Loop: Header=BB89_4 Depth=2
	s_or_b32 exec_lo, exec_lo, s9
	v_lshlrev_b32_e32 v41, s16, v16
	; wave barrier
	s_delay_alu instid0(VALU_DEP_1) | instskip(SKIP_2) | instid1(VALU_DEP_3)
	v_bfe_u32 v42, v41, 28, 1
	v_lshrrev_b32_e32 v43, 28, v41
	v_not_b32_e32 v47, v41
	v_add_co_u32 v42, s9, v42, -1
	s_delay_alu instid0(VALU_DEP_1) | instskip(NEXT) | instid1(VALU_DEP_4)
	v_cndmask_b32_e64 v44, 0, 1, s9
	v_lshlrev_b32_e32 v45, 30, v43
	v_lshlrev_b32_e32 v46, 29, v43
	s_delay_alu instid0(VALU_DEP_3) | instskip(NEXT) | instid1(VALU_DEP_3)
	v_cmp_ne_u32_e32 vcc_lo, 0, v44
	v_not_b32_e32 v44, v45
	v_cmp_gt_i32_e64 s9, 0, v45
	s_delay_alu instid0(VALU_DEP_4) | instskip(SKIP_1) | instid1(VALU_DEP_4)
	v_not_b32_e32 v45, v46
	v_xor_b32_e32 v42, vcc_lo, v42
	v_ashrrev_i32_e32 v44, 31, v44
	v_cmp_gt_i32_e32 vcc_lo, 0, v46
	s_delay_alu instid0(VALU_DEP_4) | instskip(NEXT) | instid1(VALU_DEP_4)
	v_ashrrev_i32_e32 v45, 31, v45
	v_and_b32_e32 v42, exec_lo, v42
	s_delay_alu instid0(VALU_DEP_4)
	v_xor_b32_e32 v44, s9, v44
	v_cmp_gt_i32_e64 s9, 0, v41
	v_mul_u32_u24_e32 v41, 17, v43
	v_ashrrev_i32_e32 v43, 31, v47
	v_xor_b32_e32 v45, vcc_lo, v45
	v_and_b32_e32 v42, v42, v44
	s_delay_alu instid0(VALU_DEP_4) | instskip(NEXT) | instid1(VALU_DEP_4)
	v_add_lshl_u32 v46, v41, v6, 2
	v_xor_b32_e32 v43, s9, v43
	s_delay_alu instid0(VALU_DEP_3) | instskip(SKIP_3) | instid1(VALU_DEP_2)
	v_and_b32_e32 v42, v42, v45
	ds_load_b32 v41, v46 offset:64
	; wave barrier
	v_and_b32_e32 v44, v42, v43
	v_add_nc_u32_e32 v43, 64, v46
	v_mbcnt_lo_u32_b32 v42, v44, 0
	v_cmp_ne_u32_e64 s9, 0, v44
	s_delay_alu instid0(VALU_DEP_2) | instskip(NEXT) | instid1(VALU_DEP_2)
	v_cmp_eq_u32_e32 vcc_lo, 0, v42
	s_and_b32 s17, vcc_lo, s9
	s_delay_alu instid0(SALU_CYCLE_1)
	s_and_saveexec_b32 s9, s17
	s_cbranch_execz .LBB89_8
; %bb.7:                                ;   in Loop: Header=BB89_4 Depth=2
	s_waitcnt lgkmcnt(0)
	v_bcnt_u32_b32 v44, v44, v41
	ds_store_b32 v43, v44
.LBB89_8:                               ;   in Loop: Header=BB89_4 Depth=2
	s_or_b32 exec_lo, exec_lo, s9
	v_lshlrev_b32_e32 v44, s16, v17
	; wave barrier
	s_delay_alu instid0(VALU_DEP_1) | instskip(SKIP_2) | instid1(VALU_DEP_3)
	v_bfe_u32 v45, v44, 28, 1
	v_lshrrev_b32_e32 v46, 28, v44
	v_not_b32_e32 v50, v44
	v_add_co_u32 v45, s9, v45, -1
	s_delay_alu instid0(VALU_DEP_1) | instskip(NEXT) | instid1(VALU_DEP_4)
	v_cndmask_b32_e64 v47, 0, 1, s9
	v_lshlrev_b32_e32 v48, 30, v46
	v_lshlrev_b32_e32 v49, 29, v46
	s_delay_alu instid0(VALU_DEP_3) | instskip(NEXT) | instid1(VALU_DEP_3)
	v_cmp_ne_u32_e32 vcc_lo, 0, v47
	v_not_b32_e32 v47, v48
	v_cmp_gt_i32_e64 s9, 0, v48
	s_delay_alu instid0(VALU_DEP_4) | instskip(SKIP_1) | instid1(VALU_DEP_4)
	v_not_b32_e32 v48, v49
	v_xor_b32_e32 v45, vcc_lo, v45
	v_ashrrev_i32_e32 v47, 31, v47
	v_cmp_gt_i32_e32 vcc_lo, 0, v49
	s_delay_alu instid0(VALU_DEP_4) | instskip(NEXT) | instid1(VALU_DEP_4)
	v_ashrrev_i32_e32 v48, 31, v48
	v_and_b32_e32 v45, exec_lo, v45
	s_delay_alu instid0(VALU_DEP_4)
	v_xor_b32_e32 v47, s9, v47
	v_cmp_gt_i32_e64 s9, 0, v44
	v_mul_u32_u24_e32 v44, 17, v46
	v_ashrrev_i32_e32 v46, 31, v50
	v_xor_b32_e32 v48, vcc_lo, v48
	v_and_b32_e32 v45, v45, v47
	s_delay_alu instid0(VALU_DEP_4) | instskip(NEXT) | instid1(VALU_DEP_4)
	v_add_lshl_u32 v49, v44, v6, 2
	v_xor_b32_e32 v46, s9, v46
	s_delay_alu instid0(VALU_DEP_3) | instskip(SKIP_3) | instid1(VALU_DEP_2)
	v_and_b32_e32 v45, v45, v48
	ds_load_b32 v44, v49 offset:64
	; wave barrier
	v_and_b32_e32 v47, v45, v46
	v_add_nc_u32_e32 v46, 64, v49
	v_mbcnt_lo_u32_b32 v45, v47, 0
	v_cmp_ne_u32_e64 s9, 0, v47
	s_delay_alu instid0(VALU_DEP_2) | instskip(NEXT) | instid1(VALU_DEP_2)
	v_cmp_eq_u32_e32 vcc_lo, 0, v45
	s_and_b32 s17, vcc_lo, s9
	s_delay_alu instid0(SALU_CYCLE_1)
	s_and_saveexec_b32 s9, s17
	s_cbranch_execz .LBB89_10
; %bb.9:                                ;   in Loop: Header=BB89_4 Depth=2
	s_waitcnt lgkmcnt(0)
	v_bcnt_u32_b32 v47, v47, v44
	ds_store_b32 v46, v47
.LBB89_10:                              ;   in Loop: Header=BB89_4 Depth=2
	s_or_b32 exec_lo, exec_lo, s9
	v_lshlrev_b32_e32 v47, s16, v7
	; wave barrier
	s_delay_alu instid0(VALU_DEP_1) | instskip(SKIP_2) | instid1(VALU_DEP_3)
	v_bfe_u32 v48, v47, 28, 1
	v_lshrrev_b32_e32 v49, 28, v47
	v_not_b32_e32 v53, v47
	v_add_co_u32 v48, s9, v48, -1
	s_delay_alu instid0(VALU_DEP_1) | instskip(NEXT) | instid1(VALU_DEP_4)
	v_cndmask_b32_e64 v50, 0, 1, s9
	v_lshlrev_b32_e32 v51, 30, v49
	v_lshlrev_b32_e32 v52, 29, v49
	s_delay_alu instid0(VALU_DEP_3) | instskip(NEXT) | instid1(VALU_DEP_3)
	v_cmp_ne_u32_e32 vcc_lo, 0, v50
	v_not_b32_e32 v50, v51
	v_cmp_gt_i32_e64 s9, 0, v51
	s_delay_alu instid0(VALU_DEP_4) | instskip(SKIP_1) | instid1(VALU_DEP_4)
	v_not_b32_e32 v51, v52
	v_xor_b32_e32 v48, vcc_lo, v48
	v_ashrrev_i32_e32 v50, 31, v50
	v_cmp_gt_i32_e32 vcc_lo, 0, v52
	s_delay_alu instid0(VALU_DEP_4) | instskip(NEXT) | instid1(VALU_DEP_4)
	v_ashrrev_i32_e32 v51, 31, v51
	v_and_b32_e32 v48, exec_lo, v48
	s_delay_alu instid0(VALU_DEP_4)
	v_xor_b32_e32 v50, s9, v50
	v_cmp_gt_i32_e64 s9, 0, v47
	v_mul_u32_u24_e32 v47, 17, v49
	v_ashrrev_i32_e32 v49, 31, v53
	v_xor_b32_e32 v51, vcc_lo, v51
	v_and_b32_e32 v48, v48, v50
	s_delay_alu instid0(VALU_DEP_4) | instskip(NEXT) | instid1(VALU_DEP_4)
	v_add_lshl_u32 v52, v47, v6, 2
	v_xor_b32_e32 v49, s9, v49
	s_delay_alu instid0(VALU_DEP_3) | instskip(SKIP_3) | instid1(VALU_DEP_2)
	v_and_b32_e32 v48, v48, v51
	ds_load_b32 v47, v52 offset:64
	; wave barrier
	v_and_b32_e32 v50, v48, v49
	v_add_nc_u32_e32 v49, 64, v52
	v_mbcnt_lo_u32_b32 v48, v50, 0
	v_cmp_ne_u32_e64 s9, 0, v50
	s_delay_alu instid0(VALU_DEP_2) | instskip(NEXT) | instid1(VALU_DEP_2)
	v_cmp_eq_u32_e32 vcc_lo, 0, v48
	s_and_b32 s17, vcc_lo, s9
	s_delay_alu instid0(SALU_CYCLE_1)
	s_and_saveexec_b32 s9, s17
	s_cbranch_execz .LBB89_12
; %bb.11:                               ;   in Loop: Header=BB89_4 Depth=2
	s_waitcnt lgkmcnt(0)
	v_bcnt_u32_b32 v50, v50, v47
	ds_store_b32 v49, v50
.LBB89_12:                              ;   in Loop: Header=BB89_4 Depth=2
	s_or_b32 exec_lo, exec_lo, s9
	v_lshlrev_b32_e32 v50, s16, v18
	; wave barrier
	s_delay_alu instid0(VALU_DEP_1) | instskip(SKIP_2) | instid1(VALU_DEP_3)
	v_bfe_u32 v51, v50, 28, 1
	v_lshrrev_b32_e32 v52, 28, v50
	v_not_b32_e32 v56, v50
	v_add_co_u32 v51, s9, v51, -1
	s_delay_alu instid0(VALU_DEP_1) | instskip(NEXT) | instid1(VALU_DEP_4)
	v_cndmask_b32_e64 v53, 0, 1, s9
	v_lshlrev_b32_e32 v54, 30, v52
	v_lshlrev_b32_e32 v55, 29, v52
	s_delay_alu instid0(VALU_DEP_3) | instskip(NEXT) | instid1(VALU_DEP_3)
	v_cmp_ne_u32_e32 vcc_lo, 0, v53
	v_not_b32_e32 v53, v54
	v_cmp_gt_i32_e64 s9, 0, v54
	s_delay_alu instid0(VALU_DEP_4) | instskip(SKIP_1) | instid1(VALU_DEP_4)
	v_not_b32_e32 v54, v55
	v_xor_b32_e32 v51, vcc_lo, v51
	v_ashrrev_i32_e32 v53, 31, v53
	v_cmp_gt_i32_e32 vcc_lo, 0, v55
	s_delay_alu instid0(VALU_DEP_4) | instskip(NEXT) | instid1(VALU_DEP_4)
	v_ashrrev_i32_e32 v54, 31, v54
	v_and_b32_e32 v51, exec_lo, v51
	s_delay_alu instid0(VALU_DEP_4)
	v_xor_b32_e32 v53, s9, v53
	v_cmp_gt_i32_e64 s9, 0, v50
	v_mul_u32_u24_e32 v50, 17, v52
	v_ashrrev_i32_e32 v52, 31, v56
	v_xor_b32_e32 v54, vcc_lo, v54
	v_and_b32_e32 v51, v51, v53
	s_delay_alu instid0(VALU_DEP_4) | instskip(NEXT) | instid1(VALU_DEP_4)
	v_add_lshl_u32 v55, v50, v6, 2
	v_xor_b32_e32 v52, s9, v52
	s_delay_alu instid0(VALU_DEP_3) | instskip(SKIP_3) | instid1(VALU_DEP_2)
	v_and_b32_e32 v51, v51, v54
	ds_load_b32 v50, v55 offset:64
	; wave barrier
	v_and_b32_e32 v53, v51, v52
	v_add_nc_u32_e32 v52, 64, v55
	v_mbcnt_lo_u32_b32 v51, v53, 0
	v_cmp_ne_u32_e64 s9, 0, v53
	s_delay_alu instid0(VALU_DEP_2) | instskip(NEXT) | instid1(VALU_DEP_2)
	v_cmp_eq_u32_e32 vcc_lo, 0, v51
	s_and_b32 s17, vcc_lo, s9
	s_delay_alu instid0(SALU_CYCLE_1)
	s_and_saveexec_b32 s9, s17
	s_cbranch_execz .LBB89_14
; %bb.13:                               ;   in Loop: Header=BB89_4 Depth=2
	s_waitcnt lgkmcnt(0)
	v_bcnt_u32_b32 v53, v53, v50
	ds_store_b32 v52, v53
.LBB89_14:                              ;   in Loop: Header=BB89_4 Depth=2
	s_or_b32 exec_lo, exec_lo, s9
	v_lshlrev_b32_e32 v53, s16, v19
	; wave barrier
	s_delay_alu instid0(VALU_DEP_1) | instskip(SKIP_2) | instid1(VALU_DEP_3)
	v_bfe_u32 v54, v53, 28, 1
	v_lshrrev_b32_e32 v55, 28, v53
	v_not_b32_e32 v59, v53
	v_add_co_u32 v54, s9, v54, -1
	s_delay_alu instid0(VALU_DEP_1) | instskip(NEXT) | instid1(VALU_DEP_4)
	v_cndmask_b32_e64 v56, 0, 1, s9
	v_lshlrev_b32_e32 v57, 30, v55
	v_lshlrev_b32_e32 v58, 29, v55
	s_delay_alu instid0(VALU_DEP_3) | instskip(NEXT) | instid1(VALU_DEP_3)
	v_cmp_ne_u32_e32 vcc_lo, 0, v56
	v_not_b32_e32 v56, v57
	v_cmp_gt_i32_e64 s9, 0, v57
	s_delay_alu instid0(VALU_DEP_4) | instskip(SKIP_1) | instid1(VALU_DEP_4)
	v_not_b32_e32 v57, v58
	v_xor_b32_e32 v54, vcc_lo, v54
	v_ashrrev_i32_e32 v56, 31, v56
	v_cmp_gt_i32_e32 vcc_lo, 0, v58
	s_delay_alu instid0(VALU_DEP_4) | instskip(NEXT) | instid1(VALU_DEP_4)
	v_ashrrev_i32_e32 v57, 31, v57
	v_and_b32_e32 v54, exec_lo, v54
	s_delay_alu instid0(VALU_DEP_4)
	v_xor_b32_e32 v56, s9, v56
	v_cmp_gt_i32_e64 s9, 0, v53
	v_mul_u32_u24_e32 v53, 17, v55
	v_ashrrev_i32_e32 v55, 31, v59
	v_xor_b32_e32 v57, vcc_lo, v57
	v_and_b32_e32 v54, v54, v56
	s_delay_alu instid0(VALU_DEP_4) | instskip(NEXT) | instid1(VALU_DEP_4)
	v_add_lshl_u32 v58, v53, v6, 2
	v_xor_b32_e32 v55, s9, v55
	s_delay_alu instid0(VALU_DEP_3) | instskip(SKIP_3) | instid1(VALU_DEP_2)
	v_and_b32_e32 v54, v54, v57
	ds_load_b32 v53, v58 offset:64
	; wave barrier
	v_and_b32_e32 v56, v54, v55
	v_add_nc_u32_e32 v55, 64, v58
	v_mbcnt_lo_u32_b32 v54, v56, 0
	v_cmp_ne_u32_e64 s9, 0, v56
	s_delay_alu instid0(VALU_DEP_2) | instskip(NEXT) | instid1(VALU_DEP_2)
	v_cmp_eq_u32_e32 vcc_lo, 0, v54
	s_and_b32 s17, vcc_lo, s9
	s_delay_alu instid0(SALU_CYCLE_1)
	s_and_saveexec_b32 s9, s17
	s_cbranch_execz .LBB89_16
; %bb.15:                               ;   in Loop: Header=BB89_4 Depth=2
	s_waitcnt lgkmcnt(0)
	v_bcnt_u32_b32 v56, v56, v53
	ds_store_b32 v55, v56
.LBB89_16:                              ;   in Loop: Header=BB89_4 Depth=2
	s_or_b32 exec_lo, exec_lo, s9
	v_lshlrev_b32_e32 v56, s16, v20
	; wave barrier
	s_delay_alu instid0(VALU_DEP_1) | instskip(SKIP_2) | instid1(VALU_DEP_3)
	v_bfe_u32 v57, v56, 28, 1
	v_lshrrev_b32_e32 v58, 28, v56
	v_not_b32_e32 v62, v56
	v_add_co_u32 v57, s9, v57, -1
	s_delay_alu instid0(VALU_DEP_1) | instskip(NEXT) | instid1(VALU_DEP_4)
	v_cndmask_b32_e64 v59, 0, 1, s9
	v_lshlrev_b32_e32 v60, 30, v58
	v_lshlrev_b32_e32 v61, 29, v58
	s_delay_alu instid0(VALU_DEP_3) | instskip(NEXT) | instid1(VALU_DEP_3)
	v_cmp_ne_u32_e32 vcc_lo, 0, v59
	v_not_b32_e32 v59, v60
	v_cmp_gt_i32_e64 s9, 0, v60
	s_delay_alu instid0(VALU_DEP_4) | instskip(SKIP_1) | instid1(VALU_DEP_4)
	v_not_b32_e32 v60, v61
	v_xor_b32_e32 v57, vcc_lo, v57
	v_ashrrev_i32_e32 v59, 31, v59
	v_cmp_gt_i32_e32 vcc_lo, 0, v61
	s_delay_alu instid0(VALU_DEP_4) | instskip(NEXT) | instid1(VALU_DEP_4)
	v_ashrrev_i32_e32 v60, 31, v60
	v_and_b32_e32 v57, exec_lo, v57
	s_delay_alu instid0(VALU_DEP_4)
	v_xor_b32_e32 v59, s9, v59
	v_cmp_gt_i32_e64 s9, 0, v56
	v_mul_u32_u24_e32 v56, 17, v58
	v_ashrrev_i32_e32 v58, 31, v62
	v_xor_b32_e32 v60, vcc_lo, v60
	v_and_b32_e32 v57, v57, v59
	s_delay_alu instid0(VALU_DEP_4) | instskip(NEXT) | instid1(VALU_DEP_4)
	v_add_lshl_u32 v61, v56, v6, 2
	v_xor_b32_e32 v58, s9, v58
	s_delay_alu instid0(VALU_DEP_3) | instskip(SKIP_3) | instid1(VALU_DEP_2)
	v_and_b32_e32 v57, v57, v60
	ds_load_b32 v56, v61 offset:64
	; wave barrier
	v_and_b32_e32 v59, v57, v58
	v_add_nc_u32_e32 v58, 64, v61
	v_mbcnt_lo_u32_b32 v57, v59, 0
	v_cmp_ne_u32_e64 s9, 0, v59
	s_delay_alu instid0(VALU_DEP_2) | instskip(NEXT) | instid1(VALU_DEP_2)
	v_cmp_eq_u32_e32 vcc_lo, 0, v57
	s_and_b32 s17, vcc_lo, s9
	s_delay_alu instid0(SALU_CYCLE_1)
	s_and_saveexec_b32 s9, s17
	s_cbranch_execz .LBB89_18
; %bb.17:                               ;   in Loop: Header=BB89_4 Depth=2
	s_waitcnt lgkmcnt(0)
	v_bcnt_u32_b32 v59, v59, v56
	ds_store_b32 v58, v59
.LBB89_18:                              ;   in Loop: Header=BB89_4 Depth=2
	s_or_b32 exec_lo, exec_lo, s9
	v_lshlrev_b32_e32 v59, s16, v8
	; wave barrier
	s_delay_alu instid0(VALU_DEP_1) | instskip(SKIP_2) | instid1(VALU_DEP_3)
	v_bfe_u32 v60, v59, 28, 1
	v_lshrrev_b32_e32 v61, 28, v59
	v_not_b32_e32 v65, v59
	v_add_co_u32 v60, s9, v60, -1
	s_delay_alu instid0(VALU_DEP_1) | instskip(NEXT) | instid1(VALU_DEP_4)
	v_cndmask_b32_e64 v62, 0, 1, s9
	v_lshlrev_b32_e32 v63, 30, v61
	v_lshlrev_b32_e32 v64, 29, v61
	s_delay_alu instid0(VALU_DEP_3) | instskip(NEXT) | instid1(VALU_DEP_3)
	v_cmp_ne_u32_e32 vcc_lo, 0, v62
	v_not_b32_e32 v62, v63
	v_cmp_gt_i32_e64 s9, 0, v63
	s_delay_alu instid0(VALU_DEP_4) | instskip(SKIP_1) | instid1(VALU_DEP_4)
	v_not_b32_e32 v63, v64
	v_xor_b32_e32 v60, vcc_lo, v60
	v_ashrrev_i32_e32 v62, 31, v62
	v_cmp_gt_i32_e32 vcc_lo, 0, v64
	s_delay_alu instid0(VALU_DEP_4) | instskip(NEXT) | instid1(VALU_DEP_4)
	v_ashrrev_i32_e32 v63, 31, v63
	v_and_b32_e32 v60, exec_lo, v60
	s_delay_alu instid0(VALU_DEP_4)
	v_xor_b32_e32 v62, s9, v62
	v_cmp_gt_i32_e64 s9, 0, v59
	v_mul_u32_u24_e32 v59, 17, v61
	v_ashrrev_i32_e32 v61, 31, v65
	v_xor_b32_e32 v63, vcc_lo, v63
	v_and_b32_e32 v60, v60, v62
	s_delay_alu instid0(VALU_DEP_4) | instskip(NEXT) | instid1(VALU_DEP_4)
	v_add_lshl_u32 v64, v59, v6, 2
	v_xor_b32_e32 v61, s9, v61
	s_delay_alu instid0(VALU_DEP_3) | instskip(SKIP_3) | instid1(VALU_DEP_2)
	v_and_b32_e32 v60, v60, v63
	ds_load_b32 v59, v64 offset:64
	; wave barrier
	v_and_b32_e32 v62, v60, v61
	v_add_nc_u32_e32 v61, 64, v64
	v_mbcnt_lo_u32_b32 v60, v62, 0
	v_cmp_ne_u32_e64 s9, 0, v62
	s_delay_alu instid0(VALU_DEP_2) | instskip(NEXT) | instid1(VALU_DEP_2)
	v_cmp_eq_u32_e32 vcc_lo, 0, v60
	s_and_b32 s17, vcc_lo, s9
	s_delay_alu instid0(SALU_CYCLE_1)
	s_and_saveexec_b32 s9, s17
	s_cbranch_execz .LBB89_20
; %bb.19:                               ;   in Loop: Header=BB89_4 Depth=2
	s_waitcnt lgkmcnt(0)
	v_bcnt_u32_b32 v62, v62, v59
	ds_store_b32 v61, v62
.LBB89_20:                              ;   in Loop: Header=BB89_4 Depth=2
	s_or_b32 exec_lo, exec_lo, s9
	v_lshlrev_b32_e32 v62, s16, v21
	; wave barrier
	s_delay_alu instid0(VALU_DEP_1) | instskip(SKIP_2) | instid1(VALU_DEP_3)
	v_bfe_u32 v63, v62, 28, 1
	v_lshrrev_b32_e32 v64, 28, v62
	v_not_b32_e32 v68, v62
	v_add_co_u32 v63, s9, v63, -1
	s_delay_alu instid0(VALU_DEP_1) | instskip(NEXT) | instid1(VALU_DEP_4)
	v_cndmask_b32_e64 v65, 0, 1, s9
	v_lshlrev_b32_e32 v66, 30, v64
	v_lshlrev_b32_e32 v67, 29, v64
	s_delay_alu instid0(VALU_DEP_3) | instskip(NEXT) | instid1(VALU_DEP_3)
	v_cmp_ne_u32_e32 vcc_lo, 0, v65
	v_not_b32_e32 v65, v66
	v_cmp_gt_i32_e64 s9, 0, v66
	s_delay_alu instid0(VALU_DEP_4) | instskip(SKIP_1) | instid1(VALU_DEP_4)
	v_not_b32_e32 v66, v67
	v_xor_b32_e32 v63, vcc_lo, v63
	v_ashrrev_i32_e32 v65, 31, v65
	v_cmp_gt_i32_e32 vcc_lo, 0, v67
	s_delay_alu instid0(VALU_DEP_4) | instskip(NEXT) | instid1(VALU_DEP_4)
	v_ashrrev_i32_e32 v66, 31, v66
	v_and_b32_e32 v63, exec_lo, v63
	s_delay_alu instid0(VALU_DEP_4)
	v_xor_b32_e32 v65, s9, v65
	v_cmp_gt_i32_e64 s9, 0, v62
	v_mul_u32_u24_e32 v62, 17, v64
	v_ashrrev_i32_e32 v64, 31, v68
	v_xor_b32_e32 v66, vcc_lo, v66
	v_and_b32_e32 v63, v63, v65
	s_delay_alu instid0(VALU_DEP_4) | instskip(NEXT) | instid1(VALU_DEP_4)
	v_add_lshl_u32 v67, v62, v6, 2
	v_xor_b32_e32 v64, s9, v64
	s_delay_alu instid0(VALU_DEP_3) | instskip(SKIP_3) | instid1(VALU_DEP_2)
	v_and_b32_e32 v63, v63, v66
	ds_load_b32 v62, v67 offset:64
	; wave barrier
	v_and_b32_e32 v65, v63, v64
	v_add_nc_u32_e32 v64, 64, v67
	v_mbcnt_lo_u32_b32 v63, v65, 0
	v_cmp_ne_u32_e64 s9, 0, v65
	s_delay_alu instid0(VALU_DEP_2) | instskip(NEXT) | instid1(VALU_DEP_2)
	v_cmp_eq_u32_e32 vcc_lo, 0, v63
	s_and_b32 s17, vcc_lo, s9
	s_delay_alu instid0(SALU_CYCLE_1)
	s_and_saveexec_b32 s9, s17
	s_cbranch_execz .LBB89_22
; %bb.21:                               ;   in Loop: Header=BB89_4 Depth=2
	s_waitcnt lgkmcnt(0)
	v_bcnt_u32_b32 v65, v65, v62
	ds_store_b32 v64, v65
.LBB89_22:                              ;   in Loop: Header=BB89_4 Depth=2
	s_or_b32 exec_lo, exec_lo, s9
	v_lshlrev_b32_e32 v65, s16, v22
	; wave barrier
	s_delay_alu instid0(VALU_DEP_1) | instskip(SKIP_2) | instid1(VALU_DEP_3)
	v_bfe_u32 v66, v65, 28, 1
	v_lshrrev_b32_e32 v67, 28, v65
	v_not_b32_e32 v71, v65
	v_add_co_u32 v66, s9, v66, -1
	s_delay_alu instid0(VALU_DEP_1) | instskip(NEXT) | instid1(VALU_DEP_4)
	v_cndmask_b32_e64 v68, 0, 1, s9
	v_lshlrev_b32_e32 v69, 30, v67
	v_lshlrev_b32_e32 v70, 29, v67
	s_delay_alu instid0(VALU_DEP_3) | instskip(NEXT) | instid1(VALU_DEP_3)
	v_cmp_ne_u32_e32 vcc_lo, 0, v68
	v_not_b32_e32 v68, v69
	v_cmp_gt_i32_e64 s9, 0, v69
	s_delay_alu instid0(VALU_DEP_4) | instskip(SKIP_1) | instid1(VALU_DEP_4)
	v_not_b32_e32 v69, v70
	v_xor_b32_e32 v66, vcc_lo, v66
	v_ashrrev_i32_e32 v68, 31, v68
	v_cmp_gt_i32_e32 vcc_lo, 0, v70
	s_delay_alu instid0(VALU_DEP_4) | instskip(NEXT) | instid1(VALU_DEP_4)
	v_ashrrev_i32_e32 v69, 31, v69
	v_and_b32_e32 v66, exec_lo, v66
	s_delay_alu instid0(VALU_DEP_4)
	v_xor_b32_e32 v68, s9, v68
	v_cmp_gt_i32_e64 s9, 0, v65
	v_mul_u32_u24_e32 v65, 17, v67
	v_ashrrev_i32_e32 v67, 31, v71
	v_xor_b32_e32 v69, vcc_lo, v69
	v_and_b32_e32 v66, v66, v68
	s_delay_alu instid0(VALU_DEP_4) | instskip(NEXT) | instid1(VALU_DEP_4)
	v_add_lshl_u32 v70, v65, v6, 2
	v_xor_b32_e32 v67, s9, v67
	s_delay_alu instid0(VALU_DEP_3) | instskip(SKIP_3) | instid1(VALU_DEP_2)
	v_and_b32_e32 v66, v66, v69
	ds_load_b32 v65, v70 offset:64
	; wave barrier
	v_and_b32_e32 v68, v66, v67
	v_add_nc_u32_e32 v67, 64, v70
	v_mbcnt_lo_u32_b32 v66, v68, 0
	v_cmp_ne_u32_e64 s9, 0, v68
	s_delay_alu instid0(VALU_DEP_2) | instskip(NEXT) | instid1(VALU_DEP_2)
	v_cmp_eq_u32_e32 vcc_lo, 0, v66
	s_and_b32 s17, vcc_lo, s9
	s_delay_alu instid0(SALU_CYCLE_1)
	s_and_saveexec_b32 s9, s17
	s_cbranch_execz .LBB89_24
; %bb.23:                               ;   in Loop: Header=BB89_4 Depth=2
	s_waitcnt lgkmcnt(0)
	v_bcnt_u32_b32 v68, v68, v65
	ds_store_b32 v67, v68
.LBB89_24:                              ;   in Loop: Header=BB89_4 Depth=2
	s_or_b32 exec_lo, exec_lo, s9
	v_lshlrev_b32_e32 v68, s16, v23
	; wave barrier
	s_delay_alu instid0(VALU_DEP_1) | instskip(SKIP_2) | instid1(VALU_DEP_3)
	v_bfe_u32 v69, v68, 28, 1
	v_lshrrev_b32_e32 v70, 28, v68
	v_not_b32_e32 v74, v68
	v_add_co_u32 v69, s9, v69, -1
	s_delay_alu instid0(VALU_DEP_1) | instskip(NEXT) | instid1(VALU_DEP_4)
	v_cndmask_b32_e64 v71, 0, 1, s9
	v_lshlrev_b32_e32 v72, 30, v70
	v_lshlrev_b32_e32 v73, 29, v70
	s_delay_alu instid0(VALU_DEP_3) | instskip(NEXT) | instid1(VALU_DEP_3)
	v_cmp_ne_u32_e32 vcc_lo, 0, v71
	v_not_b32_e32 v71, v72
	v_cmp_gt_i32_e64 s9, 0, v72
	s_delay_alu instid0(VALU_DEP_4) | instskip(SKIP_1) | instid1(VALU_DEP_4)
	v_not_b32_e32 v72, v73
	v_xor_b32_e32 v69, vcc_lo, v69
	v_ashrrev_i32_e32 v71, 31, v71
	v_cmp_gt_i32_e32 vcc_lo, 0, v73
	s_delay_alu instid0(VALU_DEP_4) | instskip(NEXT) | instid1(VALU_DEP_4)
	v_ashrrev_i32_e32 v72, 31, v72
	v_and_b32_e32 v69, exec_lo, v69
	s_delay_alu instid0(VALU_DEP_4)
	v_xor_b32_e32 v71, s9, v71
	v_cmp_gt_i32_e64 s9, 0, v68
	v_mul_u32_u24_e32 v68, 17, v70
	v_ashrrev_i32_e32 v70, 31, v74
	v_xor_b32_e32 v72, vcc_lo, v72
	v_and_b32_e32 v69, v69, v71
	s_delay_alu instid0(VALU_DEP_4) | instskip(NEXT) | instid1(VALU_DEP_4)
	v_add_lshl_u32 v73, v68, v6, 2
	v_xor_b32_e32 v70, s9, v70
	s_delay_alu instid0(VALU_DEP_3) | instskip(SKIP_3) | instid1(VALU_DEP_2)
	v_and_b32_e32 v69, v69, v72
	ds_load_b32 v68, v73 offset:64
	; wave barrier
	v_and_b32_e32 v71, v69, v70
	v_add_nc_u32_e32 v70, 64, v73
	v_mbcnt_lo_u32_b32 v69, v71, 0
	v_cmp_ne_u32_e64 s9, 0, v71
	s_delay_alu instid0(VALU_DEP_2) | instskip(NEXT) | instid1(VALU_DEP_2)
	v_cmp_eq_u32_e32 vcc_lo, 0, v69
	s_and_b32 s17, vcc_lo, s9
	s_delay_alu instid0(SALU_CYCLE_1)
	s_and_saveexec_b32 s9, s17
	s_cbranch_execz .LBB89_26
; %bb.25:                               ;   in Loop: Header=BB89_4 Depth=2
	s_waitcnt lgkmcnt(0)
	v_bcnt_u32_b32 v71, v71, v68
	ds_store_b32 v70, v71
.LBB89_26:                              ;   in Loop: Header=BB89_4 Depth=2
	s_or_b32 exec_lo, exec_lo, s9
	v_lshlrev_b32_e32 v71, s16, v9
	; wave barrier
	s_delay_alu instid0(VALU_DEP_1) | instskip(SKIP_2) | instid1(VALU_DEP_3)
	v_bfe_u32 v72, v71, 28, 1
	v_lshrrev_b32_e32 v73, 28, v71
	v_not_b32_e32 v77, v71
	v_add_co_u32 v72, s9, v72, -1
	s_delay_alu instid0(VALU_DEP_1) | instskip(NEXT) | instid1(VALU_DEP_4)
	v_cndmask_b32_e64 v74, 0, 1, s9
	v_lshlrev_b32_e32 v75, 30, v73
	v_lshlrev_b32_e32 v76, 29, v73
	s_delay_alu instid0(VALU_DEP_3) | instskip(NEXT) | instid1(VALU_DEP_3)
	v_cmp_ne_u32_e32 vcc_lo, 0, v74
	v_not_b32_e32 v74, v75
	v_cmp_gt_i32_e64 s9, 0, v75
	s_delay_alu instid0(VALU_DEP_4) | instskip(SKIP_1) | instid1(VALU_DEP_4)
	v_not_b32_e32 v75, v76
	v_xor_b32_e32 v72, vcc_lo, v72
	v_ashrrev_i32_e32 v74, 31, v74
	v_cmp_gt_i32_e32 vcc_lo, 0, v76
	s_delay_alu instid0(VALU_DEP_4) | instskip(NEXT) | instid1(VALU_DEP_4)
	v_ashrrev_i32_e32 v75, 31, v75
	v_and_b32_e32 v72, exec_lo, v72
	s_delay_alu instid0(VALU_DEP_4)
	v_xor_b32_e32 v74, s9, v74
	v_cmp_gt_i32_e64 s9, 0, v71
	v_mul_u32_u24_e32 v71, 17, v73
	v_ashrrev_i32_e32 v73, 31, v77
	v_xor_b32_e32 v75, vcc_lo, v75
	v_and_b32_e32 v72, v72, v74
	s_delay_alu instid0(VALU_DEP_4) | instskip(NEXT) | instid1(VALU_DEP_4)
	v_add_lshl_u32 v76, v71, v6, 2
	v_xor_b32_e32 v73, s9, v73
	s_delay_alu instid0(VALU_DEP_3) | instskip(SKIP_3) | instid1(VALU_DEP_2)
	v_and_b32_e32 v72, v72, v75
	ds_load_b32 v71, v76 offset:64
	; wave barrier
	v_and_b32_e32 v74, v72, v73
	v_add_nc_u32_e32 v73, 64, v76
	v_mbcnt_lo_u32_b32 v72, v74, 0
	v_cmp_ne_u32_e64 s9, 0, v74
	s_delay_alu instid0(VALU_DEP_2) | instskip(NEXT) | instid1(VALU_DEP_2)
	v_cmp_eq_u32_e32 vcc_lo, 0, v72
	s_and_b32 s17, vcc_lo, s9
	s_delay_alu instid0(SALU_CYCLE_1)
	s_and_saveexec_b32 s9, s17
	s_cbranch_execz .LBB89_28
; %bb.27:                               ;   in Loop: Header=BB89_4 Depth=2
	s_waitcnt lgkmcnt(0)
	v_bcnt_u32_b32 v74, v74, v71
	ds_store_b32 v73, v74
.LBB89_28:                              ;   in Loop: Header=BB89_4 Depth=2
	s_or_b32 exec_lo, exec_lo, s9
	v_lshlrev_b32_e32 v74, s16, v24
	; wave barrier
	s_delay_alu instid0(VALU_DEP_1) | instskip(SKIP_2) | instid1(VALU_DEP_3)
	v_bfe_u32 v75, v74, 28, 1
	v_lshrrev_b32_e32 v76, 28, v74
	v_not_b32_e32 v80, v74
	v_add_co_u32 v75, s9, v75, -1
	s_delay_alu instid0(VALU_DEP_1) | instskip(NEXT) | instid1(VALU_DEP_4)
	v_cndmask_b32_e64 v77, 0, 1, s9
	v_lshlrev_b32_e32 v78, 30, v76
	v_lshlrev_b32_e32 v79, 29, v76
	s_delay_alu instid0(VALU_DEP_3) | instskip(NEXT) | instid1(VALU_DEP_3)
	v_cmp_ne_u32_e32 vcc_lo, 0, v77
	v_not_b32_e32 v77, v78
	v_cmp_gt_i32_e64 s9, 0, v78
	s_delay_alu instid0(VALU_DEP_4) | instskip(SKIP_1) | instid1(VALU_DEP_4)
	v_not_b32_e32 v78, v79
	v_xor_b32_e32 v75, vcc_lo, v75
	v_ashrrev_i32_e32 v77, 31, v77
	v_cmp_gt_i32_e32 vcc_lo, 0, v79
	s_delay_alu instid0(VALU_DEP_4) | instskip(NEXT) | instid1(VALU_DEP_4)
	v_ashrrev_i32_e32 v78, 31, v78
	v_and_b32_e32 v75, exec_lo, v75
	s_delay_alu instid0(VALU_DEP_4)
	v_xor_b32_e32 v77, s9, v77
	v_cmp_gt_i32_e64 s9, 0, v74
	v_mul_u32_u24_e32 v74, 17, v76
	v_ashrrev_i32_e32 v76, 31, v80
	v_xor_b32_e32 v78, vcc_lo, v78
	v_and_b32_e32 v75, v75, v77
	s_delay_alu instid0(VALU_DEP_4) | instskip(NEXT) | instid1(VALU_DEP_4)
	v_add_lshl_u32 v79, v74, v6, 2
	v_xor_b32_e32 v76, s9, v76
	s_delay_alu instid0(VALU_DEP_3) | instskip(SKIP_3) | instid1(VALU_DEP_2)
	v_and_b32_e32 v75, v75, v78
	ds_load_b32 v74, v79 offset:64
	; wave barrier
	v_and_b32_e32 v77, v75, v76
	v_add_nc_u32_e32 v76, 64, v79
	v_mbcnt_lo_u32_b32 v75, v77, 0
	v_cmp_ne_u32_e64 s9, 0, v77
	s_delay_alu instid0(VALU_DEP_2) | instskip(NEXT) | instid1(VALU_DEP_2)
	v_cmp_eq_u32_e32 vcc_lo, 0, v75
	s_and_b32 s17, vcc_lo, s9
	s_delay_alu instid0(SALU_CYCLE_1)
	s_and_saveexec_b32 s9, s17
	s_cbranch_execz .LBB89_30
; %bb.29:                               ;   in Loop: Header=BB89_4 Depth=2
	s_waitcnt lgkmcnt(0)
	v_bcnt_u32_b32 v77, v77, v74
	ds_store_b32 v76, v77
.LBB89_30:                              ;   in Loop: Header=BB89_4 Depth=2
	s_or_b32 exec_lo, exec_lo, s9
	v_lshlrev_b32_e32 v77, s16, v25
	; wave barrier
	s_delay_alu instid0(VALU_DEP_1) | instskip(SKIP_2) | instid1(VALU_DEP_3)
	v_bfe_u32 v78, v77, 28, 1
	v_lshrrev_b32_e32 v79, 28, v77
	v_not_b32_e32 v83, v77
	v_add_co_u32 v78, s9, v78, -1
	s_delay_alu instid0(VALU_DEP_1) | instskip(NEXT) | instid1(VALU_DEP_4)
	v_cndmask_b32_e64 v80, 0, 1, s9
	v_lshlrev_b32_e32 v81, 30, v79
	v_lshlrev_b32_e32 v82, 29, v79
	s_delay_alu instid0(VALU_DEP_3) | instskip(NEXT) | instid1(VALU_DEP_3)
	v_cmp_ne_u32_e32 vcc_lo, 0, v80
	v_not_b32_e32 v80, v81
	v_cmp_gt_i32_e64 s9, 0, v81
	s_delay_alu instid0(VALU_DEP_4) | instskip(SKIP_1) | instid1(VALU_DEP_4)
	v_not_b32_e32 v81, v82
	v_xor_b32_e32 v78, vcc_lo, v78
	v_ashrrev_i32_e32 v80, 31, v80
	v_cmp_gt_i32_e32 vcc_lo, 0, v82
	s_delay_alu instid0(VALU_DEP_4) | instskip(NEXT) | instid1(VALU_DEP_4)
	v_ashrrev_i32_e32 v81, 31, v81
	v_and_b32_e32 v78, exec_lo, v78
	s_delay_alu instid0(VALU_DEP_4)
	v_xor_b32_e32 v80, s9, v80
	v_cmp_gt_i32_e64 s9, 0, v77
	v_mul_u32_u24_e32 v77, 17, v79
	v_ashrrev_i32_e32 v79, 31, v83
	v_xor_b32_e32 v81, vcc_lo, v81
	v_and_b32_e32 v78, v78, v80
	s_delay_alu instid0(VALU_DEP_4) | instskip(NEXT) | instid1(VALU_DEP_4)
	v_add_lshl_u32 v82, v77, v6, 2
	v_xor_b32_e32 v79, s9, v79
	s_delay_alu instid0(VALU_DEP_3) | instskip(SKIP_3) | instid1(VALU_DEP_2)
	v_and_b32_e32 v78, v78, v81
	ds_load_b32 v77, v82 offset:64
	; wave barrier
	v_and_b32_e32 v80, v78, v79
	v_add_nc_u32_e32 v79, 64, v82
	v_mbcnt_lo_u32_b32 v78, v80, 0
	v_cmp_ne_u32_e64 s9, 0, v80
	s_delay_alu instid0(VALU_DEP_2) | instskip(NEXT) | instid1(VALU_DEP_2)
	v_cmp_eq_u32_e32 vcc_lo, 0, v78
	s_and_b32 s17, vcc_lo, s9
	s_delay_alu instid0(SALU_CYCLE_1)
	s_and_saveexec_b32 s9, s17
	s_cbranch_execz .LBB89_32
; %bb.31:                               ;   in Loop: Header=BB89_4 Depth=2
	s_waitcnt lgkmcnt(0)
	v_bcnt_u32_b32 v80, v80, v77
	ds_store_b32 v79, v80
.LBB89_32:                              ;   in Loop: Header=BB89_4 Depth=2
	s_or_b32 exec_lo, exec_lo, s9
	v_lshlrev_b32_e32 v80, s16, v26
	; wave barrier
	s_delay_alu instid0(VALU_DEP_1) | instskip(SKIP_2) | instid1(VALU_DEP_3)
	v_bfe_u32 v81, v80, 28, 1
	v_lshrrev_b32_e32 v82, 28, v80
	v_not_b32_e32 v86, v80
	v_add_co_u32 v81, s9, v81, -1
	s_delay_alu instid0(VALU_DEP_1) | instskip(NEXT) | instid1(VALU_DEP_4)
	v_cndmask_b32_e64 v83, 0, 1, s9
	v_lshlrev_b32_e32 v84, 30, v82
	v_lshlrev_b32_e32 v85, 29, v82
	s_delay_alu instid0(VALU_DEP_3) | instskip(NEXT) | instid1(VALU_DEP_3)
	v_cmp_ne_u32_e32 vcc_lo, 0, v83
	v_not_b32_e32 v83, v84
	v_cmp_gt_i32_e64 s9, 0, v84
	s_delay_alu instid0(VALU_DEP_4) | instskip(SKIP_1) | instid1(VALU_DEP_4)
	v_not_b32_e32 v84, v85
	v_xor_b32_e32 v81, vcc_lo, v81
	v_ashrrev_i32_e32 v83, 31, v83
	v_cmp_gt_i32_e32 vcc_lo, 0, v85
	s_delay_alu instid0(VALU_DEP_4) | instskip(NEXT) | instid1(VALU_DEP_4)
	v_ashrrev_i32_e32 v84, 31, v84
	v_and_b32_e32 v81, exec_lo, v81
	s_delay_alu instid0(VALU_DEP_4)
	v_xor_b32_e32 v83, s9, v83
	v_cmp_gt_i32_e64 s9, 0, v80
	v_mul_u32_u24_e32 v80, 17, v82
	v_ashrrev_i32_e32 v82, 31, v86
	v_xor_b32_e32 v84, vcc_lo, v84
	v_and_b32_e32 v81, v81, v83
	s_delay_alu instid0(VALU_DEP_4) | instskip(NEXT) | instid1(VALU_DEP_4)
	v_add_lshl_u32 v85, v80, v6, 2
	v_xor_b32_e32 v82, s9, v82
	s_delay_alu instid0(VALU_DEP_3) | instskip(SKIP_3) | instid1(VALU_DEP_2)
	v_and_b32_e32 v81, v81, v84
	ds_load_b32 v80, v85 offset:64
	; wave barrier
	v_and_b32_e32 v83, v81, v82
	v_add_nc_u32_e32 v82, 64, v85
	v_mbcnt_lo_u32_b32 v81, v83, 0
	v_cmp_ne_u32_e64 s9, 0, v83
	s_delay_alu instid0(VALU_DEP_2) | instskip(NEXT) | instid1(VALU_DEP_2)
	v_cmp_eq_u32_e32 vcc_lo, 0, v81
	s_and_b32 s17, vcc_lo, s9
	s_delay_alu instid0(SALU_CYCLE_1)
	s_and_saveexec_b32 s9, s17
	s_cbranch_execz .LBB89_34
; %bb.33:                               ;   in Loop: Header=BB89_4 Depth=2
	s_waitcnt lgkmcnt(0)
	v_bcnt_u32_b32 v83, v83, v80
	ds_store_b32 v82, v83
.LBB89_34:                              ;   in Loop: Header=BB89_4 Depth=2
	s_or_b32 exec_lo, exec_lo, s9
	v_lshlrev_b32_e32 v83, s16, v10
	; wave barrier
	s_delay_alu instid0(VALU_DEP_1) | instskip(SKIP_2) | instid1(VALU_DEP_3)
	v_bfe_u32 v84, v83, 28, 1
	v_lshrrev_b32_e32 v85, 28, v83
	v_not_b32_e32 v89, v83
	v_add_co_u32 v84, s9, v84, -1
	s_delay_alu instid0(VALU_DEP_1) | instskip(NEXT) | instid1(VALU_DEP_4)
	v_cndmask_b32_e64 v86, 0, 1, s9
	v_lshlrev_b32_e32 v87, 30, v85
	v_lshlrev_b32_e32 v88, 29, v85
	s_delay_alu instid0(VALU_DEP_3) | instskip(NEXT) | instid1(VALU_DEP_3)
	v_cmp_ne_u32_e32 vcc_lo, 0, v86
	v_not_b32_e32 v86, v87
	v_cmp_gt_i32_e64 s9, 0, v87
	s_delay_alu instid0(VALU_DEP_4) | instskip(SKIP_1) | instid1(VALU_DEP_4)
	v_not_b32_e32 v87, v88
	v_xor_b32_e32 v84, vcc_lo, v84
	v_ashrrev_i32_e32 v86, 31, v86
	v_cmp_gt_i32_e32 vcc_lo, 0, v88
	s_delay_alu instid0(VALU_DEP_4) | instskip(NEXT) | instid1(VALU_DEP_4)
	v_ashrrev_i32_e32 v87, 31, v87
	v_and_b32_e32 v84, exec_lo, v84
	s_delay_alu instid0(VALU_DEP_4)
	v_xor_b32_e32 v86, s9, v86
	v_cmp_gt_i32_e64 s9, 0, v83
	v_mul_u32_u24_e32 v83, 17, v85
	v_ashrrev_i32_e32 v85, 31, v89
	v_xor_b32_e32 v87, vcc_lo, v87
	v_and_b32_e32 v84, v84, v86
	s_delay_alu instid0(VALU_DEP_4) | instskip(NEXT) | instid1(VALU_DEP_4)
	v_add_lshl_u32 v88, v83, v6, 2
	v_xor_b32_e32 v85, s9, v85
	s_delay_alu instid0(VALU_DEP_3) | instskip(SKIP_3) | instid1(VALU_DEP_2)
	v_and_b32_e32 v84, v84, v87
	ds_load_b32 v83, v88 offset:64
	; wave barrier
	v_and_b32_e32 v86, v84, v85
	v_add_nc_u32_e32 v85, 64, v88
	v_mbcnt_lo_u32_b32 v84, v86, 0
	v_cmp_ne_u32_e64 s9, 0, v86
	s_delay_alu instid0(VALU_DEP_2) | instskip(NEXT) | instid1(VALU_DEP_2)
	v_cmp_eq_u32_e32 vcc_lo, 0, v84
	s_and_b32 s17, vcc_lo, s9
	s_delay_alu instid0(SALU_CYCLE_1)
	s_and_saveexec_b32 s9, s17
	s_cbranch_execz .LBB89_36
; %bb.35:                               ;   in Loop: Header=BB89_4 Depth=2
	s_waitcnt lgkmcnt(0)
	v_bcnt_u32_b32 v86, v86, v83
	ds_store_b32 v85, v86
.LBB89_36:                              ;   in Loop: Header=BB89_4 Depth=2
	s_or_b32 exec_lo, exec_lo, s9
	v_lshlrev_b32_e32 v86, s16, v27
	; wave barrier
	s_delay_alu instid0(VALU_DEP_1) | instskip(SKIP_2) | instid1(VALU_DEP_3)
	v_bfe_u32 v87, v86, 28, 1
	v_lshrrev_b32_e32 v88, 28, v86
	v_not_b32_e32 v92, v86
	v_add_co_u32 v87, s9, v87, -1
	s_delay_alu instid0(VALU_DEP_1) | instskip(NEXT) | instid1(VALU_DEP_4)
	v_cndmask_b32_e64 v89, 0, 1, s9
	v_lshlrev_b32_e32 v90, 30, v88
	v_lshlrev_b32_e32 v91, 29, v88
	s_delay_alu instid0(VALU_DEP_3) | instskip(NEXT) | instid1(VALU_DEP_3)
	v_cmp_ne_u32_e32 vcc_lo, 0, v89
	v_not_b32_e32 v89, v90
	v_cmp_gt_i32_e64 s9, 0, v90
	s_delay_alu instid0(VALU_DEP_4) | instskip(SKIP_1) | instid1(VALU_DEP_4)
	v_not_b32_e32 v90, v91
	v_xor_b32_e32 v87, vcc_lo, v87
	v_ashrrev_i32_e32 v89, 31, v89
	v_cmp_gt_i32_e32 vcc_lo, 0, v91
	s_delay_alu instid0(VALU_DEP_4) | instskip(NEXT) | instid1(VALU_DEP_4)
	v_ashrrev_i32_e32 v90, 31, v90
	v_and_b32_e32 v87, exec_lo, v87
	s_delay_alu instid0(VALU_DEP_4)
	v_xor_b32_e32 v89, s9, v89
	v_cmp_gt_i32_e64 s9, 0, v86
	v_mul_u32_u24_e32 v86, 17, v88
	v_ashrrev_i32_e32 v88, 31, v92
	v_xor_b32_e32 v90, vcc_lo, v90
	v_and_b32_e32 v87, v87, v89
	s_delay_alu instid0(VALU_DEP_4) | instskip(NEXT) | instid1(VALU_DEP_4)
	v_add_lshl_u32 v91, v86, v6, 2
	v_xor_b32_e32 v88, s9, v88
	s_delay_alu instid0(VALU_DEP_3) | instskip(SKIP_3) | instid1(VALU_DEP_2)
	v_and_b32_e32 v87, v87, v90
	ds_load_b32 v86, v91 offset:64
	; wave barrier
	v_and_b32_e32 v89, v87, v88
	v_add_nc_u32_e32 v88, 64, v91
	v_mbcnt_lo_u32_b32 v87, v89, 0
	v_cmp_ne_u32_e64 s9, 0, v89
	s_delay_alu instid0(VALU_DEP_2) | instskip(NEXT) | instid1(VALU_DEP_2)
	v_cmp_eq_u32_e32 vcc_lo, 0, v87
	s_and_b32 s17, vcc_lo, s9
	s_delay_alu instid0(SALU_CYCLE_1)
	s_and_saveexec_b32 s9, s17
	s_cbranch_execz .LBB89_38
; %bb.37:                               ;   in Loop: Header=BB89_4 Depth=2
	s_waitcnt lgkmcnt(0)
	v_bcnt_u32_b32 v89, v89, v86
	ds_store_b32 v88, v89
.LBB89_38:                              ;   in Loop: Header=BB89_4 Depth=2
	s_or_b32 exec_lo, exec_lo, s9
	v_lshlrev_b32_e32 v89, s16, v28
	; wave barrier
	s_delay_alu instid0(VALU_DEP_1) | instskip(SKIP_2) | instid1(VALU_DEP_3)
	v_bfe_u32 v90, v89, 28, 1
	v_lshrrev_b32_e32 v91, 28, v89
	v_not_b32_e32 v95, v89
	v_add_co_u32 v90, s9, v90, -1
	s_delay_alu instid0(VALU_DEP_1) | instskip(NEXT) | instid1(VALU_DEP_4)
	v_cndmask_b32_e64 v92, 0, 1, s9
	v_lshlrev_b32_e32 v93, 30, v91
	v_lshlrev_b32_e32 v94, 29, v91
	s_delay_alu instid0(VALU_DEP_3) | instskip(NEXT) | instid1(VALU_DEP_3)
	v_cmp_ne_u32_e32 vcc_lo, 0, v92
	v_not_b32_e32 v92, v93
	v_cmp_gt_i32_e64 s9, 0, v93
	s_delay_alu instid0(VALU_DEP_4) | instskip(SKIP_1) | instid1(VALU_DEP_4)
	v_not_b32_e32 v93, v94
	v_xor_b32_e32 v90, vcc_lo, v90
	v_ashrrev_i32_e32 v92, 31, v92
	v_cmp_gt_i32_e32 vcc_lo, 0, v94
	s_delay_alu instid0(VALU_DEP_4) | instskip(NEXT) | instid1(VALU_DEP_4)
	v_ashrrev_i32_e32 v93, 31, v93
	v_and_b32_e32 v90, exec_lo, v90
	s_delay_alu instid0(VALU_DEP_4)
	v_xor_b32_e32 v92, s9, v92
	v_cmp_gt_i32_e64 s9, 0, v89
	v_mul_u32_u24_e32 v89, 17, v91
	v_ashrrev_i32_e32 v91, 31, v95
	v_xor_b32_e32 v93, vcc_lo, v93
	v_and_b32_e32 v90, v90, v92
	s_delay_alu instid0(VALU_DEP_4) | instskip(NEXT) | instid1(VALU_DEP_4)
	v_add_lshl_u32 v94, v89, v6, 2
	v_xor_b32_e32 v91, s9, v91
	s_delay_alu instid0(VALU_DEP_3) | instskip(SKIP_3) | instid1(VALU_DEP_2)
	v_and_b32_e32 v90, v90, v93
	ds_load_b32 v89, v94 offset:64
	; wave barrier
	v_and_b32_e32 v92, v90, v91
	v_add_nc_u32_e32 v91, 64, v94
	v_mbcnt_lo_u32_b32 v90, v92, 0
	v_cmp_ne_u32_e64 s9, 0, v92
	s_delay_alu instid0(VALU_DEP_2) | instskip(NEXT) | instid1(VALU_DEP_2)
	v_cmp_eq_u32_e32 vcc_lo, 0, v90
	s_and_b32 s17, vcc_lo, s9
	s_delay_alu instid0(SALU_CYCLE_1)
	s_and_saveexec_b32 s9, s17
	s_cbranch_execz .LBB89_40
; %bb.39:                               ;   in Loop: Header=BB89_4 Depth=2
	s_waitcnt lgkmcnt(0)
	v_bcnt_u32_b32 v92, v92, v89
	ds_store_b32 v91, v92
.LBB89_40:                              ;   in Loop: Header=BB89_4 Depth=2
	s_or_b32 exec_lo, exec_lo, s9
	v_lshlrev_b32_e32 v92, s16, v29
	; wave barrier
	s_delay_alu instid0(VALU_DEP_1) | instskip(SKIP_2) | instid1(VALU_DEP_3)
	v_bfe_u32 v93, v92, 28, 1
	v_lshrrev_b32_e32 v94, 28, v92
	v_not_b32_e32 v98, v92
	v_add_co_u32 v93, s9, v93, -1
	s_delay_alu instid0(VALU_DEP_1) | instskip(NEXT) | instid1(VALU_DEP_4)
	v_cndmask_b32_e64 v95, 0, 1, s9
	v_lshlrev_b32_e32 v96, 30, v94
	v_lshlrev_b32_e32 v97, 29, v94
	s_delay_alu instid0(VALU_DEP_3) | instskip(NEXT) | instid1(VALU_DEP_3)
	v_cmp_ne_u32_e32 vcc_lo, 0, v95
	v_not_b32_e32 v95, v96
	v_cmp_gt_i32_e64 s9, 0, v96
	s_delay_alu instid0(VALU_DEP_4) | instskip(SKIP_1) | instid1(VALU_DEP_4)
	v_not_b32_e32 v96, v97
	v_xor_b32_e32 v93, vcc_lo, v93
	v_ashrrev_i32_e32 v95, 31, v95
	v_cmp_gt_i32_e32 vcc_lo, 0, v97
	s_delay_alu instid0(VALU_DEP_4) | instskip(NEXT) | instid1(VALU_DEP_4)
	v_ashrrev_i32_e32 v96, 31, v96
	v_and_b32_e32 v93, exec_lo, v93
	s_delay_alu instid0(VALU_DEP_4)
	v_xor_b32_e32 v95, s9, v95
	v_cmp_gt_i32_e64 s9, 0, v92
	v_mul_u32_u24_e32 v92, 17, v94
	v_ashrrev_i32_e32 v94, 31, v98
	v_xor_b32_e32 v96, vcc_lo, v96
	v_and_b32_e32 v93, v93, v95
	s_delay_alu instid0(VALU_DEP_4) | instskip(NEXT) | instid1(VALU_DEP_4)
	v_add_lshl_u32 v97, v92, v6, 2
	v_xor_b32_e32 v94, s9, v94
	s_delay_alu instid0(VALU_DEP_3) | instskip(SKIP_3) | instid1(VALU_DEP_2)
	v_and_b32_e32 v93, v93, v96
	ds_load_b32 v92, v97 offset:64
	; wave barrier
	v_and_b32_e32 v95, v93, v94
	v_add_nc_u32_e32 v94, 64, v97
	v_mbcnt_lo_u32_b32 v93, v95, 0
	v_cmp_ne_u32_e64 s9, 0, v95
	s_delay_alu instid0(VALU_DEP_2) | instskip(NEXT) | instid1(VALU_DEP_2)
	v_cmp_eq_u32_e32 vcc_lo, 0, v93
	s_and_b32 s17, vcc_lo, s9
	s_delay_alu instid0(SALU_CYCLE_1)
	s_and_saveexec_b32 s9, s17
	s_cbranch_execz .LBB89_42
; %bb.41:                               ;   in Loop: Header=BB89_4 Depth=2
	s_waitcnt lgkmcnt(0)
	v_bcnt_u32_b32 v95, v95, v92
	ds_store_b32 v94, v95
.LBB89_42:                              ;   in Loop: Header=BB89_4 Depth=2
	s_or_b32 exec_lo, exec_lo, s9
	v_lshlrev_b32_e32 v95, s16, v11
	; wave barrier
	s_delay_alu instid0(VALU_DEP_1) | instskip(SKIP_2) | instid1(VALU_DEP_3)
	v_bfe_u32 v96, v95, 28, 1
	v_lshrrev_b32_e32 v97, 28, v95
	v_not_b32_e32 v101, v95
	v_add_co_u32 v96, s9, v96, -1
	s_delay_alu instid0(VALU_DEP_1) | instskip(NEXT) | instid1(VALU_DEP_4)
	v_cndmask_b32_e64 v98, 0, 1, s9
	v_lshlrev_b32_e32 v99, 30, v97
	v_lshlrev_b32_e32 v100, 29, v97
	s_delay_alu instid0(VALU_DEP_3) | instskip(NEXT) | instid1(VALU_DEP_3)
	v_cmp_ne_u32_e32 vcc_lo, 0, v98
	v_not_b32_e32 v98, v99
	v_cmp_gt_i32_e64 s9, 0, v99
	s_delay_alu instid0(VALU_DEP_4) | instskip(SKIP_1) | instid1(VALU_DEP_4)
	v_not_b32_e32 v99, v100
	v_xor_b32_e32 v96, vcc_lo, v96
	v_ashrrev_i32_e32 v98, 31, v98
	v_cmp_gt_i32_e32 vcc_lo, 0, v100
	s_delay_alu instid0(VALU_DEP_4) | instskip(NEXT) | instid1(VALU_DEP_4)
	v_ashrrev_i32_e32 v99, 31, v99
	v_and_b32_e32 v96, exec_lo, v96
	s_delay_alu instid0(VALU_DEP_4)
	v_xor_b32_e32 v98, s9, v98
	v_cmp_gt_i32_e64 s9, 0, v95
	v_mul_u32_u24_e32 v95, 17, v97
	v_ashrrev_i32_e32 v97, 31, v101
	v_xor_b32_e32 v99, vcc_lo, v99
	v_and_b32_e32 v96, v96, v98
	s_delay_alu instid0(VALU_DEP_4) | instskip(NEXT) | instid1(VALU_DEP_4)
	v_add_lshl_u32 v100, v95, v6, 2
	v_xor_b32_e32 v97, s9, v97
	s_delay_alu instid0(VALU_DEP_3) | instskip(SKIP_3) | instid1(VALU_DEP_2)
	v_and_b32_e32 v96, v96, v99
	ds_load_b32 v95, v100 offset:64
	; wave barrier
	v_and_b32_e32 v98, v96, v97
	v_add_nc_u32_e32 v97, 64, v100
	v_mbcnt_lo_u32_b32 v96, v98, 0
	v_cmp_ne_u32_e64 s9, 0, v98
	s_delay_alu instid0(VALU_DEP_2) | instskip(NEXT) | instid1(VALU_DEP_2)
	v_cmp_eq_u32_e32 vcc_lo, 0, v96
	s_and_b32 s17, vcc_lo, s9
	s_delay_alu instid0(SALU_CYCLE_1)
	s_and_saveexec_b32 s9, s17
	s_cbranch_execz .LBB89_44
; %bb.43:                               ;   in Loop: Header=BB89_4 Depth=2
	s_waitcnt lgkmcnt(0)
	v_bcnt_u32_b32 v98, v98, v95
	ds_store_b32 v97, v98
.LBB89_44:                              ;   in Loop: Header=BB89_4 Depth=2
	s_or_b32 exec_lo, exec_lo, s9
	v_lshlrev_b32_e32 v98, s16, v30
	; wave barrier
	s_delay_alu instid0(VALU_DEP_1) | instskip(SKIP_2) | instid1(VALU_DEP_3)
	v_bfe_u32 v99, v98, 28, 1
	v_lshrrev_b32_e32 v100, 28, v98
	v_not_b32_e32 v104, v98
	v_add_co_u32 v99, s9, v99, -1
	s_delay_alu instid0(VALU_DEP_1) | instskip(NEXT) | instid1(VALU_DEP_4)
	v_cndmask_b32_e64 v101, 0, 1, s9
	v_lshlrev_b32_e32 v102, 30, v100
	v_lshlrev_b32_e32 v103, 29, v100
	s_delay_alu instid0(VALU_DEP_3) | instskip(NEXT) | instid1(VALU_DEP_3)
	v_cmp_ne_u32_e32 vcc_lo, 0, v101
	v_not_b32_e32 v101, v102
	v_cmp_gt_i32_e64 s9, 0, v102
	s_delay_alu instid0(VALU_DEP_4) | instskip(SKIP_1) | instid1(VALU_DEP_4)
	v_not_b32_e32 v102, v103
	v_xor_b32_e32 v99, vcc_lo, v99
	v_ashrrev_i32_e32 v101, 31, v101
	v_cmp_gt_i32_e32 vcc_lo, 0, v103
	s_delay_alu instid0(VALU_DEP_4) | instskip(NEXT) | instid1(VALU_DEP_4)
	v_ashrrev_i32_e32 v102, 31, v102
	v_and_b32_e32 v99, exec_lo, v99
	s_delay_alu instid0(VALU_DEP_4)
	v_xor_b32_e32 v101, s9, v101
	v_cmp_gt_i32_e64 s9, 0, v98
	v_mul_u32_u24_e32 v98, 17, v100
	v_ashrrev_i32_e32 v100, 31, v104
	v_xor_b32_e32 v102, vcc_lo, v102
	v_and_b32_e32 v99, v99, v101
	s_delay_alu instid0(VALU_DEP_4) | instskip(NEXT) | instid1(VALU_DEP_4)
	v_add_lshl_u32 v103, v98, v6, 2
	v_xor_b32_e32 v100, s9, v100
	s_delay_alu instid0(VALU_DEP_3) | instskip(SKIP_3) | instid1(VALU_DEP_2)
	v_and_b32_e32 v99, v99, v102
	ds_load_b32 v98, v103 offset:64
	; wave barrier
	v_and_b32_e32 v101, v99, v100
	v_add_nc_u32_e32 v100, 64, v103
	v_mbcnt_lo_u32_b32 v99, v101, 0
	v_cmp_ne_u32_e64 s9, 0, v101
	s_delay_alu instid0(VALU_DEP_2) | instskip(NEXT) | instid1(VALU_DEP_2)
	v_cmp_eq_u32_e32 vcc_lo, 0, v99
	s_and_b32 s17, vcc_lo, s9
	s_delay_alu instid0(SALU_CYCLE_1)
	s_and_saveexec_b32 s9, s17
	s_cbranch_execz .LBB89_46
; %bb.45:                               ;   in Loop: Header=BB89_4 Depth=2
	s_waitcnt lgkmcnt(0)
	v_bcnt_u32_b32 v101, v101, v98
	ds_store_b32 v100, v101
.LBB89_46:                              ;   in Loop: Header=BB89_4 Depth=2
	s_or_b32 exec_lo, exec_lo, s9
	v_lshlrev_b32_e32 v101, s16, v31
	; wave barrier
	s_delay_alu instid0(VALU_DEP_1) | instskip(SKIP_2) | instid1(VALU_DEP_3)
	v_bfe_u32 v102, v101, 28, 1
	v_lshrrev_b32_e32 v103, 28, v101
	v_not_b32_e32 v107, v101
	v_add_co_u32 v102, s9, v102, -1
	s_delay_alu instid0(VALU_DEP_1) | instskip(NEXT) | instid1(VALU_DEP_4)
	v_cndmask_b32_e64 v104, 0, 1, s9
	v_lshlrev_b32_e32 v105, 30, v103
	v_lshlrev_b32_e32 v106, 29, v103
	s_delay_alu instid0(VALU_DEP_3) | instskip(NEXT) | instid1(VALU_DEP_3)
	v_cmp_ne_u32_e32 vcc_lo, 0, v104
	v_not_b32_e32 v104, v105
	v_cmp_gt_i32_e64 s9, 0, v105
	s_delay_alu instid0(VALU_DEP_4) | instskip(SKIP_1) | instid1(VALU_DEP_4)
	v_not_b32_e32 v105, v106
	v_xor_b32_e32 v102, vcc_lo, v102
	v_ashrrev_i32_e32 v104, 31, v104
	v_cmp_gt_i32_e32 vcc_lo, 0, v106
	s_delay_alu instid0(VALU_DEP_4) | instskip(NEXT) | instid1(VALU_DEP_4)
	v_ashrrev_i32_e32 v105, 31, v105
	v_and_b32_e32 v102, exec_lo, v102
	s_delay_alu instid0(VALU_DEP_4)
	v_xor_b32_e32 v104, s9, v104
	v_cmp_gt_i32_e64 s9, 0, v101
	v_mul_u32_u24_e32 v101, 17, v103
	v_ashrrev_i32_e32 v103, 31, v107
	v_xor_b32_e32 v105, vcc_lo, v105
	v_and_b32_e32 v102, v102, v104
	s_delay_alu instid0(VALU_DEP_4) | instskip(NEXT) | instid1(VALU_DEP_4)
	v_add_lshl_u32 v106, v101, v6, 2
	v_xor_b32_e32 v103, s9, v103
	s_delay_alu instid0(VALU_DEP_3) | instskip(SKIP_3) | instid1(VALU_DEP_2)
	v_and_b32_e32 v102, v102, v105
	ds_load_b32 v101, v106 offset:64
	; wave barrier
	v_and_b32_e32 v104, v102, v103
	v_add_nc_u32_e32 v103, 64, v106
	v_mbcnt_lo_u32_b32 v102, v104, 0
	v_cmp_ne_u32_e64 s9, 0, v104
	s_delay_alu instid0(VALU_DEP_2) | instskip(NEXT) | instid1(VALU_DEP_2)
	v_cmp_eq_u32_e32 vcc_lo, 0, v102
	s_and_b32 s17, vcc_lo, s9
	s_delay_alu instid0(SALU_CYCLE_1)
	s_and_saveexec_b32 s9, s17
	s_cbranch_execz .LBB89_48
; %bb.47:                               ;   in Loop: Header=BB89_4 Depth=2
	s_waitcnt lgkmcnt(0)
	v_bcnt_u32_b32 v104, v104, v101
	ds_store_b32 v103, v104
.LBB89_48:                              ;   in Loop: Header=BB89_4 Depth=2
	s_or_b32 exec_lo, exec_lo, s9
	v_lshlrev_b32_e32 v104, s16, v32
	; wave barrier
	s_delay_alu instid0(VALU_DEP_1) | instskip(SKIP_2) | instid1(VALU_DEP_3)
	v_bfe_u32 v105, v104, 28, 1
	v_lshrrev_b32_e32 v106, 28, v104
	v_not_b32_e32 v110, v104
	v_add_co_u32 v105, s9, v105, -1
	s_delay_alu instid0(VALU_DEP_1) | instskip(NEXT) | instid1(VALU_DEP_4)
	v_cndmask_b32_e64 v107, 0, 1, s9
	v_lshlrev_b32_e32 v108, 30, v106
	v_lshlrev_b32_e32 v109, 29, v106
	s_delay_alu instid0(VALU_DEP_3) | instskip(NEXT) | instid1(VALU_DEP_3)
	v_cmp_ne_u32_e32 vcc_lo, 0, v107
	v_not_b32_e32 v107, v108
	v_cmp_gt_i32_e64 s9, 0, v108
	s_delay_alu instid0(VALU_DEP_4) | instskip(SKIP_1) | instid1(VALU_DEP_4)
	v_not_b32_e32 v108, v109
	v_xor_b32_e32 v105, vcc_lo, v105
	v_ashrrev_i32_e32 v107, 31, v107
	v_cmp_gt_i32_e32 vcc_lo, 0, v109
	s_delay_alu instid0(VALU_DEP_4) | instskip(NEXT) | instid1(VALU_DEP_4)
	v_ashrrev_i32_e32 v108, 31, v108
	v_and_b32_e32 v105, exec_lo, v105
	s_delay_alu instid0(VALU_DEP_4)
	v_xor_b32_e32 v107, s9, v107
	v_cmp_gt_i32_e64 s9, 0, v104
	v_mul_u32_u24_e32 v104, 17, v106
	v_ashrrev_i32_e32 v106, 31, v110
	v_xor_b32_e32 v108, vcc_lo, v108
	v_and_b32_e32 v105, v105, v107
	s_delay_alu instid0(VALU_DEP_4) | instskip(NEXT) | instid1(VALU_DEP_4)
	v_add_lshl_u32 v109, v104, v6, 2
	v_xor_b32_e32 v106, s9, v106
	s_delay_alu instid0(VALU_DEP_3) | instskip(SKIP_3) | instid1(VALU_DEP_2)
	v_and_b32_e32 v105, v105, v108
	ds_load_b32 v104, v109 offset:64
	; wave barrier
	v_and_b32_e32 v107, v105, v106
	v_add_nc_u32_e32 v106, 64, v109
	v_mbcnt_lo_u32_b32 v105, v107, 0
	v_cmp_ne_u32_e64 s9, 0, v107
	s_delay_alu instid0(VALU_DEP_2) | instskip(NEXT) | instid1(VALU_DEP_2)
	v_cmp_eq_u32_e32 vcc_lo, 0, v105
	s_and_b32 s17, vcc_lo, s9
	s_delay_alu instid0(SALU_CYCLE_1)
	s_and_saveexec_b32 s9, s17
	s_cbranch_execz .LBB89_50
; %bb.49:                               ;   in Loop: Header=BB89_4 Depth=2
	s_waitcnt lgkmcnt(0)
	v_bcnt_u32_b32 v107, v107, v104
	ds_store_b32 v106, v107
.LBB89_50:                              ;   in Loop: Header=BB89_4 Depth=2
	s_or_b32 exec_lo, exec_lo, s9
	v_lshlrev_b32_e32 v107, s16, v12
	; wave barrier
	s_delay_alu instid0(VALU_DEP_1) | instskip(SKIP_2) | instid1(VALU_DEP_3)
	v_bfe_u32 v108, v107, 28, 1
	v_lshrrev_b32_e32 v109, 28, v107
	v_not_b32_e32 v113, v107
	v_add_co_u32 v108, s9, v108, -1
	s_delay_alu instid0(VALU_DEP_1) | instskip(NEXT) | instid1(VALU_DEP_4)
	v_cndmask_b32_e64 v110, 0, 1, s9
	v_lshlrev_b32_e32 v111, 30, v109
	v_lshlrev_b32_e32 v112, 29, v109
	s_delay_alu instid0(VALU_DEP_3) | instskip(NEXT) | instid1(VALU_DEP_3)
	v_cmp_ne_u32_e32 vcc_lo, 0, v110
	v_not_b32_e32 v110, v111
	v_cmp_gt_i32_e64 s9, 0, v111
	s_delay_alu instid0(VALU_DEP_4) | instskip(SKIP_1) | instid1(VALU_DEP_4)
	v_not_b32_e32 v111, v112
	v_xor_b32_e32 v108, vcc_lo, v108
	v_ashrrev_i32_e32 v110, 31, v110
	v_cmp_gt_i32_e32 vcc_lo, 0, v112
	s_delay_alu instid0(VALU_DEP_4) | instskip(NEXT) | instid1(VALU_DEP_4)
	v_ashrrev_i32_e32 v111, 31, v111
	v_and_b32_e32 v108, exec_lo, v108
	s_delay_alu instid0(VALU_DEP_4)
	v_xor_b32_e32 v110, s9, v110
	v_cmp_gt_i32_e64 s9, 0, v107
	v_mul_u32_u24_e32 v107, 17, v109
	v_ashrrev_i32_e32 v109, 31, v113
	v_xor_b32_e32 v111, vcc_lo, v111
	v_and_b32_e32 v108, v108, v110
	s_delay_alu instid0(VALU_DEP_4) | instskip(NEXT) | instid1(VALU_DEP_4)
	v_add_lshl_u32 v112, v107, v6, 2
	v_xor_b32_e32 v109, s9, v109
	s_delay_alu instid0(VALU_DEP_3) | instskip(SKIP_3) | instid1(VALU_DEP_2)
	v_and_b32_e32 v108, v108, v111
	ds_load_b32 v107, v112 offset:64
	; wave barrier
	v_and_b32_e32 v110, v108, v109
	v_add_nc_u32_e32 v109, 64, v112
	v_mbcnt_lo_u32_b32 v108, v110, 0
	v_cmp_ne_u32_e64 s9, 0, v110
	s_delay_alu instid0(VALU_DEP_2) | instskip(NEXT) | instid1(VALU_DEP_2)
	v_cmp_eq_u32_e32 vcc_lo, 0, v108
	s_and_b32 s17, vcc_lo, s9
	s_delay_alu instid0(SALU_CYCLE_1)
	s_and_saveexec_b32 s9, s17
	s_cbranch_execz .LBB89_52
; %bb.51:                               ;   in Loop: Header=BB89_4 Depth=2
	s_waitcnt lgkmcnt(0)
	v_bcnt_u32_b32 v110, v110, v107
	ds_store_b32 v109, v110
.LBB89_52:                              ;   in Loop: Header=BB89_4 Depth=2
	s_or_b32 exec_lo, exec_lo, s9
	v_lshlrev_b32_e32 v110, s16, v33
	; wave barrier
	s_delay_alu instid0(VALU_DEP_1) | instskip(SKIP_2) | instid1(VALU_DEP_3)
	v_bfe_u32 v111, v110, 28, 1
	v_lshrrev_b32_e32 v112, 28, v110
	v_not_b32_e32 v116, v110
	v_add_co_u32 v111, s9, v111, -1
	s_delay_alu instid0(VALU_DEP_1) | instskip(NEXT) | instid1(VALU_DEP_4)
	v_cndmask_b32_e64 v113, 0, 1, s9
	v_lshlrev_b32_e32 v114, 30, v112
	v_lshlrev_b32_e32 v115, 29, v112
	s_delay_alu instid0(VALU_DEP_3) | instskip(NEXT) | instid1(VALU_DEP_3)
	v_cmp_ne_u32_e32 vcc_lo, 0, v113
	v_not_b32_e32 v113, v114
	v_cmp_gt_i32_e64 s9, 0, v114
	s_delay_alu instid0(VALU_DEP_4) | instskip(SKIP_1) | instid1(VALU_DEP_4)
	v_not_b32_e32 v114, v115
	v_xor_b32_e32 v111, vcc_lo, v111
	v_ashrrev_i32_e32 v113, 31, v113
	v_cmp_gt_i32_e32 vcc_lo, 0, v115
	s_delay_alu instid0(VALU_DEP_4) | instskip(NEXT) | instid1(VALU_DEP_4)
	v_ashrrev_i32_e32 v114, 31, v114
	v_and_b32_e32 v111, exec_lo, v111
	s_delay_alu instid0(VALU_DEP_4)
	v_xor_b32_e32 v113, s9, v113
	v_cmp_gt_i32_e64 s9, 0, v110
	v_mul_u32_u24_e32 v110, 17, v112
	v_ashrrev_i32_e32 v112, 31, v116
	v_xor_b32_e32 v114, vcc_lo, v114
	v_and_b32_e32 v111, v111, v113
	s_delay_alu instid0(VALU_DEP_4) | instskip(NEXT) | instid1(VALU_DEP_4)
	v_add_lshl_u32 v115, v110, v6, 2
	v_xor_b32_e32 v112, s9, v112
	s_delay_alu instid0(VALU_DEP_3) | instskip(SKIP_3) | instid1(VALU_DEP_2)
	v_and_b32_e32 v111, v111, v114
	ds_load_b32 v110, v115 offset:64
	; wave barrier
	v_and_b32_e32 v113, v111, v112
	v_add_nc_u32_e32 v112, 64, v115
	v_mbcnt_lo_u32_b32 v111, v113, 0
	v_cmp_ne_u32_e64 s9, 0, v113
	s_delay_alu instid0(VALU_DEP_2) | instskip(NEXT) | instid1(VALU_DEP_2)
	v_cmp_eq_u32_e32 vcc_lo, 0, v111
	s_and_b32 s17, vcc_lo, s9
	s_delay_alu instid0(SALU_CYCLE_1)
	s_and_saveexec_b32 s9, s17
	s_cbranch_execz .LBB89_54
; %bb.53:                               ;   in Loop: Header=BB89_4 Depth=2
	s_waitcnt lgkmcnt(0)
	v_bcnt_u32_b32 v113, v113, v110
	ds_store_b32 v112, v113
.LBB89_54:                              ;   in Loop: Header=BB89_4 Depth=2
	s_or_b32 exec_lo, exec_lo, s9
	v_lshlrev_b32_e32 v113, s16, v34
	; wave barrier
	s_delay_alu instid0(VALU_DEP_1) | instskip(SKIP_2) | instid1(VALU_DEP_3)
	v_bfe_u32 v114, v113, 28, 1
	v_lshrrev_b32_e32 v115, 28, v113
	v_not_b32_e32 v119, v113
	v_add_co_u32 v114, s9, v114, -1
	s_delay_alu instid0(VALU_DEP_1) | instskip(NEXT) | instid1(VALU_DEP_4)
	v_cndmask_b32_e64 v116, 0, 1, s9
	v_lshlrev_b32_e32 v117, 30, v115
	v_lshlrev_b32_e32 v118, 29, v115
	s_delay_alu instid0(VALU_DEP_3) | instskip(NEXT) | instid1(VALU_DEP_3)
	v_cmp_ne_u32_e32 vcc_lo, 0, v116
	v_not_b32_e32 v116, v117
	v_cmp_gt_i32_e64 s9, 0, v117
	s_delay_alu instid0(VALU_DEP_4) | instskip(SKIP_1) | instid1(VALU_DEP_4)
	v_not_b32_e32 v117, v118
	v_xor_b32_e32 v114, vcc_lo, v114
	v_ashrrev_i32_e32 v116, 31, v116
	v_cmp_gt_i32_e32 vcc_lo, 0, v118
	s_delay_alu instid0(VALU_DEP_4) | instskip(NEXT) | instid1(VALU_DEP_4)
	v_ashrrev_i32_e32 v117, 31, v117
	v_and_b32_e32 v114, exec_lo, v114
	s_delay_alu instid0(VALU_DEP_4)
	v_xor_b32_e32 v116, s9, v116
	v_cmp_gt_i32_e64 s9, 0, v113
	v_mul_u32_u24_e32 v113, 17, v115
	v_ashrrev_i32_e32 v115, 31, v119
	v_xor_b32_e32 v117, vcc_lo, v117
	v_and_b32_e32 v114, v114, v116
	s_delay_alu instid0(VALU_DEP_4) | instskip(NEXT) | instid1(VALU_DEP_4)
	v_add_lshl_u32 v118, v113, v6, 2
	v_xor_b32_e32 v115, s9, v115
	s_delay_alu instid0(VALU_DEP_3) | instskip(SKIP_3) | instid1(VALU_DEP_2)
	v_and_b32_e32 v114, v114, v117
	ds_load_b32 v113, v118 offset:64
	; wave barrier
	v_and_b32_e32 v116, v114, v115
	v_add_nc_u32_e32 v115, 64, v118
	v_mbcnt_lo_u32_b32 v114, v116, 0
	v_cmp_ne_u32_e64 s9, 0, v116
	s_delay_alu instid0(VALU_DEP_2) | instskip(NEXT) | instid1(VALU_DEP_2)
	v_cmp_eq_u32_e32 vcc_lo, 0, v114
	s_and_b32 s17, vcc_lo, s9
	s_delay_alu instid0(SALU_CYCLE_1)
	s_and_saveexec_b32 s9, s17
	s_cbranch_execz .LBB89_56
; %bb.55:                               ;   in Loop: Header=BB89_4 Depth=2
	s_waitcnt lgkmcnt(0)
	v_bcnt_u32_b32 v116, v116, v113
	ds_store_b32 v115, v116
.LBB89_56:                              ;   in Loop: Header=BB89_4 Depth=2
	s_or_b32 exec_lo, exec_lo, s9
	v_lshlrev_b32_e32 v116, s16, v35
	; wave barrier
	s_delay_alu instid0(VALU_DEP_1) | instskip(SKIP_2) | instid1(VALU_DEP_3)
	v_bfe_u32 v117, v116, 28, 1
	v_lshrrev_b32_e32 v118, 28, v116
	v_not_b32_e32 v122, v116
	v_add_co_u32 v117, s9, v117, -1
	s_delay_alu instid0(VALU_DEP_1) | instskip(NEXT) | instid1(VALU_DEP_4)
	v_cndmask_b32_e64 v119, 0, 1, s9
	v_lshlrev_b32_e32 v120, 30, v118
	v_lshlrev_b32_e32 v121, 29, v118
	s_delay_alu instid0(VALU_DEP_3) | instskip(NEXT) | instid1(VALU_DEP_3)
	v_cmp_ne_u32_e32 vcc_lo, 0, v119
	v_not_b32_e32 v119, v120
	v_cmp_gt_i32_e64 s9, 0, v120
	s_delay_alu instid0(VALU_DEP_4) | instskip(SKIP_1) | instid1(VALU_DEP_4)
	v_not_b32_e32 v120, v121
	v_xor_b32_e32 v117, vcc_lo, v117
	v_ashrrev_i32_e32 v119, 31, v119
	v_cmp_gt_i32_e32 vcc_lo, 0, v121
	s_delay_alu instid0(VALU_DEP_4) | instskip(NEXT) | instid1(VALU_DEP_4)
	v_ashrrev_i32_e32 v120, 31, v120
	v_and_b32_e32 v117, exec_lo, v117
	s_delay_alu instid0(VALU_DEP_4)
	v_xor_b32_e32 v119, s9, v119
	v_cmp_gt_i32_e64 s9, 0, v116
	v_mul_u32_u24_e32 v116, 17, v118
	v_ashrrev_i32_e32 v118, 31, v122
	v_xor_b32_e32 v120, vcc_lo, v120
	v_and_b32_e32 v117, v117, v119
	s_delay_alu instid0(VALU_DEP_4) | instskip(NEXT) | instid1(VALU_DEP_4)
	v_add_lshl_u32 v121, v116, v6, 2
	v_xor_b32_e32 v118, s9, v118
	s_delay_alu instid0(VALU_DEP_3) | instskip(SKIP_3) | instid1(VALU_DEP_2)
	v_and_b32_e32 v117, v117, v120
	ds_load_b32 v116, v121 offset:64
	; wave barrier
	v_and_b32_e32 v119, v117, v118
	v_add_nc_u32_e32 v118, 64, v121
	v_mbcnt_lo_u32_b32 v117, v119, 0
	v_cmp_ne_u32_e64 s9, 0, v119
	s_delay_alu instid0(VALU_DEP_2) | instskip(NEXT) | instid1(VALU_DEP_2)
	v_cmp_eq_u32_e32 vcc_lo, 0, v117
	s_and_b32 s17, vcc_lo, s9
	s_delay_alu instid0(SALU_CYCLE_1)
	s_and_saveexec_b32 s9, s17
	s_cbranch_execz .LBB89_58
; %bb.57:                               ;   in Loop: Header=BB89_4 Depth=2
	s_waitcnt lgkmcnt(0)
	v_bcnt_u32_b32 v119, v119, v116
	ds_store_b32 v118, v119
.LBB89_58:                              ;   in Loop: Header=BB89_4 Depth=2
	s_or_b32 exec_lo, exec_lo, s9
	v_lshlrev_b32_e32 v119, s16, v13
	; wave barrier
	s_delay_alu instid0(VALU_DEP_1) | instskip(SKIP_2) | instid1(VALU_DEP_3)
	v_bfe_u32 v120, v119, 28, 1
	v_lshrrev_b32_e32 v121, 28, v119
	v_not_b32_e32 v125, v119
	v_add_co_u32 v120, s9, v120, -1
	s_delay_alu instid0(VALU_DEP_1) | instskip(NEXT) | instid1(VALU_DEP_4)
	v_cndmask_b32_e64 v122, 0, 1, s9
	v_lshlrev_b32_e32 v123, 30, v121
	v_lshlrev_b32_e32 v124, 29, v121
	s_delay_alu instid0(VALU_DEP_3) | instskip(NEXT) | instid1(VALU_DEP_3)
	v_cmp_ne_u32_e32 vcc_lo, 0, v122
	v_not_b32_e32 v122, v123
	v_cmp_gt_i32_e64 s9, 0, v123
	s_delay_alu instid0(VALU_DEP_4) | instskip(SKIP_1) | instid1(VALU_DEP_4)
	v_not_b32_e32 v123, v124
	v_xor_b32_e32 v120, vcc_lo, v120
	v_ashrrev_i32_e32 v122, 31, v122
	v_cmp_gt_i32_e32 vcc_lo, 0, v124
	s_delay_alu instid0(VALU_DEP_4) | instskip(NEXT) | instid1(VALU_DEP_4)
	v_ashrrev_i32_e32 v123, 31, v123
	v_and_b32_e32 v120, exec_lo, v120
	s_delay_alu instid0(VALU_DEP_4)
	v_xor_b32_e32 v122, s9, v122
	v_cmp_gt_i32_e64 s9, 0, v119
	v_mul_u32_u24_e32 v119, 17, v121
	v_ashrrev_i32_e32 v121, 31, v125
	v_xor_b32_e32 v123, vcc_lo, v123
	v_and_b32_e32 v120, v120, v122
	s_delay_alu instid0(VALU_DEP_4) | instskip(NEXT) | instid1(VALU_DEP_4)
	v_add_lshl_u32 v124, v119, v6, 2
	v_xor_b32_e32 v121, s9, v121
	s_delay_alu instid0(VALU_DEP_3) | instskip(SKIP_3) | instid1(VALU_DEP_2)
	v_and_b32_e32 v120, v120, v123
	ds_load_b32 v119, v124 offset:64
	; wave barrier
	v_and_b32_e32 v122, v120, v121
	v_add_nc_u32_e32 v121, 64, v124
	v_mbcnt_lo_u32_b32 v120, v122, 0
	v_cmp_ne_u32_e64 s9, 0, v122
	s_delay_alu instid0(VALU_DEP_2) | instskip(NEXT) | instid1(VALU_DEP_2)
	v_cmp_eq_u32_e32 vcc_lo, 0, v120
	s_and_b32 s17, vcc_lo, s9
	s_delay_alu instid0(SALU_CYCLE_1)
	s_and_saveexec_b32 s9, s17
	s_cbranch_execz .LBB89_60
; %bb.59:                               ;   in Loop: Header=BB89_4 Depth=2
	s_waitcnt lgkmcnt(0)
	v_bcnt_u32_b32 v122, v122, v119
	ds_store_b32 v121, v122
.LBB89_60:                              ;   in Loop: Header=BB89_4 Depth=2
	s_or_b32 exec_lo, exec_lo, s9
	v_lshlrev_b32_e32 v122, s16, v36
	; wave barrier
	s_delay_alu instid0(VALU_DEP_1) | instskip(SKIP_2) | instid1(VALU_DEP_3)
	v_bfe_u32 v123, v122, 28, 1
	v_lshrrev_b32_e32 v124, 28, v122
	v_not_b32_e32 v128, v122
	v_add_co_u32 v123, s9, v123, -1
	s_delay_alu instid0(VALU_DEP_1) | instskip(NEXT) | instid1(VALU_DEP_4)
	v_cndmask_b32_e64 v125, 0, 1, s9
	v_lshlrev_b32_e32 v126, 30, v124
	v_lshlrev_b32_e32 v127, 29, v124
	s_delay_alu instid0(VALU_DEP_3) | instskip(NEXT) | instid1(VALU_DEP_3)
	v_cmp_ne_u32_e32 vcc_lo, 0, v125
	v_not_b32_e32 v125, v126
	v_cmp_gt_i32_e64 s9, 0, v126
	s_delay_alu instid0(VALU_DEP_4) | instskip(SKIP_1) | instid1(VALU_DEP_4)
	v_not_b32_e32 v126, v127
	v_xor_b32_e32 v123, vcc_lo, v123
	v_ashrrev_i32_e32 v125, 31, v125
	v_cmp_gt_i32_e32 vcc_lo, 0, v127
	s_delay_alu instid0(VALU_DEP_4) | instskip(NEXT) | instid1(VALU_DEP_4)
	v_ashrrev_i32_e32 v126, 31, v126
	v_and_b32_e32 v123, exec_lo, v123
	s_delay_alu instid0(VALU_DEP_4)
	v_xor_b32_e32 v125, s9, v125
	v_cmp_gt_i32_e64 s9, 0, v122
	v_mul_u32_u24_e32 v122, 17, v124
	v_ashrrev_i32_e32 v124, 31, v128
	v_xor_b32_e32 v126, vcc_lo, v126
	v_and_b32_e32 v123, v123, v125
	s_delay_alu instid0(VALU_DEP_4) | instskip(NEXT) | instid1(VALU_DEP_4)
	v_add_lshl_u32 v127, v122, v6, 2
	v_xor_b32_e32 v124, s9, v124
	s_delay_alu instid0(VALU_DEP_3) | instskip(SKIP_3) | instid1(VALU_DEP_2)
	v_and_b32_e32 v123, v123, v126
	ds_load_b32 v122, v127 offset:64
	; wave barrier
	v_and_b32_e32 v125, v123, v124
	v_add_nc_u32_e32 v124, 64, v127
	v_mbcnt_lo_u32_b32 v123, v125, 0
	v_cmp_ne_u32_e64 s9, 0, v125
	s_delay_alu instid0(VALU_DEP_2) | instskip(NEXT) | instid1(VALU_DEP_2)
	v_cmp_eq_u32_e32 vcc_lo, 0, v123
	s_and_b32 s17, vcc_lo, s9
	s_delay_alu instid0(SALU_CYCLE_1)
	s_and_saveexec_b32 s9, s17
	s_cbranch_execz .LBB89_62
; %bb.61:                               ;   in Loop: Header=BB89_4 Depth=2
	s_waitcnt lgkmcnt(0)
	v_bcnt_u32_b32 v125, v125, v122
	ds_store_b32 v124, v125
.LBB89_62:                              ;   in Loop: Header=BB89_4 Depth=2
	s_or_b32 exec_lo, exec_lo, s9
	v_lshlrev_b32_e32 v125, s16, v37
	; wave barrier
	s_delay_alu instid0(VALU_DEP_1) | instskip(SKIP_2) | instid1(VALU_DEP_3)
	v_bfe_u32 v126, v125, 28, 1
	v_lshrrev_b32_e32 v127, 28, v125
	v_not_b32_e32 v131, v125
	v_add_co_u32 v126, s9, v126, -1
	s_delay_alu instid0(VALU_DEP_1) | instskip(NEXT) | instid1(VALU_DEP_4)
	v_cndmask_b32_e64 v128, 0, 1, s9
	v_lshlrev_b32_e32 v129, 30, v127
	v_lshlrev_b32_e32 v130, 29, v127
	s_delay_alu instid0(VALU_DEP_3) | instskip(NEXT) | instid1(VALU_DEP_3)
	v_cmp_ne_u32_e32 vcc_lo, 0, v128
	v_not_b32_e32 v128, v129
	v_cmp_gt_i32_e64 s9, 0, v129
	s_delay_alu instid0(VALU_DEP_4) | instskip(SKIP_1) | instid1(VALU_DEP_4)
	v_not_b32_e32 v129, v130
	v_xor_b32_e32 v126, vcc_lo, v126
	v_ashrrev_i32_e32 v128, 31, v128
	v_cmp_gt_i32_e32 vcc_lo, 0, v130
	s_delay_alu instid0(VALU_DEP_4) | instskip(NEXT) | instid1(VALU_DEP_4)
	v_ashrrev_i32_e32 v129, 31, v129
	v_and_b32_e32 v126, exec_lo, v126
	s_delay_alu instid0(VALU_DEP_4)
	v_xor_b32_e32 v128, s9, v128
	v_cmp_gt_i32_e64 s9, 0, v125
	v_mul_u32_u24_e32 v125, 17, v127
	v_ashrrev_i32_e32 v127, 31, v131
	v_xor_b32_e32 v129, vcc_lo, v129
	v_and_b32_e32 v126, v126, v128
	s_delay_alu instid0(VALU_DEP_4) | instskip(NEXT) | instid1(VALU_DEP_4)
	v_add_lshl_u32 v130, v125, v6, 2
	v_xor_b32_e32 v127, s9, v127
	s_delay_alu instid0(VALU_DEP_3) | instskip(SKIP_3) | instid1(VALU_DEP_2)
	v_and_b32_e32 v126, v126, v129
	ds_load_b32 v125, v130 offset:64
	; wave barrier
	v_and_b32_e32 v128, v126, v127
	v_add_nc_u32_e32 v127, 64, v130
	v_mbcnt_lo_u32_b32 v126, v128, 0
	v_cmp_ne_u32_e64 s9, 0, v128
	s_delay_alu instid0(VALU_DEP_2) | instskip(NEXT) | instid1(VALU_DEP_2)
	v_cmp_eq_u32_e32 vcc_lo, 0, v126
	s_and_b32 s17, vcc_lo, s9
	s_delay_alu instid0(SALU_CYCLE_1)
	s_and_saveexec_b32 s9, s17
	s_cbranch_execz .LBB89_64
; %bb.63:                               ;   in Loop: Header=BB89_4 Depth=2
	s_waitcnt lgkmcnt(0)
	v_bcnt_u32_b32 v128, v128, v125
	ds_store_b32 v127, v128
.LBB89_64:                              ;   in Loop: Header=BB89_4 Depth=2
	s_or_b32 exec_lo, exec_lo, s9
	v_lshlrev_b32_e32 v128, s16, v38
	; wave barrier
	s_delay_alu instid0(VALU_DEP_1) | instskip(SKIP_2) | instid1(VALU_DEP_3)
	v_bfe_u32 v129, v128, 28, 1
	v_lshrrev_b32_e32 v130, 28, v128
	v_not_b32_e32 v134, v128
	v_add_co_u32 v129, s9, v129, -1
	s_delay_alu instid0(VALU_DEP_1) | instskip(NEXT) | instid1(VALU_DEP_4)
	v_cndmask_b32_e64 v131, 0, 1, s9
	v_lshlrev_b32_e32 v132, 30, v130
	v_lshlrev_b32_e32 v133, 29, v130
	s_delay_alu instid0(VALU_DEP_3) | instskip(NEXT) | instid1(VALU_DEP_3)
	v_cmp_ne_u32_e32 vcc_lo, 0, v131
	v_not_b32_e32 v131, v132
	v_cmp_gt_i32_e64 s9, 0, v132
	s_delay_alu instid0(VALU_DEP_4) | instskip(SKIP_1) | instid1(VALU_DEP_4)
	v_not_b32_e32 v132, v133
	v_xor_b32_e32 v129, vcc_lo, v129
	v_ashrrev_i32_e32 v131, 31, v131
	v_cmp_gt_i32_e32 vcc_lo, 0, v133
	s_delay_alu instid0(VALU_DEP_4) | instskip(NEXT) | instid1(VALU_DEP_4)
	v_ashrrev_i32_e32 v132, 31, v132
	v_and_b32_e32 v129, exec_lo, v129
	s_delay_alu instid0(VALU_DEP_4)
	v_xor_b32_e32 v131, s9, v131
	v_cmp_gt_i32_e64 s9, 0, v128
	v_mul_u32_u24_e32 v128, 17, v130
	v_ashrrev_i32_e32 v130, 31, v134
	v_xor_b32_e32 v132, vcc_lo, v132
	v_and_b32_e32 v129, v129, v131
	s_delay_alu instid0(VALU_DEP_4) | instskip(NEXT) | instid1(VALU_DEP_4)
	v_add_lshl_u32 v133, v128, v6, 2
	v_xor_b32_e32 v130, s9, v130
	s_delay_alu instid0(VALU_DEP_3) | instskip(SKIP_3) | instid1(VALU_DEP_2)
	v_and_b32_e32 v129, v129, v132
	ds_load_b32 v128, v133 offset:64
	; wave barrier
	v_and_b32_e32 v131, v129, v130
	v_add_nc_u32_e32 v130, 64, v133
	v_mbcnt_lo_u32_b32 v129, v131, 0
	v_cmp_ne_u32_e64 s9, 0, v131
	s_delay_alu instid0(VALU_DEP_2) | instskip(NEXT) | instid1(VALU_DEP_2)
	v_cmp_eq_u32_e32 vcc_lo, 0, v129
	s_and_b32 s17, vcc_lo, s9
	s_delay_alu instid0(SALU_CYCLE_1)
	s_and_saveexec_b32 s9, s17
	s_cbranch_execz .LBB89_66
; %bb.65:                               ;   in Loop: Header=BB89_4 Depth=2
	s_waitcnt lgkmcnt(0)
	v_bcnt_u32_b32 v131, v131, v128
	ds_store_b32 v130, v131
.LBB89_66:                              ;   in Loop: Header=BB89_4 Depth=2
	s_or_b32 exec_lo, exec_lo, s9
	v_lshlrev_b32_e32 v131, s16, v14
	; wave barrier
	s_delay_alu instid0(VALU_DEP_1) | instskip(SKIP_2) | instid1(VALU_DEP_3)
	v_bfe_u32 v132, v131, 28, 1
	v_lshrrev_b32_e32 v133, 28, v131
	v_not_b32_e32 v137, v131
	v_add_co_u32 v132, s9, v132, -1
	s_delay_alu instid0(VALU_DEP_1) | instskip(NEXT) | instid1(VALU_DEP_4)
	v_cndmask_b32_e64 v134, 0, 1, s9
	v_lshlrev_b32_e32 v135, 30, v133
	v_lshlrev_b32_e32 v136, 29, v133
	s_delay_alu instid0(VALU_DEP_3) | instskip(NEXT) | instid1(VALU_DEP_3)
	v_cmp_ne_u32_e32 vcc_lo, 0, v134
	v_not_b32_e32 v134, v135
	v_cmp_gt_i32_e64 s9, 0, v135
	s_delay_alu instid0(VALU_DEP_4) | instskip(SKIP_1) | instid1(VALU_DEP_4)
	v_not_b32_e32 v135, v136
	v_xor_b32_e32 v132, vcc_lo, v132
	v_ashrrev_i32_e32 v134, 31, v134
	v_cmp_gt_i32_e32 vcc_lo, 0, v136
	s_delay_alu instid0(VALU_DEP_4) | instskip(NEXT) | instid1(VALU_DEP_4)
	v_ashrrev_i32_e32 v135, 31, v135
	v_and_b32_e32 v132, exec_lo, v132
	s_delay_alu instid0(VALU_DEP_4)
	v_xor_b32_e32 v134, s9, v134
	v_cmp_gt_i32_e64 s9, 0, v131
	v_mul_u32_u24_e32 v131, 17, v133
	v_ashrrev_i32_e32 v133, 31, v137
	v_xor_b32_e32 v135, vcc_lo, v135
	v_and_b32_e32 v132, v132, v134
	s_delay_alu instid0(VALU_DEP_4) | instskip(NEXT) | instid1(VALU_DEP_4)
	v_add_lshl_u32 v136, v131, v6, 2
	v_xor_b32_e32 v133, s9, v133
	s_delay_alu instid0(VALU_DEP_3) | instskip(SKIP_3) | instid1(VALU_DEP_2)
	v_and_b32_e32 v132, v132, v135
	ds_load_b32 v131, v136 offset:64
	; wave barrier
	v_and_b32_e32 v134, v132, v133
	v_add_nc_u32_e32 v133, 64, v136
	v_mbcnt_lo_u32_b32 v132, v134, 0
	v_cmp_ne_u32_e64 s9, 0, v134
	s_delay_alu instid0(VALU_DEP_2) | instskip(NEXT) | instid1(VALU_DEP_2)
	v_cmp_eq_u32_e32 vcc_lo, 0, v132
	s_and_b32 s16, vcc_lo, s9
	s_delay_alu instid0(SALU_CYCLE_1)
	s_and_saveexec_b32 s9, s16
	s_cbranch_execz .LBB89_68
; %bb.67:                               ;   in Loop: Header=BB89_4 Depth=2
	s_waitcnt lgkmcnt(0)
	v_bcnt_u32_b32 v134, v134, v131
	ds_store_b32 v133, v134
.LBB89_68:                              ;   in Loop: Header=BB89_4 Depth=2
	s_or_b32 exec_lo, exec_lo, s9
	; wave barrier
	s_waitcnt lgkmcnt(0)
	s_barrier
	buffer_gl0_inv
	ds_load_b32 v134, v0 offset:64
	s_waitcnt lgkmcnt(0)
	v_mov_b32_dpp v135, v134 row_shr:1 row_mask:0xf bank_mask:0xf
	s_delay_alu instid0(VALU_DEP_1) | instskip(NEXT) | instid1(VALU_DEP_1)
	v_cndmask_b32_e64 v135, v135, 0, s1
	v_add_nc_u32_e32 v134, v135, v134
	s_delay_alu instid0(VALU_DEP_1) | instskip(NEXT) | instid1(VALU_DEP_1)
	v_mov_b32_dpp v135, v134 row_shr:2 row_mask:0xf bank_mask:0xf
	v_cndmask_b32_e64 v135, 0, v135, s2
	s_delay_alu instid0(VALU_DEP_1) | instskip(NEXT) | instid1(VALU_DEP_1)
	v_add_nc_u32_e32 v134, v134, v135
	v_mov_b32_dpp v135, v134 row_shr:4 row_mask:0xf bank_mask:0xf
	s_delay_alu instid0(VALU_DEP_1) | instskip(NEXT) | instid1(VALU_DEP_1)
	v_cndmask_b32_e64 v135, 0, v135, s3
	v_add_nc_u32_e32 v134, v134, v135
	s_delay_alu instid0(VALU_DEP_1) | instskip(NEXT) | instid1(VALU_DEP_1)
	v_mov_b32_dpp v135, v134 row_shr:8 row_mask:0xf bank_mask:0xf
	v_cndmask_b32_e64 v135, 0, v135, s4
	s_delay_alu instid0(VALU_DEP_1) | instskip(SKIP_3) | instid1(VALU_DEP_1)
	v_add_nc_u32_e32 v134, v134, v135
	ds_swizzle_b32 v135, v134 offset:swizzle(BROADCAST,32,15)
	s_waitcnt lgkmcnt(0)
	v_cndmask_b32_e64 v135, v135, 0, s5
	v_add_nc_u32_e32 v134, v134, v135
	s_and_saveexec_b32 s9, s8
	s_delay_alu instid0(SALU_CYCLE_1)
	s_xor_b32 s9, exec_lo, s9
	s_cbranch_execz .LBB89_70
; %bb.69:                               ;   in Loop: Header=BB89_4 Depth=2
	ds_store_b32 v3, v134
.LBB89_70:                              ;   in Loop: Header=BB89_4 Depth=2
	s_or_b32 exec_lo, exec_lo, s9
	s_waitcnt lgkmcnt(0)
	s_barrier
	buffer_gl0_inv
	s_and_saveexec_b32 s9, s6
	s_cbranch_execz .LBB89_72
; %bb.71:                               ;   in Loop: Header=BB89_4 Depth=2
	ds_load_b32 v135, v0
	s_waitcnt lgkmcnt(0)
	v_mov_b32_dpp v136, v135 row_shr:1 row_mask:0xf bank_mask:0xf
	s_delay_alu instid0(VALU_DEP_1) | instskip(NEXT) | instid1(VALU_DEP_1)
	v_cndmask_b32_e64 v136, v136, 0, s1
	v_add_nc_u32_e32 v135, v136, v135
	s_delay_alu instid0(VALU_DEP_1) | instskip(NEXT) | instid1(VALU_DEP_1)
	v_mov_b32_dpp v136, v135 row_shr:2 row_mask:0xf bank_mask:0xf
	v_cndmask_b32_e64 v136, 0, v136, s2
	s_delay_alu instid0(VALU_DEP_1) | instskip(NEXT) | instid1(VALU_DEP_1)
	v_add_nc_u32_e32 v135, v135, v136
	v_mov_b32_dpp v136, v135 row_shr:4 row_mask:0xf bank_mask:0xf
	s_delay_alu instid0(VALU_DEP_1) | instskip(NEXT) | instid1(VALU_DEP_1)
	v_cndmask_b32_e64 v136, 0, v136, s3
	v_add_nc_u32_e32 v135, v135, v136
	s_delay_alu instid0(VALU_DEP_1) | instskip(NEXT) | instid1(VALU_DEP_1)
	v_mov_b32_dpp v136, v135 row_shr:8 row_mask:0xf bank_mask:0xf
	v_cndmask_b32_e64 v136, 0, v136, s4
	s_delay_alu instid0(VALU_DEP_1)
	v_add_nc_u32_e32 v135, v135, v136
	ds_store_b32 v0, v135
.LBB89_72:                              ;   in Loop: Header=BB89_4 Depth=2
	s_or_b32 exec_lo, exec_lo, s9
	v_mov_b32_e32 v135, 0
	s_waitcnt lgkmcnt(0)
	s_barrier
	buffer_gl0_inv
	s_and_saveexec_b32 s9, s7
	s_cbranch_execz .LBB89_3
; %bb.73:                               ;   in Loop: Header=BB89_4 Depth=2
	ds_load_b32 v135, v5
	s_branch .LBB89_3
.LBB89_74:
	ds_load_b32 v0, v43
	ds_load_b32 v2, v46
	;; [unrolled: 1-line block ×16, first 2 shown]
	s_lshl_b64 s[0:1], s[12:13], 2
	s_delay_alu instid0(SALU_CYCLE_1)
	s_add_u32 s0, s10, s0
	s_addc_u32 s1, s11, s1
	s_waitcnt lgkmcnt(15)
	v_add3_u32 v3, v42, v41, v0
	ds_load_b32 v0, v109
	ds_load_b32 v24, v106
	;; [unrolled: 1-line block ×16, first 2 shown]
	s_waitcnt lgkmcnt(30)
	v_add3_u32 v4, v45, v44, v2
	s_waitcnt lgkmcnt(28)
	v_add_nc_u32_e32 v2, v6, v39
	v_add3_u32 v5, v48, v47, v5
	s_waitcnt lgkmcnt(26)
	v_add3_u32 v8, v57, v56, v8
	s_waitcnt lgkmcnt(25)
	;; [unrolled: 2-line block ×3, first 2 shown]
	v_add3_u32 v6, v51, v50, v10
	v_add3_u32 v9, v60, v59, v9
	s_waitcnt lgkmcnt(22)
	v_add3_u32 v16, v81, v80, v16
	s_waitcnt lgkmcnt(21)
	;; [unrolled: 2-line block ×8, first 2 shown]
	v_add3_u32 v18, v87, v86, v25
	v_add3_u32 v25, v108, v107, v0
	v_lshlrev_b32_e32 v0, 2, v1
	v_add3_u32 v17, v84, v83, v17
	v_add3_u32 v19, v90, v89, v19
	;; [unrolled: 1-line block ×7, first 2 shown]
	s_waitcnt lgkmcnt(0)
	v_add3_u32 v26, v111, v110, v26
	v_add3_u32 v27, v114, v113, v27
	;; [unrolled: 1-line block ×8, first 2 shown]
	s_clause 0x7
	global_store_b128 v0, v[2:5], s[0:1]
	global_store_b128 v0, v[6:9], s[0:1] offset:16
	global_store_b128 v0, v[10:13], s[0:1] offset:32
	;; [unrolled: 1-line block ×7, first 2 shown]
	s_nop 0
	s_sendmsg sendmsg(MSG_DEALLOC_VGPRS)
	s_endpgm
	.section	.rodata,"a",@progbits
	.p2align	6, 0x0
	.amdhsa_kernel _Z11rank_kernelIhLj4ELb0EL18RadixRankAlgorithm2ELj512ELj32ELj10EEvPKT_Pi
		.amdhsa_group_segment_fixed_size 2112
		.amdhsa_private_segment_fixed_size 0
		.amdhsa_kernarg_size 272
		.amdhsa_user_sgpr_count 15
		.amdhsa_user_sgpr_dispatch_ptr 0
		.amdhsa_user_sgpr_queue_ptr 0
		.amdhsa_user_sgpr_kernarg_segment_ptr 1
		.amdhsa_user_sgpr_dispatch_id 0
		.amdhsa_user_sgpr_private_segment_size 0
		.amdhsa_wavefront_size32 1
		.amdhsa_uses_dynamic_stack 0
		.amdhsa_enable_private_segment 0
		.amdhsa_system_sgpr_workgroup_id_x 1
		.amdhsa_system_sgpr_workgroup_id_y 0
		.amdhsa_system_sgpr_workgroup_id_z 0
		.amdhsa_system_sgpr_workgroup_info 0
		.amdhsa_system_vgpr_workitem_id 2
		.amdhsa_next_free_vgpr 138
		.amdhsa_next_free_sgpr 18
		.amdhsa_reserve_vcc 1
		.amdhsa_float_round_mode_32 0
		.amdhsa_float_round_mode_16_64 0
		.amdhsa_float_denorm_mode_32 3
		.amdhsa_float_denorm_mode_16_64 3
		.amdhsa_dx10_clamp 1
		.amdhsa_ieee_mode 1
		.amdhsa_fp16_overflow 0
		.amdhsa_workgroup_processor_mode 1
		.amdhsa_memory_ordered 1
		.amdhsa_forward_progress 0
		.amdhsa_shared_vgpr_count 0
		.amdhsa_exception_fp_ieee_invalid_op 0
		.amdhsa_exception_fp_denorm_src 0
		.amdhsa_exception_fp_ieee_div_zero 0
		.amdhsa_exception_fp_ieee_overflow 0
		.amdhsa_exception_fp_ieee_underflow 0
		.amdhsa_exception_fp_ieee_inexact 0
		.amdhsa_exception_int_div_zero 0
	.end_amdhsa_kernel
	.section	.text._Z11rank_kernelIhLj4ELb0EL18RadixRankAlgorithm2ELj512ELj32ELj10EEvPKT_Pi,"axG",@progbits,_Z11rank_kernelIhLj4ELb0EL18RadixRankAlgorithm2ELj512ELj32ELj10EEvPKT_Pi,comdat
.Lfunc_end89:
	.size	_Z11rank_kernelIhLj4ELb0EL18RadixRankAlgorithm2ELj512ELj32ELj10EEvPKT_Pi, .Lfunc_end89-_Z11rank_kernelIhLj4ELb0EL18RadixRankAlgorithm2ELj512ELj32ELj10EEvPKT_Pi
                                        ; -- End function
	.section	.AMDGPU.csdata,"",@progbits
; Kernel info:
; codeLenInByte = 9336
; NumSgprs: 20
; NumVgprs: 138
; ScratchSize: 0
; MemoryBound: 0
; FloatMode: 240
; IeeeMode: 1
; LDSByteSize: 2112 bytes/workgroup (compile time only)
; SGPRBlocks: 2
; VGPRBlocks: 17
; NumSGPRsForWavesPerEU: 20
; NumVGPRsForWavesPerEU: 138
; Occupancy: 10
; WaveLimiterHint : 0
; COMPUTE_PGM_RSRC2:SCRATCH_EN: 0
; COMPUTE_PGM_RSRC2:USER_SGPR: 15
; COMPUTE_PGM_RSRC2:TRAP_HANDLER: 0
; COMPUTE_PGM_RSRC2:TGID_X_EN: 1
; COMPUTE_PGM_RSRC2:TGID_Y_EN: 0
; COMPUTE_PGM_RSRC2:TGID_Z_EN: 0
; COMPUTE_PGM_RSRC2:TIDIG_COMP_CNT: 2
	.section	.text._Z11rank_kernelIxLj4ELb0EL18RadixRankAlgorithm0ELj128ELj1ELj10EEvPKT_Pi,"axG",@progbits,_Z11rank_kernelIxLj4ELb0EL18RadixRankAlgorithm0ELj128ELj1ELj10EEvPKT_Pi,comdat
	.protected	_Z11rank_kernelIxLj4ELb0EL18RadixRankAlgorithm0ELj128ELj1ELj10EEvPKT_Pi ; -- Begin function _Z11rank_kernelIxLj4ELb0EL18RadixRankAlgorithm0ELj128ELj1ELj10EEvPKT_Pi
	.globl	_Z11rank_kernelIxLj4ELb0EL18RadixRankAlgorithm0ELj128ELj1ELj10EEvPKT_Pi
	.p2align	8
	.type	_Z11rank_kernelIxLj4ELb0EL18RadixRankAlgorithm0ELj128ELj1ELj10EEvPKT_Pi,@function
_Z11rank_kernelIxLj4ELb0EL18RadixRankAlgorithm0ELj128ELj1ELj10EEvPKT_Pi: ; @_Z11rank_kernelIxLj4ELb0EL18RadixRankAlgorithm0ELj128ELj1ELj10EEvPKT_Pi
; %bb.0:
	s_load_b128 s[16:19], s[0:1], 0x0
	s_mov_b32 s13, 0
	s_lshl_b32 s12, s15, 7
	v_lshlrev_b32_e32 v1, 3, v0
	s_lshl_b64 s[0:1], s[12:13], 3
	v_mbcnt_lo_u32_b32 v6, -1, 0
	v_or_b32_e32 v9, 31, v0
	v_lshrrev_b32_e32 v11, 3, v0
	v_dual_mov_b32 v3, 0 :: v_dual_lshlrev_b32 v4, 5, v0
	s_delay_alu instid0(VALU_DEP_4)
	v_add_nc_u32_e32 v10, -1, v6
	v_and_b32_e32 v7, 15, v6
	v_and_b32_e32 v8, 16, v6
	;; [unrolled: 1-line block ×3, first 2 shown]
	v_cmp_gt_u32_e32 vcc_lo, 4, v0
	v_cmp_gt_i32_e64 s7, 0, v10
	v_cmp_eq_u32_e64 s2, 0, v7
	v_cmp_lt_u32_e64 s3, 1, v7
	v_cmp_lt_u32_e64 s4, 3, v7
	;; [unrolled: 1-line block ×3, first 2 shown]
	s_waitcnt lgkmcnt(0)
	s_add_u32 s0, s16, s0
	s_addc_u32 s1, s17, s1
	v_cndmask_b32_e64 v7, v10, v6, s7
	global_load_b64 v[1:2], v1, s[0:1]
	v_cmp_lt_u32_e64 s0, 31, v0
	v_cmp_eq_u32_e64 s1, 0, v6
	v_lshlrev_b32_e32 v5, 2, v0
	v_cmp_eq_u32_e64 s6, 0, v8
	v_cmp_eq_u32_e64 s7, v9, v0
	v_and_b32_e32 v6, 12, v11
	v_cmp_eq_u32_e64 s8, 0, v12
	v_cmp_lt_u32_e64 s9, 1, v12
	v_lshlrev_b32_e32 v7, 2, v7
	v_or_b32_e32 v8, 0xffffff80, v0
	s_mov_b32 s11, s13
	s_waitcnt vmcnt(0)
	v_xor_b32_e32 v2, 0x80000000, v2
	s_branch .LBB90_2
.LBB90_1:                               ;   in Loop: Header=BB90_2 Depth=1
	s_add_i32 s11, s11, 1
	s_delay_alu instid0(SALU_CYCLE_1)
	s_cmp_eq_u32 s11, 10
	s_cbranch_scc1 .LBB90_12
.LBB90_2:                               ; =>This Loop Header: Depth=1
                                        ;     Child Loop BB90_4 Depth 2
                                        ;       Child Loop BB90_5 Depth 3
	s_mov_b32 s14, 0
	s_branch .LBB90_4
.LBB90_3:                               ;   in Loop: Header=BB90_4 Depth=2
	s_or_b32 exec_lo, exec_lo, s10
	s_waitcnt lgkmcnt(0)
	v_add_nc_u32_e32 v11, v12, v11
	ds_load_b32 v15, v3 offset:4108
	ds_load_2addr_b32 v[13:14], v4 offset1:1
	s_add_i32 s10, s14, 4
	s_cmp_lt_u32 s14, 60
	s_mov_b32 s14, s10
	ds_bpermute_b32 v11, v7, v11
	s_waitcnt lgkmcnt(0)
	v_cndmask_b32_e64 v16, v11, v12, s1
	ds_load_2addr_b32 v[11:12], v4 offset0:2 offset1:3
	v_lshl_add_u32 v17, v15, 16, v16
	ds_load_2addr_b32 v[15:16], v4 offset0:4 offset1:5
	ds_load_b32 v18, v4 offset:24
	v_add_nc_u32_e32 v13, v17, v13
	s_delay_alu instid0(VALU_DEP_1) | instskip(SKIP_1) | instid1(VALU_DEP_1)
	v_add_nc_u32_e32 v14, v14, v13
	s_waitcnt lgkmcnt(2)
	v_add_nc_u32_e32 v11, v11, v14
	s_delay_alu instid0(VALU_DEP_1) | instskip(SKIP_1) | instid1(VALU_DEP_1)
	v_add_nc_u32_e32 v12, v12, v11
	s_waitcnt lgkmcnt(1)
	;; [unrolled: 4-line block ×3, first 2 shown]
	v_add_nc_u32_e32 v18, v18, v16
	ds_store_2addr_b32 v4, v17, v13 offset1:1
	ds_store_2addr_b32 v4, v14, v11 offset0:2 offset1:3
	ds_store_2addr_b32 v4, v12, v15 offset0:4 offset1:5
	;; [unrolled: 1-line block ×3, first 2 shown]
	s_waitcnt lgkmcnt(0)
	s_barrier
	buffer_gl0_inv
	s_cbranch_scc0 .LBB90_1
.LBB90_4:                               ;   Parent Loop BB90_2 Depth=1
                                        ; =>  This Loop Header: Depth=2
                                        ;       Child Loop BB90_5 Depth 3
	v_dual_mov_b32 v9, v8 :: v_dual_mov_b32 v10, v5
	s_mov_b32 s15, 0
.LBB90_5:                               ;   Parent Loop BB90_2 Depth=1
                                        ;     Parent Loop BB90_4 Depth=2
                                        ; =>    This Inner Loop Header: Depth=3
	s_delay_alu instid0(VALU_DEP_1) | instskip(SKIP_3) | instid1(VALU_DEP_1)
	v_add_nc_u32_e32 v9, 0x80, v9
	ds_store_b32 v10, v3
	v_add_nc_u32_e32 v10, 0x200, v10
	v_cmp_lt_u32_e64 s10, 0x37f, v9
	s_or_b32 s15, s10, s15
	s_delay_alu instid0(SALU_CYCLE_1)
	s_and_not1_b32 exec_lo, exec_lo, s15
	s_cbranch_execnz .LBB90_5
; %bb.6:                                ;   in Loop: Header=BB90_4 Depth=2
	s_or_b32 exec_lo, exec_lo, s15
	s_sub_i32 s10, 60, s14
	s_delay_alu instid0(SALU_CYCLE_1) | instskip(NEXT) | instid1(VALU_DEP_1)
	v_lshlrev_b64 v[9:10], s10, v[1:2]
	v_lshrrev_b32_e32 v9, 21, v10
	v_lshrrev_b32_e32 v10, 30, v10
	s_delay_alu instid0(VALU_DEP_2) | instskip(NEXT) | instid1(VALU_DEP_2)
	v_and_or_b32 v9, 0x380, v9, v0
	v_and_b32_e32 v10, 2, v10
	s_delay_alu instid0(VALU_DEP_1)
	v_lshl_or_b32 v9, v9, 2, v10
	ds_load_u16 v10, v9
	s_waitcnt lgkmcnt(0)
	v_add_nc_u16 v11, v10, 1
	ds_store_b16 v9, v11
	s_waitcnt lgkmcnt(0)
	s_barrier
	buffer_gl0_inv
	ds_load_2addr_b32 v[11:12], v4 offset1:1
	ds_load_2addr_b32 v[13:14], v4 offset0:2 offset1:3
	ds_load_2addr_b32 v[15:16], v4 offset0:4 offset1:5
	;; [unrolled: 1-line block ×3, first 2 shown]
	s_waitcnt lgkmcnt(3)
	v_add_nc_u32_e32 v11, v12, v11
	s_waitcnt lgkmcnt(2)
	s_delay_alu instid0(VALU_DEP_1) | instskip(SKIP_1) | instid1(VALU_DEP_1)
	v_add3_u32 v11, v11, v13, v14
	s_waitcnt lgkmcnt(1)
	v_add3_u32 v11, v11, v15, v16
	s_waitcnt lgkmcnt(0)
	s_delay_alu instid0(VALU_DEP_1) | instskip(NEXT) | instid1(VALU_DEP_1)
	v_add3_u32 v11, v11, v17, v18
	v_mov_b32_dpp v12, v11 row_shr:1 row_mask:0xf bank_mask:0xf
	s_delay_alu instid0(VALU_DEP_1) | instskip(NEXT) | instid1(VALU_DEP_1)
	v_cndmask_b32_e64 v12, v12, 0, s2
	v_add_nc_u32_e32 v11, v12, v11
	s_delay_alu instid0(VALU_DEP_1) | instskip(NEXT) | instid1(VALU_DEP_1)
	v_mov_b32_dpp v12, v11 row_shr:2 row_mask:0xf bank_mask:0xf
	v_cndmask_b32_e64 v12, 0, v12, s3
	s_delay_alu instid0(VALU_DEP_1) | instskip(NEXT) | instid1(VALU_DEP_1)
	v_add_nc_u32_e32 v11, v11, v12
	v_mov_b32_dpp v12, v11 row_shr:4 row_mask:0xf bank_mask:0xf
	s_delay_alu instid0(VALU_DEP_1) | instskip(NEXT) | instid1(VALU_DEP_1)
	v_cndmask_b32_e64 v12, 0, v12, s4
	v_add_nc_u32_e32 v11, v11, v12
	s_delay_alu instid0(VALU_DEP_1) | instskip(NEXT) | instid1(VALU_DEP_1)
	v_mov_b32_dpp v12, v11 row_shr:8 row_mask:0xf bank_mask:0xf
	v_cndmask_b32_e64 v12, 0, v12, s5
	s_delay_alu instid0(VALU_DEP_1) | instskip(SKIP_3) | instid1(VALU_DEP_1)
	v_add_nc_u32_e32 v11, v11, v12
	ds_swizzle_b32 v12, v11 offset:swizzle(BROADCAST,32,15)
	s_waitcnt lgkmcnt(0)
	v_cndmask_b32_e64 v12, v12, 0, s6
	v_add_nc_u32_e32 v11, v11, v12
	s_and_saveexec_b32 s10, s7
	s_cbranch_execz .LBB90_8
; %bb.7:                                ;   in Loop: Header=BB90_4 Depth=2
	ds_store_b32 v6, v11 offset:4096
.LBB90_8:                               ;   in Loop: Header=BB90_4 Depth=2
	s_or_b32 exec_lo, exec_lo, s10
	s_waitcnt lgkmcnt(0)
	s_barrier
	buffer_gl0_inv
	s_and_saveexec_b32 s10, vcc_lo
	s_cbranch_execz .LBB90_10
; %bb.9:                                ;   in Loop: Header=BB90_4 Depth=2
	ds_load_b32 v12, v5 offset:4096
	s_waitcnt lgkmcnt(0)
	v_mov_b32_dpp v13, v12 row_shr:1 row_mask:0xf bank_mask:0xf
	s_delay_alu instid0(VALU_DEP_1) | instskip(NEXT) | instid1(VALU_DEP_1)
	v_cndmask_b32_e64 v13, v13, 0, s8
	v_add_nc_u32_e32 v12, v13, v12
	s_delay_alu instid0(VALU_DEP_1) | instskip(NEXT) | instid1(VALU_DEP_1)
	v_mov_b32_dpp v13, v12 row_shr:2 row_mask:0xf bank_mask:0xf
	v_cndmask_b32_e64 v13, 0, v13, s9
	s_delay_alu instid0(VALU_DEP_1)
	v_add_nc_u32_e32 v12, v12, v13
	ds_store_b32 v5, v12 offset:4096
.LBB90_10:                              ;   in Loop: Header=BB90_4 Depth=2
	s_or_b32 exec_lo, exec_lo, s10
	v_mov_b32_e32 v12, 0
	s_waitcnt lgkmcnt(0)
	s_barrier
	buffer_gl0_inv
	s_and_saveexec_b32 s10, s0
	s_cbranch_execz .LBB90_3
; %bb.11:                               ;   in Loop: Header=BB90_4 Depth=2
	ds_load_b32 v12, v6 offset:4092
	s_branch .LBB90_3
.LBB90_12:
	ds_load_u16 v1, v9
	v_and_b32_e32 v2, 0xffff, v10
	s_lshl_b64 s[0:1], s[12:13], 2
	v_lshlrev_b32_e32 v0, 2, v0
	s_add_u32 s0, s18, s0
	s_addc_u32 s1, s19, s1
	s_waitcnt lgkmcnt(0)
	v_add_nc_u32_e32 v1, v1, v2
	global_store_b32 v0, v1, s[0:1]
	s_nop 0
	s_sendmsg sendmsg(MSG_DEALLOC_VGPRS)
	s_endpgm
	.section	.rodata,"a",@progbits
	.p2align	6, 0x0
	.amdhsa_kernel _Z11rank_kernelIxLj4ELb0EL18RadixRankAlgorithm0ELj128ELj1ELj10EEvPKT_Pi
		.amdhsa_group_segment_fixed_size 4112
		.amdhsa_private_segment_fixed_size 0
		.amdhsa_kernarg_size 16
		.amdhsa_user_sgpr_count 15
		.amdhsa_user_sgpr_dispatch_ptr 0
		.amdhsa_user_sgpr_queue_ptr 0
		.amdhsa_user_sgpr_kernarg_segment_ptr 1
		.amdhsa_user_sgpr_dispatch_id 0
		.amdhsa_user_sgpr_private_segment_size 0
		.amdhsa_wavefront_size32 1
		.amdhsa_uses_dynamic_stack 0
		.amdhsa_enable_private_segment 0
		.amdhsa_system_sgpr_workgroup_id_x 1
		.amdhsa_system_sgpr_workgroup_id_y 0
		.amdhsa_system_sgpr_workgroup_id_z 0
		.amdhsa_system_sgpr_workgroup_info 0
		.amdhsa_system_vgpr_workitem_id 0
		.amdhsa_next_free_vgpr 19
		.amdhsa_next_free_sgpr 20
		.amdhsa_reserve_vcc 1
		.amdhsa_float_round_mode_32 0
		.amdhsa_float_round_mode_16_64 0
		.amdhsa_float_denorm_mode_32 3
		.amdhsa_float_denorm_mode_16_64 3
		.amdhsa_dx10_clamp 1
		.amdhsa_ieee_mode 1
		.amdhsa_fp16_overflow 0
		.amdhsa_workgroup_processor_mode 1
		.amdhsa_memory_ordered 1
		.amdhsa_forward_progress 0
		.amdhsa_shared_vgpr_count 0
		.amdhsa_exception_fp_ieee_invalid_op 0
		.amdhsa_exception_fp_denorm_src 0
		.amdhsa_exception_fp_ieee_div_zero 0
		.amdhsa_exception_fp_ieee_overflow 0
		.amdhsa_exception_fp_ieee_underflow 0
		.amdhsa_exception_fp_ieee_inexact 0
		.amdhsa_exception_int_div_zero 0
	.end_amdhsa_kernel
	.section	.text._Z11rank_kernelIxLj4ELb0EL18RadixRankAlgorithm0ELj128ELj1ELj10EEvPKT_Pi,"axG",@progbits,_Z11rank_kernelIxLj4ELb0EL18RadixRankAlgorithm0ELj128ELj1ELj10EEvPKT_Pi,comdat
.Lfunc_end90:
	.size	_Z11rank_kernelIxLj4ELb0EL18RadixRankAlgorithm0ELj128ELj1ELj10EEvPKT_Pi, .Lfunc_end90-_Z11rank_kernelIxLj4ELb0EL18RadixRankAlgorithm0ELj128ELj1ELj10EEvPKT_Pi
                                        ; -- End function
	.section	.AMDGPU.csdata,"",@progbits
; Kernel info:
; codeLenInByte = 1052
; NumSgprs: 22
; NumVgprs: 19
; ScratchSize: 0
; MemoryBound: 0
; FloatMode: 240
; IeeeMode: 1
; LDSByteSize: 4112 bytes/workgroup (compile time only)
; SGPRBlocks: 2
; VGPRBlocks: 2
; NumSGPRsForWavesPerEU: 22
; NumVGPRsForWavesPerEU: 19
; Occupancy: 16
; WaveLimiterHint : 0
; COMPUTE_PGM_RSRC2:SCRATCH_EN: 0
; COMPUTE_PGM_RSRC2:USER_SGPR: 15
; COMPUTE_PGM_RSRC2:TRAP_HANDLER: 0
; COMPUTE_PGM_RSRC2:TGID_X_EN: 1
; COMPUTE_PGM_RSRC2:TGID_Y_EN: 0
; COMPUTE_PGM_RSRC2:TGID_Z_EN: 0
; COMPUTE_PGM_RSRC2:TIDIG_COMP_CNT: 0
	.section	.text._Z11rank_kernelIxLj4ELb0EL18RadixRankAlgorithm1ELj128ELj1ELj10EEvPKT_Pi,"axG",@progbits,_Z11rank_kernelIxLj4ELb0EL18RadixRankAlgorithm1ELj128ELj1ELj10EEvPKT_Pi,comdat
	.protected	_Z11rank_kernelIxLj4ELb0EL18RadixRankAlgorithm1ELj128ELj1ELj10EEvPKT_Pi ; -- Begin function _Z11rank_kernelIxLj4ELb0EL18RadixRankAlgorithm1ELj128ELj1ELj10EEvPKT_Pi
	.globl	_Z11rank_kernelIxLj4ELb0EL18RadixRankAlgorithm1ELj128ELj1ELj10EEvPKT_Pi
	.p2align	8
	.type	_Z11rank_kernelIxLj4ELb0EL18RadixRankAlgorithm1ELj128ELj1ELj10EEvPKT_Pi,@function
_Z11rank_kernelIxLj4ELb0EL18RadixRankAlgorithm1ELj128ELj1ELj10EEvPKT_Pi: ; @_Z11rank_kernelIxLj4ELb0EL18RadixRankAlgorithm1ELj128ELj1ELj10EEvPKT_Pi
; %bb.0:
	s_load_b128 s[16:19], s[0:1], 0x0
	s_mov_b32 s13, 0
	s_lshl_b32 s12, s15, 7
	v_lshlrev_b32_e32 v1, 3, v0
	s_lshl_b64 s[0:1], s[12:13], 3
	v_mbcnt_lo_u32_b32 v3, -1, 0
	v_or_b32_e32 v6, 31, v0
	v_lshrrev_b32_e32 v8, 3, v0
	v_dual_mov_b32 v11, 0 :: v_dual_lshlrev_b32 v12, 5, v0
	s_delay_alu instid0(VALU_DEP_4)
	v_add_nc_u32_e32 v7, -1, v3
	v_and_b32_e32 v4, 15, v3
	v_and_b32_e32 v5, 16, v3
	;; [unrolled: 1-line block ×3, first 2 shown]
	v_cmp_gt_u32_e32 vcc_lo, 4, v0
	v_cmp_gt_i32_e64 s7, 0, v7
	v_lshlrev_b32_e32 v13, 2, v0
	v_cmp_eq_u32_e64 s2, 0, v4
	v_cmp_lt_u32_e64 s3, 1, v4
	v_cmp_lt_u32_e64 s4, 3, v4
	s_waitcnt lgkmcnt(0)
	s_add_u32 s0, s16, s0
	s_addc_u32 s1, s17, s1
	v_cmp_lt_u32_e64 s5, 7, v4
	global_load_b64 v[1:2], v1, s[0:1]
	v_cmp_eq_u32_e64 s1, 0, v3
	v_cndmask_b32_e64 v3, v7, v3, s7
	v_cmp_lt_u32_e64 s0, 31, v0
	v_cmp_eq_u32_e64 s6, 0, v5
	v_cmp_eq_u32_e64 s7, v6, v0
	v_and_b32_e32 v14, 12, v8
	v_cmp_eq_u32_e64 s8, 0, v9
	v_cmp_lt_u32_e64 s9, 1, v9
	v_lshlrev_b32_e32 v15, 2, v3
	v_or_b32_e32 v16, 0xffffff80, v0
	s_mov_b32 s11, s13
	s_waitcnt vmcnt(0)
	v_xor_b32_e32 v2, 0x80000000, v2
	s_branch .LBB91_2
.LBB91_1:                               ;   in Loop: Header=BB91_2 Depth=1
	s_add_i32 s11, s11, 1
	s_delay_alu instid0(SALU_CYCLE_1)
	s_cmp_eq_u32 s11, 10
	s_cbranch_scc1 .LBB91_12
.LBB91_2:                               ; =>This Loop Header: Depth=1
                                        ;     Child Loop BB91_4 Depth 2
                                        ;       Child Loop BB91_5 Depth 3
	s_mov_b32 s14, 0
	s_branch .LBB91_4
.LBB91_3:                               ;   in Loop: Header=BB91_4 Depth=2
	s_or_b32 exec_lo, exec_lo, s10
	s_waitcnt lgkmcnt(0)
	v_add_nc_u32_e32 v4, v19, v4
	ds_load_b32 v20, v11 offset:4108
	s_add_i32 s10, s14, 4
	s_cmp_lt_u32 s14, 60
	s_mov_b32 s14, s10
	ds_bpermute_b32 v4, v15, v4
	s_waitcnt lgkmcnt(0)
	v_cndmask_b32_e64 v4, v4, v19, s1
	s_delay_alu instid0(VALU_DEP_1) | instskip(NEXT) | instid1(VALU_DEP_1)
	v_lshl_add_u32 v4, v20, 16, v4
	v_add_nc_u32_e32 v9, v4, v9
	s_delay_alu instid0(VALU_DEP_1) | instskip(NEXT) | instid1(VALU_DEP_1)
	v_add_nc_u32_e32 v10, v9, v10
	v_add_nc_u32_e32 v7, v10, v7
	s_delay_alu instid0(VALU_DEP_1) | instskip(NEXT) | instid1(VALU_DEP_1)
	v_add_nc_u32_e32 v8, v7, v8
	v_add_nc_u32_e32 v5, v8, v5
	s_delay_alu instid0(VALU_DEP_1) | instskip(NEXT) | instid1(VALU_DEP_1)
	v_add_nc_u32_e32 v6, v5, v6
	v_add_nc_u32_e32 v3, v6, v3
	ds_store_2addr_b32 v12, v4, v9 offset1:1
	ds_store_2addr_b32 v12, v10, v7 offset0:2 offset1:3
	ds_store_2addr_b32 v12, v8, v5 offset0:4 offset1:5
	;; [unrolled: 1-line block ×3, first 2 shown]
	s_waitcnt lgkmcnt(0)
	s_barrier
	buffer_gl0_inv
	s_cbranch_scc0 .LBB91_1
.LBB91_4:                               ;   Parent Loop BB91_2 Depth=1
                                        ; =>  This Loop Header: Depth=2
                                        ;       Child Loop BB91_5 Depth 3
	v_dual_mov_b32 v3, v16 :: v_dual_mov_b32 v4, v13
	s_mov_b32 s15, 0
.LBB91_5:                               ;   Parent Loop BB91_2 Depth=1
                                        ;     Parent Loop BB91_4 Depth=2
                                        ; =>    This Inner Loop Header: Depth=3
	s_delay_alu instid0(VALU_DEP_1) | instskip(SKIP_3) | instid1(VALU_DEP_1)
	v_add_nc_u32_e32 v3, 0x80, v3
	ds_store_b32 v4, v11
	v_add_nc_u32_e32 v4, 0x200, v4
	v_cmp_lt_u32_e64 s10, 0x37f, v3
	s_or_b32 s15, s10, s15
	s_delay_alu instid0(SALU_CYCLE_1)
	s_and_not1_b32 exec_lo, exec_lo, s15
	s_cbranch_execnz .LBB91_5
; %bb.6:                                ;   in Loop: Header=BB91_4 Depth=2
	s_or_b32 exec_lo, exec_lo, s15
	s_sub_i32 s10, 60, s14
	s_delay_alu instid0(SALU_CYCLE_1) | instskip(NEXT) | instid1(VALU_DEP_1)
	v_lshlrev_b64 v[3:4], s10, v[1:2]
	v_lshrrev_b32_e32 v3, 21, v4
	v_lshrrev_b32_e32 v4, 30, v4
	s_delay_alu instid0(VALU_DEP_2) | instskip(NEXT) | instid1(VALU_DEP_2)
	v_and_or_b32 v3, 0x380, v3, v0
	v_and_b32_e32 v4, 2, v4
	s_delay_alu instid0(VALU_DEP_1)
	v_lshl_or_b32 v17, v3, 2, v4
	ds_load_u16 v18, v17
	s_waitcnt lgkmcnt(0)
	v_add_nc_u16 v3, v18, 1
	ds_store_b16 v17, v3
	s_waitcnt lgkmcnt(0)
	s_barrier
	buffer_gl0_inv
	ds_load_2addr_b32 v[9:10], v12 offset1:1
	ds_load_2addr_b32 v[7:8], v12 offset0:2 offset1:3
	ds_load_2addr_b32 v[5:6], v12 offset0:4 offset1:5
	;; [unrolled: 1-line block ×3, first 2 shown]
	s_waitcnt lgkmcnt(3)
	v_add_nc_u32_e32 v19, v10, v9
	s_waitcnt lgkmcnt(2)
	s_delay_alu instid0(VALU_DEP_1) | instskip(SKIP_1) | instid1(VALU_DEP_1)
	v_add3_u32 v19, v19, v7, v8
	s_waitcnt lgkmcnt(1)
	v_add3_u32 v19, v19, v5, v6
	s_waitcnt lgkmcnt(0)
	s_delay_alu instid0(VALU_DEP_1) | instskip(NEXT) | instid1(VALU_DEP_1)
	v_add3_u32 v4, v19, v3, v4
	v_mov_b32_dpp v19, v4 row_shr:1 row_mask:0xf bank_mask:0xf
	s_delay_alu instid0(VALU_DEP_1) | instskip(NEXT) | instid1(VALU_DEP_1)
	v_cndmask_b32_e64 v19, v19, 0, s2
	v_add_nc_u32_e32 v4, v19, v4
	s_delay_alu instid0(VALU_DEP_1) | instskip(NEXT) | instid1(VALU_DEP_1)
	v_mov_b32_dpp v19, v4 row_shr:2 row_mask:0xf bank_mask:0xf
	v_cndmask_b32_e64 v19, 0, v19, s3
	s_delay_alu instid0(VALU_DEP_1) | instskip(NEXT) | instid1(VALU_DEP_1)
	v_add_nc_u32_e32 v4, v4, v19
	v_mov_b32_dpp v19, v4 row_shr:4 row_mask:0xf bank_mask:0xf
	s_delay_alu instid0(VALU_DEP_1) | instskip(NEXT) | instid1(VALU_DEP_1)
	v_cndmask_b32_e64 v19, 0, v19, s4
	v_add_nc_u32_e32 v4, v4, v19
	s_delay_alu instid0(VALU_DEP_1) | instskip(NEXT) | instid1(VALU_DEP_1)
	v_mov_b32_dpp v19, v4 row_shr:8 row_mask:0xf bank_mask:0xf
	v_cndmask_b32_e64 v19, 0, v19, s5
	s_delay_alu instid0(VALU_DEP_1) | instskip(SKIP_3) | instid1(VALU_DEP_1)
	v_add_nc_u32_e32 v4, v4, v19
	ds_swizzle_b32 v19, v4 offset:swizzle(BROADCAST,32,15)
	s_waitcnt lgkmcnt(0)
	v_cndmask_b32_e64 v19, v19, 0, s6
	v_add_nc_u32_e32 v4, v4, v19
	s_and_saveexec_b32 s10, s7
	s_cbranch_execz .LBB91_8
; %bb.7:                                ;   in Loop: Header=BB91_4 Depth=2
	ds_store_b32 v14, v4 offset:4096
.LBB91_8:                               ;   in Loop: Header=BB91_4 Depth=2
	s_or_b32 exec_lo, exec_lo, s10
	s_waitcnt lgkmcnt(0)
	s_barrier
	buffer_gl0_inv
	s_and_saveexec_b32 s10, vcc_lo
	s_cbranch_execz .LBB91_10
; %bb.9:                                ;   in Loop: Header=BB91_4 Depth=2
	ds_load_b32 v19, v13 offset:4096
	s_waitcnt lgkmcnt(0)
	v_mov_b32_dpp v20, v19 row_shr:1 row_mask:0xf bank_mask:0xf
	s_delay_alu instid0(VALU_DEP_1) | instskip(NEXT) | instid1(VALU_DEP_1)
	v_cndmask_b32_e64 v20, v20, 0, s8
	v_add_nc_u32_e32 v19, v20, v19
	s_delay_alu instid0(VALU_DEP_1) | instskip(NEXT) | instid1(VALU_DEP_1)
	v_mov_b32_dpp v20, v19 row_shr:2 row_mask:0xf bank_mask:0xf
	v_cndmask_b32_e64 v20, 0, v20, s9
	s_delay_alu instid0(VALU_DEP_1)
	v_add_nc_u32_e32 v19, v19, v20
	ds_store_b32 v13, v19 offset:4096
.LBB91_10:                              ;   in Loop: Header=BB91_4 Depth=2
	s_or_b32 exec_lo, exec_lo, s10
	v_mov_b32_e32 v19, 0
	s_waitcnt lgkmcnt(0)
	s_barrier
	buffer_gl0_inv
	s_and_saveexec_b32 s10, s0
	s_cbranch_execz .LBB91_3
; %bb.11:                               ;   in Loop: Header=BB91_4 Depth=2
	ds_load_b32 v19, v14 offset:4092
	s_branch .LBB91_3
.LBB91_12:
	ds_load_u16 v1, v17
	v_and_b32_e32 v2, 0xffff, v18
	s_lshl_b64 s[0:1], s[12:13], 2
	v_lshlrev_b32_e32 v0, 2, v0
	s_add_u32 s0, s18, s0
	s_addc_u32 s1, s19, s1
	s_waitcnt lgkmcnt(0)
	v_add_nc_u32_e32 v1, v1, v2
	global_store_b32 v0, v1, s[0:1]
	s_nop 0
	s_sendmsg sendmsg(MSG_DEALLOC_VGPRS)
	s_endpgm
	.section	.rodata,"a",@progbits
	.p2align	6, 0x0
	.amdhsa_kernel _Z11rank_kernelIxLj4ELb0EL18RadixRankAlgorithm1ELj128ELj1ELj10EEvPKT_Pi
		.amdhsa_group_segment_fixed_size 4112
		.amdhsa_private_segment_fixed_size 0
		.amdhsa_kernarg_size 16
		.amdhsa_user_sgpr_count 15
		.amdhsa_user_sgpr_dispatch_ptr 0
		.amdhsa_user_sgpr_queue_ptr 0
		.amdhsa_user_sgpr_kernarg_segment_ptr 1
		.amdhsa_user_sgpr_dispatch_id 0
		.amdhsa_user_sgpr_private_segment_size 0
		.amdhsa_wavefront_size32 1
		.amdhsa_uses_dynamic_stack 0
		.amdhsa_enable_private_segment 0
		.amdhsa_system_sgpr_workgroup_id_x 1
		.amdhsa_system_sgpr_workgroup_id_y 0
		.amdhsa_system_sgpr_workgroup_id_z 0
		.amdhsa_system_sgpr_workgroup_info 0
		.amdhsa_system_vgpr_workitem_id 0
		.amdhsa_next_free_vgpr 21
		.amdhsa_next_free_sgpr 20
		.amdhsa_reserve_vcc 1
		.amdhsa_float_round_mode_32 0
		.amdhsa_float_round_mode_16_64 0
		.amdhsa_float_denorm_mode_32 3
		.amdhsa_float_denorm_mode_16_64 3
		.amdhsa_dx10_clamp 1
		.amdhsa_ieee_mode 1
		.amdhsa_fp16_overflow 0
		.amdhsa_workgroup_processor_mode 1
		.amdhsa_memory_ordered 1
		.amdhsa_forward_progress 0
		.amdhsa_shared_vgpr_count 0
		.amdhsa_exception_fp_ieee_invalid_op 0
		.amdhsa_exception_fp_denorm_src 0
		.amdhsa_exception_fp_ieee_div_zero 0
		.amdhsa_exception_fp_ieee_overflow 0
		.amdhsa_exception_fp_ieee_underflow 0
		.amdhsa_exception_fp_ieee_inexact 0
		.amdhsa_exception_int_div_zero 0
	.end_amdhsa_kernel
	.section	.text._Z11rank_kernelIxLj4ELb0EL18RadixRankAlgorithm1ELj128ELj1ELj10EEvPKT_Pi,"axG",@progbits,_Z11rank_kernelIxLj4ELb0EL18RadixRankAlgorithm1ELj128ELj1ELj10EEvPKT_Pi,comdat
.Lfunc_end91:
	.size	_Z11rank_kernelIxLj4ELb0EL18RadixRankAlgorithm1ELj128ELj1ELj10EEvPKT_Pi, .Lfunc_end91-_Z11rank_kernelIxLj4ELb0EL18RadixRankAlgorithm1ELj128ELj1ELj10EEvPKT_Pi
                                        ; -- End function
	.section	.AMDGPU.csdata,"",@progbits
; Kernel info:
; codeLenInByte = 1012
; NumSgprs: 22
; NumVgprs: 21
; ScratchSize: 0
; MemoryBound: 0
; FloatMode: 240
; IeeeMode: 1
; LDSByteSize: 4112 bytes/workgroup (compile time only)
; SGPRBlocks: 2
; VGPRBlocks: 2
; NumSGPRsForWavesPerEU: 22
; NumVGPRsForWavesPerEU: 21
; Occupancy: 16
; WaveLimiterHint : 0
; COMPUTE_PGM_RSRC2:SCRATCH_EN: 0
; COMPUTE_PGM_RSRC2:USER_SGPR: 15
; COMPUTE_PGM_RSRC2:TRAP_HANDLER: 0
; COMPUTE_PGM_RSRC2:TGID_X_EN: 1
; COMPUTE_PGM_RSRC2:TGID_Y_EN: 0
; COMPUTE_PGM_RSRC2:TGID_Z_EN: 0
; COMPUTE_PGM_RSRC2:TIDIG_COMP_CNT: 0
	.section	.text._Z11rank_kernelIxLj4ELb0EL18RadixRankAlgorithm2ELj128ELj1ELj10EEvPKT_Pi,"axG",@progbits,_Z11rank_kernelIxLj4ELb0EL18RadixRankAlgorithm2ELj128ELj1ELj10EEvPKT_Pi,comdat
	.protected	_Z11rank_kernelIxLj4ELb0EL18RadixRankAlgorithm2ELj128ELj1ELj10EEvPKT_Pi ; -- Begin function _Z11rank_kernelIxLj4ELb0EL18RadixRankAlgorithm2ELj128ELj1ELj10EEvPKT_Pi
	.globl	_Z11rank_kernelIxLj4ELb0EL18RadixRankAlgorithm2ELj128ELj1ELj10EEvPKT_Pi
	.p2align	8
	.type	_Z11rank_kernelIxLj4ELb0EL18RadixRankAlgorithm2ELj128ELj1ELj10EEvPKT_Pi,@function
_Z11rank_kernelIxLj4ELb0EL18RadixRankAlgorithm2ELj128ELj1ELj10EEvPKT_Pi: ; @_Z11rank_kernelIxLj4ELb0EL18RadixRankAlgorithm2ELj128ELj1ELj10EEvPKT_Pi
; %bb.0:
	s_clause 0x1
	s_load_b128 s[16:19], s[0:1], 0x0
	s_load_b32 s7, s[0:1], 0x1c
	v_dual_mov_b32 v4, 0 :: v_dual_and_b32 v1, 0x3ff, v0
	s_mov_b32 s13, 0
	s_lshl_b32 s12, s15, 7
	v_mbcnt_lo_u32_b32 v5, -1, 0
	s_lshl_b64 s[2:3], s[12:13], 3
	v_lshlrev_b32_e32 v2, 3, v1
	v_bfe_u32 v6, v0, 10, 10
	v_bfe_u32 v7, v0, 20, 10
	v_and_b32_e32 v8, 15, v5
	v_add_nc_u32_e32 v10, -1, v5
	v_and_b32_e32 v9, 16, v5
	v_lshrrev_b32_e32 v12, 3, v1
	v_cmp_eq_u32_e32 vcc_lo, 0, v5
	v_and_b32_e32 v11, 3, v5
	v_lshlrev_b32_e32 v0, 2, v1
	v_cmp_eq_u32_e64 s4, 0, v9
	v_or_b32_e32 v9, 31, v1
	s_waitcnt lgkmcnt(0)
	s_add_u32 s0, s16, s2
	s_addc_u32 s1, s17, s3
	s_lshr_b32 s6, s7, 16
	global_load_b64 v[2:3], v2, s[0:1]
	v_mad_u32_u24 v6, v7, s6, v6
	s_and_b32 s7, s7, 0xffff
	v_cmp_eq_u32_e64 s0, 0, v8
	v_cmp_lt_u32_e64 s1, 1, v8
	v_cmp_lt_u32_e64 s2, 3, v8
	;; [unrolled: 1-line block ×3, first 2 shown]
	v_cmp_gt_u32_e64 s5, 4, v1
	v_cmp_lt_u32_e64 s6, 31, v1
	v_cmp_lt_u32_e64 s8, 1, v11
	v_cmp_eq_u32_e64 s9, v9, v1
	s_mov_b32 s16, s13
	s_waitcnt vmcnt(0)
	v_mad_u64_u32 v[7:8], null, v6, s7, v[1:2]
	v_cmp_gt_i32_e64 s7, 0, v10
	v_xor_b32_e32 v3, 0x80000000, v3
	s_delay_alu instid0(VALU_DEP_2) | instskip(SKIP_3) | instid1(VALU_DEP_4)
	v_cndmask_b32_e64 v6, v10, v5, s7
	v_and_b32_e32 v5, 12, v12
	v_cmp_eq_u32_e64 s7, 0, v11
	v_lshrrev_b32_e32 v7, 5, v7
	v_lshlrev_b32_e32 v6, 2, v6
	s_delay_alu instid0(VALU_DEP_4)
	v_add_nc_u32_e32 v8, -4, v5
	s_branch .LBB92_2
.LBB92_1:                               ;   in Loop: Header=BB92_2 Depth=1
	s_add_i32 s16, s16, 1
	s_delay_alu instid0(SALU_CYCLE_1)
	s_cmp_eq_u32 s16, 10
	s_cbranch_scc1 .LBB92_12
.LBB92_2:                               ; =>This Loop Header: Depth=1
                                        ;     Child Loop BB92_4 Depth 2
	s_mov_b64 s[14:15], 60
	s_mov_b32 s17, -4
	s_branch .LBB92_4
.LBB92_3:                               ;   in Loop: Header=BB92_4 Depth=2
	s_or_b32 exec_lo, exec_lo, s10
	s_waitcnt lgkmcnt(0)
	v_add_nc_u32_e32 v11, v12, v11
	s_add_i32 s17, s17, 4
	s_add_u32 s14, s14, -4
	s_addc_u32 s15, s15, -1
	s_cmp_lt_u32 s17, 60
	ds_bpermute_b32 v11, v6, v11
	s_waitcnt lgkmcnt(0)
	v_cndmask_b32_e32 v11, v11, v12, vcc_lo
	ds_store_b32 v0, v11 offset:16
	s_waitcnt lgkmcnt(0)
	s_barrier
	buffer_gl0_inv
	s_cbranch_scc0 .LBB92_1
.LBB92_4:                               ;   Parent Loop BB92_2 Depth=1
                                        ; =>  This Inner Loop Header: Depth=2
	v_lshlrev_b64 v[9:10], s14, v[2:3]
	ds_store_b32 v0, v4 offset:16
	s_waitcnt lgkmcnt(0)
	s_barrier
	buffer_gl0_inv
	v_bfe_u32 v9, v10, 28, 1
	v_lshrrev_b32_e32 v12, 28, v10
	v_and_b32_e32 v10, 0xf0000000, v10
	; wave barrier
	s_delay_alu instid0(VALU_DEP_3) | instskip(NEXT) | instid1(VALU_DEP_1)
	v_add_co_u32 v9, s10, v9, -1
	v_cndmask_b32_e64 v11, 0, 1, s10
	s_delay_alu instid0(VALU_DEP_4) | instskip(SKIP_2) | instid1(VALU_DEP_4)
	v_lshlrev_b32_e32 v13, 30, v12
	v_lshlrev_b32_e32 v14, 29, v12
	v_not_b32_e32 v15, v10
	v_cmp_ne_u32_e64 s10, 0, v11
	s_delay_alu instid0(VALU_DEP_4) | instskip(SKIP_2) | instid1(VALU_DEP_4)
	v_not_b32_e32 v11, v13
	v_cmp_gt_i32_e64 s11, 0, v13
	v_not_b32_e32 v13, v14
	v_xor_b32_e32 v9, s10, v9
	s_delay_alu instid0(VALU_DEP_4) | instskip(SKIP_1) | instid1(VALU_DEP_4)
	v_ashrrev_i32_e32 v11, 31, v11
	v_cmp_gt_i32_e64 s10, 0, v14
	v_ashrrev_i32_e32 v13, 31, v13
	s_delay_alu instid0(VALU_DEP_4) | instskip(NEXT) | instid1(VALU_DEP_4)
	v_and_b32_e32 v9, exec_lo, v9
	v_xor_b32_e32 v11, s11, v11
	v_cmp_gt_i32_e64 s11, 0, v10
	v_ashrrev_i32_e32 v10, 31, v15
	v_xor_b32_e32 v13, s10, v13
	s_delay_alu instid0(VALU_DEP_4) | instskip(NEXT) | instid1(VALU_DEP_3)
	v_and_b32_e32 v9, v9, v11
	v_xor_b32_e32 v10, s11, v10
	s_delay_alu instid0(VALU_DEP_2) | instskip(NEXT) | instid1(VALU_DEP_1)
	v_and_b32_e32 v9, v9, v13
	v_and_b32_e32 v11, v9, v10
	v_mad_u32_u24 v10, v12, 5, v7
	s_delay_alu instid0(VALU_DEP_2) | instskip(SKIP_1) | instid1(VALU_DEP_3)
	v_mbcnt_lo_u32_b32 v9, v11, 0
	v_cmp_ne_u32_e64 s11, 0, v11
	v_lshl_add_u32 v10, v10, 2, 16
	s_delay_alu instid0(VALU_DEP_3) | instskip(NEXT) | instid1(VALU_DEP_1)
	v_cmp_eq_u32_e64 s10, 0, v9
	s_and_b32 s11, s11, s10
	s_delay_alu instid0(SALU_CYCLE_1)
	s_and_saveexec_b32 s10, s11
	s_cbranch_execz .LBB92_6
; %bb.5:                                ;   in Loop: Header=BB92_4 Depth=2
	v_bcnt_u32_b32 v11, v11, 0
	ds_store_b32 v10, v11
.LBB92_6:                               ;   in Loop: Header=BB92_4 Depth=2
	s_or_b32 exec_lo, exec_lo, s10
	; wave barrier
	s_waitcnt lgkmcnt(0)
	s_barrier
	buffer_gl0_inv
	ds_load_b32 v11, v0 offset:16
	s_waitcnt lgkmcnt(0)
	v_mov_b32_dpp v12, v11 row_shr:1 row_mask:0xf bank_mask:0xf
	s_delay_alu instid0(VALU_DEP_1) | instskip(NEXT) | instid1(VALU_DEP_1)
	v_cndmask_b32_e64 v12, v12, 0, s0
	v_add_nc_u32_e32 v11, v12, v11
	s_delay_alu instid0(VALU_DEP_1) | instskip(NEXT) | instid1(VALU_DEP_1)
	v_mov_b32_dpp v12, v11 row_shr:2 row_mask:0xf bank_mask:0xf
	v_cndmask_b32_e64 v12, 0, v12, s1
	s_delay_alu instid0(VALU_DEP_1) | instskip(NEXT) | instid1(VALU_DEP_1)
	v_add_nc_u32_e32 v11, v11, v12
	v_mov_b32_dpp v12, v11 row_shr:4 row_mask:0xf bank_mask:0xf
	s_delay_alu instid0(VALU_DEP_1) | instskip(NEXT) | instid1(VALU_DEP_1)
	v_cndmask_b32_e64 v12, 0, v12, s2
	v_add_nc_u32_e32 v11, v11, v12
	s_delay_alu instid0(VALU_DEP_1) | instskip(NEXT) | instid1(VALU_DEP_1)
	v_mov_b32_dpp v12, v11 row_shr:8 row_mask:0xf bank_mask:0xf
	v_cndmask_b32_e64 v12, 0, v12, s3
	s_delay_alu instid0(VALU_DEP_1) | instskip(SKIP_3) | instid1(VALU_DEP_1)
	v_add_nc_u32_e32 v11, v11, v12
	ds_swizzle_b32 v12, v11 offset:swizzle(BROADCAST,32,15)
	s_waitcnt lgkmcnt(0)
	v_cndmask_b32_e64 v12, v12, 0, s4
	v_add_nc_u32_e32 v11, v11, v12
	s_and_saveexec_b32 s10, s9
	s_cbranch_execz .LBB92_8
; %bb.7:                                ;   in Loop: Header=BB92_4 Depth=2
	ds_store_b32 v5, v11
.LBB92_8:                               ;   in Loop: Header=BB92_4 Depth=2
	s_or_b32 exec_lo, exec_lo, s10
	s_waitcnt lgkmcnt(0)
	s_barrier
	buffer_gl0_inv
	s_and_saveexec_b32 s10, s5
	s_cbranch_execz .LBB92_10
; %bb.9:                                ;   in Loop: Header=BB92_4 Depth=2
	ds_load_b32 v12, v0
	s_waitcnt lgkmcnt(0)
	v_mov_b32_dpp v13, v12 row_shr:1 row_mask:0xf bank_mask:0xf
	s_delay_alu instid0(VALU_DEP_1) | instskip(NEXT) | instid1(VALU_DEP_1)
	v_cndmask_b32_e64 v13, v13, 0, s7
	v_add_nc_u32_e32 v12, v13, v12
	s_delay_alu instid0(VALU_DEP_1) | instskip(NEXT) | instid1(VALU_DEP_1)
	v_mov_b32_dpp v13, v12 row_shr:2 row_mask:0xf bank_mask:0xf
	v_cndmask_b32_e64 v13, 0, v13, s8
	s_delay_alu instid0(VALU_DEP_1)
	v_add_nc_u32_e32 v12, v12, v13
	ds_store_b32 v0, v12
.LBB92_10:                              ;   in Loop: Header=BB92_4 Depth=2
	s_or_b32 exec_lo, exec_lo, s10
	v_mov_b32_e32 v12, 0
	s_waitcnt lgkmcnt(0)
	s_barrier
	buffer_gl0_inv
	s_and_saveexec_b32 s10, s6
	s_cbranch_execz .LBB92_3
; %bb.11:                               ;   in Loop: Header=BB92_4 Depth=2
	ds_load_b32 v12, v8
	s_branch .LBB92_3
.LBB92_12:
	ds_load_b32 v0, v10
	s_lshl_b64 s[0:1], s[12:13], 2
	v_lshlrev_b32_e32 v1, 2, v1
	s_add_u32 s0, s18, s0
	s_addc_u32 s1, s19, s1
	s_waitcnt lgkmcnt(0)
	v_add_nc_u32_e32 v0, v0, v9
	global_store_b32 v1, v0, s[0:1]
	s_nop 0
	s_sendmsg sendmsg(MSG_DEALLOC_VGPRS)
	s_endpgm
	.section	.rodata,"a",@progbits
	.p2align	6, 0x0
	.amdhsa_kernel _Z11rank_kernelIxLj4ELb0EL18RadixRankAlgorithm2ELj128ELj1ELj10EEvPKT_Pi
		.amdhsa_group_segment_fixed_size 528
		.amdhsa_private_segment_fixed_size 0
		.amdhsa_kernarg_size 272
		.amdhsa_user_sgpr_count 15
		.amdhsa_user_sgpr_dispatch_ptr 0
		.amdhsa_user_sgpr_queue_ptr 0
		.amdhsa_user_sgpr_kernarg_segment_ptr 1
		.amdhsa_user_sgpr_dispatch_id 0
		.amdhsa_user_sgpr_private_segment_size 0
		.amdhsa_wavefront_size32 1
		.amdhsa_uses_dynamic_stack 0
		.amdhsa_enable_private_segment 0
		.amdhsa_system_sgpr_workgroup_id_x 1
		.amdhsa_system_sgpr_workgroup_id_y 0
		.amdhsa_system_sgpr_workgroup_id_z 0
		.amdhsa_system_sgpr_workgroup_info 0
		.amdhsa_system_vgpr_workitem_id 2
		.amdhsa_next_free_vgpr 16
		.amdhsa_next_free_sgpr 20
		.amdhsa_reserve_vcc 1
		.amdhsa_float_round_mode_32 0
		.amdhsa_float_round_mode_16_64 0
		.amdhsa_float_denorm_mode_32 3
		.amdhsa_float_denorm_mode_16_64 3
		.amdhsa_dx10_clamp 1
		.amdhsa_ieee_mode 1
		.amdhsa_fp16_overflow 0
		.amdhsa_workgroup_processor_mode 1
		.amdhsa_memory_ordered 1
		.amdhsa_forward_progress 0
		.amdhsa_shared_vgpr_count 0
		.amdhsa_exception_fp_ieee_invalid_op 0
		.amdhsa_exception_fp_denorm_src 0
		.amdhsa_exception_fp_ieee_div_zero 0
		.amdhsa_exception_fp_ieee_overflow 0
		.amdhsa_exception_fp_ieee_underflow 0
		.amdhsa_exception_fp_ieee_inexact 0
		.amdhsa_exception_int_div_zero 0
	.end_amdhsa_kernel
	.section	.text._Z11rank_kernelIxLj4ELb0EL18RadixRankAlgorithm2ELj128ELj1ELj10EEvPKT_Pi,"axG",@progbits,_Z11rank_kernelIxLj4ELb0EL18RadixRankAlgorithm2ELj128ELj1ELj10EEvPKT_Pi,comdat
.Lfunc_end92:
	.size	_Z11rank_kernelIxLj4ELb0EL18RadixRankAlgorithm2ELj128ELj1ELj10EEvPKT_Pi, .Lfunc_end92-_Z11rank_kernelIxLj4ELb0EL18RadixRankAlgorithm2ELj128ELj1ELj10EEvPKT_Pi
                                        ; -- End function
	.section	.AMDGPU.csdata,"",@progbits
; Kernel info:
; codeLenInByte = 1036
; NumSgprs: 22
; NumVgprs: 16
; ScratchSize: 0
; MemoryBound: 0
; FloatMode: 240
; IeeeMode: 1
; LDSByteSize: 528 bytes/workgroup (compile time only)
; SGPRBlocks: 2
; VGPRBlocks: 1
; NumSGPRsForWavesPerEU: 22
; NumVGPRsForWavesPerEU: 16
; Occupancy: 16
; WaveLimiterHint : 0
; COMPUTE_PGM_RSRC2:SCRATCH_EN: 0
; COMPUTE_PGM_RSRC2:USER_SGPR: 15
; COMPUTE_PGM_RSRC2:TRAP_HANDLER: 0
; COMPUTE_PGM_RSRC2:TGID_X_EN: 1
; COMPUTE_PGM_RSRC2:TGID_Y_EN: 0
; COMPUTE_PGM_RSRC2:TGID_Z_EN: 0
; COMPUTE_PGM_RSRC2:TIDIG_COMP_CNT: 2
	.section	.text._Z11rank_kernelIxLj4ELb0EL18RadixRankAlgorithm0ELj128ELj4ELj10EEvPKT_Pi,"axG",@progbits,_Z11rank_kernelIxLj4ELb0EL18RadixRankAlgorithm0ELj128ELj4ELj10EEvPKT_Pi,comdat
	.protected	_Z11rank_kernelIxLj4ELb0EL18RadixRankAlgorithm0ELj128ELj4ELj10EEvPKT_Pi ; -- Begin function _Z11rank_kernelIxLj4ELb0EL18RadixRankAlgorithm0ELj128ELj4ELj10EEvPKT_Pi
	.globl	_Z11rank_kernelIxLj4ELb0EL18RadixRankAlgorithm0ELj128ELj4ELj10EEvPKT_Pi
	.p2align	8
	.type	_Z11rank_kernelIxLj4ELb0EL18RadixRankAlgorithm0ELj128ELj4ELj10EEvPKT_Pi,@function
_Z11rank_kernelIxLj4ELb0EL18RadixRankAlgorithm0ELj128ELj4ELj10EEvPKT_Pi: ; @_Z11rank_kernelIxLj4ELb0EL18RadixRankAlgorithm0ELj128ELj4ELj10EEvPKT_Pi
; %bb.0:
	s_load_b128 s[16:19], s[0:1], 0x0
	s_mov_b32 s13, 0
	s_lshl_b32 s12, s15, 9
	v_dual_mov_b32 v11, 0 :: v_dual_lshlrev_b32 v10, 5, v0
	s_lshl_b64 s[0:1], s[12:13], 3
	v_mbcnt_lo_u32_b32 v12, -1, 0
	v_or_b32_e32 v15, 31, v0
	v_lshrrev_b32_e32 v17, 3, v0
	v_lshlrev_b32_e32 v9, 2, v0
	v_cmp_gt_u32_e32 vcc_lo, 4, v0
	v_add_nc_u32_e32 v16, -1, v12
	v_and_b32_e32 v13, 15, v12
	v_and_b32_e32 v14, 16, v12
	;; [unrolled: 1-line block ×3, first 2 shown]
	s_mov_b32 s11, s13
	v_cmp_gt_i32_e64 s7, 0, v16
	v_cmp_eq_u32_e64 s2, 0, v13
	v_cmp_lt_u32_e64 s3, 1, v13
	v_cmp_lt_u32_e64 s4, 3, v13
	s_waitcnt lgkmcnt(0)
	s_add_u32 s0, s16, s0
	s_addc_u32 s1, s17, s1
	v_cmp_lt_u32_e64 s5, 7, v13
	s_clause 0x1
	global_load_b128 v[1:4], v10, s[0:1]
	global_load_b128 v[5:8], v10, s[0:1] offset:16
	v_cndmask_b32_e64 v13, v16, v12, s7
	v_cmp_lt_u32_e64 s0, 31, v0
	v_cmp_eq_u32_e64 s1, 0, v12
	v_cmp_eq_u32_e64 s6, 0, v14
	;; [unrolled: 1-line block ×3, first 2 shown]
	v_and_b32_e32 v12, 12, v17
	v_cmp_eq_u32_e64 s8, 0, v18
	v_cmp_lt_u32_e64 s9, 1, v18
	v_lshlrev_b32_e32 v13, 2, v13
	v_or_b32_e32 v14, 0xffffff80, v0
	s_waitcnt vmcnt(1)
	v_xor_b32_e32 v2, 0x80000000, v2
	v_xor_b32_e32 v4, 0x80000000, v4
	s_waitcnt vmcnt(0)
	v_xor_b32_e32 v6, 0x80000000, v6
	v_xor_b32_e32 v8, 0x80000000, v8
	s_branch .LBB93_2
.LBB93_1:                               ;   in Loop: Header=BB93_2 Depth=1
	s_add_i32 s11, s11, 1
	s_delay_alu instid0(SALU_CYCLE_1)
	s_cmp_eq_u32 s11, 10
	s_cbranch_scc1 .LBB93_12
.LBB93_2:                               ; =>This Loop Header: Depth=1
                                        ;     Child Loop BB93_4 Depth 2
                                        ;       Child Loop BB93_5 Depth 3
	s_mov_b32 s14, 0
	s_branch .LBB93_4
.LBB93_3:                               ;   in Loop: Header=BB93_4 Depth=2
	s_or_b32 exec_lo, exec_lo, s10
	s_waitcnt lgkmcnt(0)
	v_add_nc_u32_e32 v23, v24, v23
	ds_load_b32 v27, v11 offset:4108
	ds_load_2addr_b32 v[25:26], v10 offset1:1
	s_add_i32 s10, s14, 4
	s_cmp_lt_u32 s14, 60
	s_mov_b32 s14, s10
	ds_bpermute_b32 v23, v13, v23
	s_waitcnt lgkmcnt(0)
	v_cndmask_b32_e64 v28, v23, v24, s1
	ds_load_2addr_b32 v[23:24], v10 offset0:2 offset1:3
	v_lshl_add_u32 v29, v27, 16, v28
	ds_load_2addr_b32 v[27:28], v10 offset0:4 offset1:5
	ds_load_b32 v30, v10 offset:24
	v_add_nc_u32_e32 v25, v29, v25
	s_delay_alu instid0(VALU_DEP_1) | instskip(SKIP_1) | instid1(VALU_DEP_1)
	v_add_nc_u32_e32 v26, v26, v25
	s_waitcnt lgkmcnt(2)
	v_add_nc_u32_e32 v23, v23, v26
	s_delay_alu instid0(VALU_DEP_1) | instskip(SKIP_1) | instid1(VALU_DEP_1)
	v_add_nc_u32_e32 v24, v24, v23
	s_waitcnt lgkmcnt(1)
	;; [unrolled: 4-line block ×3, first 2 shown]
	v_add_nc_u32_e32 v30, v30, v28
	ds_store_2addr_b32 v10, v29, v25 offset1:1
	ds_store_2addr_b32 v10, v26, v23 offset0:2 offset1:3
	ds_store_2addr_b32 v10, v24, v27 offset0:4 offset1:5
	;; [unrolled: 1-line block ×3, first 2 shown]
	s_waitcnt lgkmcnt(0)
	s_barrier
	buffer_gl0_inv
	s_cbranch_scc0 .LBB93_1
.LBB93_4:                               ;   Parent Loop BB93_2 Depth=1
                                        ; =>  This Loop Header: Depth=2
                                        ;       Child Loop BB93_5 Depth 3
	v_dual_mov_b32 v15, v14 :: v_dual_mov_b32 v16, v9
	s_mov_b32 s15, 0
.LBB93_5:                               ;   Parent Loop BB93_2 Depth=1
                                        ;     Parent Loop BB93_4 Depth=2
                                        ; =>    This Inner Loop Header: Depth=3
	s_delay_alu instid0(VALU_DEP_1) | instskip(SKIP_3) | instid1(VALU_DEP_1)
	v_add_nc_u32_e32 v15, 0x80, v15
	ds_store_b32 v16, v11
	v_add_nc_u32_e32 v16, 0x200, v16
	v_cmp_lt_u32_e64 s10, 0x37f, v15
	s_or_b32 s15, s10, s15
	s_delay_alu instid0(SALU_CYCLE_1)
	s_and_not1_b32 exec_lo, exec_lo, s15
	s_cbranch_execnz .LBB93_5
; %bb.6:                                ;   in Loop: Header=BB93_4 Depth=2
	s_or_b32 exec_lo, exec_lo, s15
	s_sub_i32 s10, 60, s14
	s_delay_alu instid0(SALU_CYCLE_1) | instskip(SKIP_1) | instid1(VALU_DEP_2)
	v_lshlrev_b64 v[15:16], s10, v[1:2]
	v_lshlrev_b64 v[17:18], s10, v[3:4]
	v_lshrrev_b32_e32 v15, 21, v16
	v_lshrrev_b32_e32 v16, 30, v16
	s_delay_alu instid0(VALU_DEP_3) | instskip(SKIP_1) | instid1(VALU_DEP_4)
	v_lshrrev_b32_e32 v17, 21, v18
	v_lshrrev_b32_e32 v18, 30, v18
	v_and_or_b32 v15, 0x380, v15, v0
	s_delay_alu instid0(VALU_DEP_4) | instskip(NEXT) | instid1(VALU_DEP_4)
	v_and_b32_e32 v16, 2, v16
	v_and_or_b32 v17, 0x380, v17, v0
	s_delay_alu instid0(VALU_DEP_4) | instskip(NEXT) | instid1(VALU_DEP_3)
	v_and_b32_e32 v18, 2, v18
	v_lshl_or_b32 v16, v15, 2, v16
	s_delay_alu instid0(VALU_DEP_2)
	v_lshl_or_b32 v18, v17, 2, v18
	ds_load_u16 v15, v16
	s_waitcnt lgkmcnt(0)
	v_add_nc_u16 v19, v15, 1
	ds_store_b16 v16, v19
	ds_load_u16 v17, v18
	v_lshlrev_b64 v[19:20], s10, v[5:6]
	s_delay_alu instid0(VALU_DEP_1) | instskip(SKIP_1) | instid1(VALU_DEP_2)
	v_lshrrev_b32_e32 v19, 21, v20
	v_lshrrev_b32_e32 v20, 30, v20
	v_and_or_b32 v19, 0x380, v19, v0
	s_delay_alu instid0(VALU_DEP_2) | instskip(NEXT) | instid1(VALU_DEP_1)
	v_and_b32_e32 v20, 2, v20
	v_lshl_or_b32 v20, v19, 2, v20
	s_waitcnt lgkmcnt(0)
	v_add_nc_u16 v21, v17, 1
	ds_store_b16 v18, v21
	ds_load_u16 v19, v20
	v_lshlrev_b64 v[21:22], s10, v[7:8]
	s_delay_alu instid0(VALU_DEP_1) | instskip(SKIP_1) | instid1(VALU_DEP_2)
	v_lshrrev_b32_e32 v21, 21, v22
	v_lshrrev_b32_e32 v22, 30, v22
	v_and_or_b32 v21, 0x380, v21, v0
	s_delay_alu instid0(VALU_DEP_2) | instskip(NEXT) | instid1(VALU_DEP_1)
	v_and_b32_e32 v22, 2, v22
	v_lshl_or_b32 v22, v21, 2, v22
	s_waitcnt lgkmcnt(0)
	v_add_nc_u16 v23, v19, 1
	ds_store_b16 v20, v23
	ds_load_u16 v21, v22
	s_waitcnt lgkmcnt(0)
	v_add_nc_u16 v23, v21, 1
	ds_store_b16 v22, v23
	s_waitcnt lgkmcnt(0)
	s_barrier
	buffer_gl0_inv
	ds_load_2addr_b32 v[23:24], v10 offset1:1
	ds_load_2addr_b32 v[25:26], v10 offset0:2 offset1:3
	ds_load_2addr_b32 v[27:28], v10 offset0:4 offset1:5
	;; [unrolled: 1-line block ×3, first 2 shown]
	s_waitcnt lgkmcnt(3)
	v_add_nc_u32_e32 v23, v24, v23
	s_waitcnt lgkmcnt(2)
	s_delay_alu instid0(VALU_DEP_1) | instskip(SKIP_1) | instid1(VALU_DEP_1)
	v_add3_u32 v23, v23, v25, v26
	s_waitcnt lgkmcnt(1)
	v_add3_u32 v23, v23, v27, v28
	s_waitcnt lgkmcnt(0)
	s_delay_alu instid0(VALU_DEP_1) | instskip(NEXT) | instid1(VALU_DEP_1)
	v_add3_u32 v23, v23, v29, v30
	v_mov_b32_dpp v24, v23 row_shr:1 row_mask:0xf bank_mask:0xf
	s_delay_alu instid0(VALU_DEP_1) | instskip(NEXT) | instid1(VALU_DEP_1)
	v_cndmask_b32_e64 v24, v24, 0, s2
	v_add_nc_u32_e32 v23, v24, v23
	s_delay_alu instid0(VALU_DEP_1) | instskip(NEXT) | instid1(VALU_DEP_1)
	v_mov_b32_dpp v24, v23 row_shr:2 row_mask:0xf bank_mask:0xf
	v_cndmask_b32_e64 v24, 0, v24, s3
	s_delay_alu instid0(VALU_DEP_1) | instskip(NEXT) | instid1(VALU_DEP_1)
	v_add_nc_u32_e32 v23, v23, v24
	v_mov_b32_dpp v24, v23 row_shr:4 row_mask:0xf bank_mask:0xf
	s_delay_alu instid0(VALU_DEP_1) | instskip(NEXT) | instid1(VALU_DEP_1)
	v_cndmask_b32_e64 v24, 0, v24, s4
	v_add_nc_u32_e32 v23, v23, v24
	s_delay_alu instid0(VALU_DEP_1) | instskip(NEXT) | instid1(VALU_DEP_1)
	v_mov_b32_dpp v24, v23 row_shr:8 row_mask:0xf bank_mask:0xf
	v_cndmask_b32_e64 v24, 0, v24, s5
	s_delay_alu instid0(VALU_DEP_1) | instskip(SKIP_3) | instid1(VALU_DEP_1)
	v_add_nc_u32_e32 v23, v23, v24
	ds_swizzle_b32 v24, v23 offset:swizzle(BROADCAST,32,15)
	s_waitcnt lgkmcnt(0)
	v_cndmask_b32_e64 v24, v24, 0, s6
	v_add_nc_u32_e32 v23, v23, v24
	s_and_saveexec_b32 s10, s7
	s_cbranch_execz .LBB93_8
; %bb.7:                                ;   in Loop: Header=BB93_4 Depth=2
	ds_store_b32 v12, v23 offset:4096
.LBB93_8:                               ;   in Loop: Header=BB93_4 Depth=2
	s_or_b32 exec_lo, exec_lo, s10
	s_waitcnt lgkmcnt(0)
	s_barrier
	buffer_gl0_inv
	s_and_saveexec_b32 s10, vcc_lo
	s_cbranch_execz .LBB93_10
; %bb.9:                                ;   in Loop: Header=BB93_4 Depth=2
	ds_load_b32 v24, v9 offset:4096
	s_waitcnt lgkmcnt(0)
	v_mov_b32_dpp v25, v24 row_shr:1 row_mask:0xf bank_mask:0xf
	s_delay_alu instid0(VALU_DEP_1) | instskip(NEXT) | instid1(VALU_DEP_1)
	v_cndmask_b32_e64 v25, v25, 0, s8
	v_add_nc_u32_e32 v24, v25, v24
	s_delay_alu instid0(VALU_DEP_1) | instskip(NEXT) | instid1(VALU_DEP_1)
	v_mov_b32_dpp v25, v24 row_shr:2 row_mask:0xf bank_mask:0xf
	v_cndmask_b32_e64 v25, 0, v25, s9
	s_delay_alu instid0(VALU_DEP_1)
	v_add_nc_u32_e32 v24, v24, v25
	ds_store_b32 v9, v24 offset:4096
.LBB93_10:                              ;   in Loop: Header=BB93_4 Depth=2
	s_or_b32 exec_lo, exec_lo, s10
	v_mov_b32_e32 v24, 0
	s_waitcnt lgkmcnt(0)
	s_barrier
	buffer_gl0_inv
	s_and_saveexec_b32 s10, s0
	s_cbranch_execz .LBB93_3
; %bb.11:                               ;   in Loop: Header=BB93_4 Depth=2
	ds_load_b32 v24, v12 offset:4092
	s_branch .LBB93_3
.LBB93_12:
	ds_load_u16 v0, v16
	ds_load_u16 v1, v18
	;; [unrolled: 1-line block ×4, first 2 shown]
	v_and_b32_e32 v4, 0xffff, v15
	v_and_b32_e32 v5, 0xffff, v17
	v_and_b32_e32 v6, 0xffff, v19
	v_and_b32_e32 v7, 0xffff, v21
	s_lshl_b64 s[0:1], s[12:13], 2
	s_delay_alu instid0(SALU_CYCLE_1)
	s_add_u32 s0, s18, s0
	s_addc_u32 s1, s19, s1
	s_waitcnt lgkmcnt(3)
	v_add_nc_u32_e32 v0, v0, v4
	s_waitcnt lgkmcnt(2)
	v_add_nc_u32_e32 v1, v1, v5
	;; [unrolled: 2-line block ×4, first 2 shown]
	v_lshlrev_b32_e32 v4, 2, v9
	global_store_b128 v4, v[0:3], s[0:1]
	s_nop 0
	s_sendmsg sendmsg(MSG_DEALLOC_VGPRS)
	s_endpgm
	.section	.rodata,"a",@progbits
	.p2align	6, 0x0
	.amdhsa_kernel _Z11rank_kernelIxLj4ELb0EL18RadixRankAlgorithm0ELj128ELj4ELj10EEvPKT_Pi
		.amdhsa_group_segment_fixed_size 4112
		.amdhsa_private_segment_fixed_size 0
		.amdhsa_kernarg_size 16
		.amdhsa_user_sgpr_count 15
		.amdhsa_user_sgpr_dispatch_ptr 0
		.amdhsa_user_sgpr_queue_ptr 0
		.amdhsa_user_sgpr_kernarg_segment_ptr 1
		.amdhsa_user_sgpr_dispatch_id 0
		.amdhsa_user_sgpr_private_segment_size 0
		.amdhsa_wavefront_size32 1
		.amdhsa_uses_dynamic_stack 0
		.amdhsa_enable_private_segment 0
		.amdhsa_system_sgpr_workgroup_id_x 1
		.amdhsa_system_sgpr_workgroup_id_y 0
		.amdhsa_system_sgpr_workgroup_id_z 0
		.amdhsa_system_sgpr_workgroup_info 0
		.amdhsa_system_vgpr_workitem_id 0
		.amdhsa_next_free_vgpr 31
		.amdhsa_next_free_sgpr 20
		.amdhsa_reserve_vcc 1
		.amdhsa_float_round_mode_32 0
		.amdhsa_float_round_mode_16_64 0
		.amdhsa_float_denorm_mode_32 3
		.amdhsa_float_denorm_mode_16_64 3
		.amdhsa_dx10_clamp 1
		.amdhsa_ieee_mode 1
		.amdhsa_fp16_overflow 0
		.amdhsa_workgroup_processor_mode 1
		.amdhsa_memory_ordered 1
		.amdhsa_forward_progress 0
		.amdhsa_shared_vgpr_count 0
		.amdhsa_exception_fp_ieee_invalid_op 0
		.amdhsa_exception_fp_denorm_src 0
		.amdhsa_exception_fp_ieee_div_zero 0
		.amdhsa_exception_fp_ieee_overflow 0
		.amdhsa_exception_fp_ieee_underflow 0
		.amdhsa_exception_fp_ieee_inexact 0
		.amdhsa_exception_int_div_zero 0
	.end_amdhsa_kernel
	.section	.text._Z11rank_kernelIxLj4ELb0EL18RadixRankAlgorithm0ELj128ELj4ELj10EEvPKT_Pi,"axG",@progbits,_Z11rank_kernelIxLj4ELb0EL18RadixRankAlgorithm0ELj128ELj4ELj10EEvPKT_Pi,comdat
.Lfunc_end93:
	.size	_Z11rank_kernelIxLj4ELb0EL18RadixRankAlgorithm0ELj128ELj4ELj10EEvPKT_Pi, .Lfunc_end93-_Z11rank_kernelIxLj4ELb0EL18RadixRankAlgorithm0ELj128ELj4ELj10EEvPKT_Pi
                                        ; -- End function
	.section	.AMDGPU.csdata,"",@progbits
; Kernel info:
; codeLenInByte = 1388
; NumSgprs: 22
; NumVgprs: 31
; ScratchSize: 0
; MemoryBound: 0
; FloatMode: 240
; IeeeMode: 1
; LDSByteSize: 4112 bytes/workgroup (compile time only)
; SGPRBlocks: 2
; VGPRBlocks: 3
; NumSGPRsForWavesPerEU: 22
; NumVGPRsForWavesPerEU: 31
; Occupancy: 16
; WaveLimiterHint : 0
; COMPUTE_PGM_RSRC2:SCRATCH_EN: 0
; COMPUTE_PGM_RSRC2:USER_SGPR: 15
; COMPUTE_PGM_RSRC2:TRAP_HANDLER: 0
; COMPUTE_PGM_RSRC2:TGID_X_EN: 1
; COMPUTE_PGM_RSRC2:TGID_Y_EN: 0
; COMPUTE_PGM_RSRC2:TGID_Z_EN: 0
; COMPUTE_PGM_RSRC2:TIDIG_COMP_CNT: 0
	.section	.text._Z11rank_kernelIxLj4ELb0EL18RadixRankAlgorithm1ELj128ELj4ELj10EEvPKT_Pi,"axG",@progbits,_Z11rank_kernelIxLj4ELb0EL18RadixRankAlgorithm1ELj128ELj4ELj10EEvPKT_Pi,comdat
	.protected	_Z11rank_kernelIxLj4ELb0EL18RadixRankAlgorithm1ELj128ELj4ELj10EEvPKT_Pi ; -- Begin function _Z11rank_kernelIxLj4ELb0EL18RadixRankAlgorithm1ELj128ELj4ELj10EEvPKT_Pi
	.globl	_Z11rank_kernelIxLj4ELb0EL18RadixRankAlgorithm1ELj128ELj4ELj10EEvPKT_Pi
	.p2align	8
	.type	_Z11rank_kernelIxLj4ELb0EL18RadixRankAlgorithm1ELj128ELj4ELj10EEvPKT_Pi,@function
_Z11rank_kernelIxLj4ELb0EL18RadixRankAlgorithm1ELj128ELj4ELj10EEvPKT_Pi: ; @_Z11rank_kernelIxLj4ELb0EL18RadixRankAlgorithm1ELj128ELj4ELj10EEvPKT_Pi
; %bb.0:
	s_load_b128 s[16:19], s[0:1], 0x0
	s_mov_b32 s13, 0
	s_lshl_b32 s12, s15, 9
	v_dual_mov_b32 v19, 0 :: v_dual_lshlrev_b32 v18, 5, v0
	s_lshl_b64 s[0:1], s[12:13], 3
	v_mbcnt_lo_u32_b32 v9, -1, 0
	v_or_b32_e32 v12, 31, v0
	v_lshrrev_b32_e32 v14, 3, v0
	v_lshlrev_b32_e32 v17, 2, v0
	v_cmp_gt_u32_e32 vcc_lo, 4, v0
	v_add_nc_u32_e32 v13, -1, v9
	v_and_b32_e32 v10, 15, v9
	v_and_b32_e32 v11, 16, v9
	;; [unrolled: 1-line block ×4, first 2 shown]
	v_cmp_gt_i32_e64 s7, 0, v13
	v_cmp_eq_u32_e64 s2, 0, v10
	v_cmp_lt_u32_e64 s3, 1, v10
	v_cmp_lt_u32_e64 s4, 3, v10
	s_waitcnt lgkmcnt(0)
	s_add_u32 s0, s16, s0
	s_addc_u32 s1, s17, s1
	v_cmp_lt_u32_e64 s5, 7, v10
	s_clause 0x1
	global_load_b128 v[1:4], v18, s[0:1]
	global_load_b128 v[5:8], v18, s[0:1] offset:16
	v_cmp_eq_u32_e64 s1, 0, v9
	v_cndmask_b32_e64 v9, v13, v9, s7
	v_cmp_lt_u32_e64 s0, 31, v0
	v_cmp_eq_u32_e64 s6, 0, v11
	v_cmp_eq_u32_e64 s7, v12, v0
	;; [unrolled: 1-line block ×3, first 2 shown]
	v_cmp_lt_u32_e64 s9, 1, v15
	v_lshlrev_b32_e32 v21, 2, v9
	v_or_b32_e32 v22, 0xffffff80, v0
	s_mov_b32 s11, s13
	s_waitcnt vmcnt(1)
	v_xor_b32_e32 v2, 0x80000000, v2
	v_xor_b32_e32 v4, 0x80000000, v4
	s_waitcnt vmcnt(0)
	v_xor_b32_e32 v6, 0x80000000, v6
	v_xor_b32_e32 v8, 0x80000000, v8
	s_branch .LBB94_2
.LBB94_1:                               ;   in Loop: Header=BB94_2 Depth=1
	s_add_i32 s11, s11, 1
	s_delay_alu instid0(SALU_CYCLE_1)
	s_cmp_eq_u32 s11, 10
	s_cbranch_scc1 .LBB94_12
.LBB94_2:                               ; =>This Loop Header: Depth=1
                                        ;     Child Loop BB94_4 Depth 2
                                        ;       Child Loop BB94_5 Depth 3
	s_mov_b32 s14, 0
	s_branch .LBB94_4
.LBB94_3:                               ;   in Loop: Header=BB94_4 Depth=2
	s_or_b32 exec_lo, exec_lo, s10
	s_waitcnt lgkmcnt(0)
	v_add_nc_u32_e32 v10, v31, v10
	ds_load_b32 v32, v19 offset:4108
	s_add_i32 s10, s14, 4
	s_cmp_lt_u32 s14, 60
	s_mov_b32 s14, s10
	ds_bpermute_b32 v10, v21, v10
	s_waitcnt lgkmcnt(0)
	v_cndmask_b32_e64 v10, v10, v31, s1
	s_delay_alu instid0(VALU_DEP_1) | instskip(NEXT) | instid1(VALU_DEP_1)
	v_lshl_add_u32 v10, v32, 16, v10
	v_add_nc_u32_e32 v15, v10, v15
	s_delay_alu instid0(VALU_DEP_1) | instskip(NEXT) | instid1(VALU_DEP_1)
	v_add_nc_u32_e32 v16, v15, v16
	v_add_nc_u32_e32 v13, v16, v13
	s_delay_alu instid0(VALU_DEP_1) | instskip(NEXT) | instid1(VALU_DEP_1)
	v_add_nc_u32_e32 v14, v13, v14
	;; [unrolled: 3-line block ×3, first 2 shown]
	v_add_nc_u32_e32 v9, v12, v9
	ds_store_2addr_b32 v18, v10, v15 offset1:1
	ds_store_2addr_b32 v18, v16, v13 offset0:2 offset1:3
	ds_store_2addr_b32 v18, v14, v11 offset0:4 offset1:5
	;; [unrolled: 1-line block ×3, first 2 shown]
	s_waitcnt lgkmcnt(0)
	s_barrier
	buffer_gl0_inv
	s_cbranch_scc0 .LBB94_1
.LBB94_4:                               ;   Parent Loop BB94_2 Depth=1
                                        ; =>  This Loop Header: Depth=2
                                        ;       Child Loop BB94_5 Depth 3
	v_dual_mov_b32 v9, v22 :: v_dual_mov_b32 v10, v17
	s_mov_b32 s15, 0
.LBB94_5:                               ;   Parent Loop BB94_2 Depth=1
                                        ;     Parent Loop BB94_4 Depth=2
                                        ; =>    This Inner Loop Header: Depth=3
	s_delay_alu instid0(VALU_DEP_1) | instskip(SKIP_3) | instid1(VALU_DEP_1)
	v_add_nc_u32_e32 v9, 0x80, v9
	ds_store_b32 v10, v19
	v_add_nc_u32_e32 v10, 0x200, v10
	v_cmp_lt_u32_e64 s10, 0x37f, v9
	s_or_b32 s15, s10, s15
	s_delay_alu instid0(SALU_CYCLE_1)
	s_and_not1_b32 exec_lo, exec_lo, s15
	s_cbranch_execnz .LBB94_5
; %bb.6:                                ;   in Loop: Header=BB94_4 Depth=2
	s_or_b32 exec_lo, exec_lo, s15
	s_sub_i32 s10, 60, s14
	s_delay_alu instid0(SALU_CYCLE_1) | instskip(NEXT) | instid1(VALU_DEP_1)
	v_lshlrev_b64 v[9:10], s10, v[1:2]
	v_lshrrev_b32_e32 v9, 21, v10
	v_lshrrev_b32_e32 v10, 30, v10
	s_delay_alu instid0(VALU_DEP_2) | instskip(NEXT) | instid1(VALU_DEP_2)
	v_and_or_b32 v9, 0x380, v9, v0
	v_and_b32_e32 v10, 2, v10
	s_delay_alu instid0(VALU_DEP_1) | instskip(SKIP_4) | instid1(VALU_DEP_2)
	v_lshl_or_b32 v24, v9, 2, v10
	v_lshlrev_b64 v[9:10], s10, v[3:4]
	ds_load_u16 v23, v24
	v_lshrrev_b32_e32 v9, 21, v10
	v_lshrrev_b32_e32 v10, 30, v10
	v_and_or_b32 v9, 0x380, v9, v0
	s_delay_alu instid0(VALU_DEP_2) | instskip(NEXT) | instid1(VALU_DEP_1)
	v_and_b32_e32 v10, 2, v10
	v_lshl_or_b32 v26, v9, 2, v10
	v_lshlrev_b64 v[9:10], s10, v[5:6]
	s_delay_alu instid0(VALU_DEP_1) | instskip(SKIP_3) | instid1(VALU_DEP_3)
	v_lshrrev_b32_e32 v9, 21, v10
	s_waitcnt lgkmcnt(0)
	v_add_nc_u16 v11, v23, 1
	v_lshrrev_b32_e32 v10, 30, v10
	v_and_or_b32 v9, 0x380, v9, v0
	ds_store_b16 v24, v11
	ds_load_u16 v25, v26
	v_and_b32_e32 v10, 2, v10
	s_delay_alu instid0(VALU_DEP_1) | instskip(SKIP_1) | instid1(VALU_DEP_1)
	v_lshl_or_b32 v28, v9, 2, v10
	v_lshlrev_b64 v[9:10], s10, v[7:8]
	v_lshrrev_b32_e32 v9, 21, v10
	v_lshrrev_b32_e32 v10, 30, v10
	s_delay_alu instid0(VALU_DEP_2) | instskip(NEXT) | instid1(VALU_DEP_2)
	v_and_or_b32 v9, 0x380, v9, v0
	v_and_b32_e32 v10, 2, v10
	s_waitcnt lgkmcnt(0)
	v_add_nc_u16 v11, v25, 1
	s_delay_alu instid0(VALU_DEP_2)
	v_lshl_or_b32 v30, v9, 2, v10
	ds_store_b16 v26, v11
	ds_load_u16 v27, v28
	s_waitcnt lgkmcnt(0)
	v_add_nc_u16 v11, v27, 1
	ds_store_b16 v28, v11
	ds_load_u16 v29, v30
	s_waitcnt lgkmcnt(0)
	v_add_nc_u16 v9, v29, 1
	ds_store_b16 v30, v9
	s_waitcnt lgkmcnt(0)
	s_barrier
	buffer_gl0_inv
	ds_load_2addr_b32 v[15:16], v18 offset1:1
	ds_load_2addr_b32 v[13:14], v18 offset0:2 offset1:3
	ds_load_2addr_b32 v[11:12], v18 offset0:4 offset1:5
	;; [unrolled: 1-line block ×3, first 2 shown]
	s_waitcnt lgkmcnt(3)
	v_add_nc_u32_e32 v31, v16, v15
	s_waitcnt lgkmcnt(2)
	s_delay_alu instid0(VALU_DEP_1) | instskip(SKIP_1) | instid1(VALU_DEP_1)
	v_add3_u32 v31, v31, v13, v14
	s_waitcnt lgkmcnt(1)
	v_add3_u32 v31, v31, v11, v12
	s_waitcnt lgkmcnt(0)
	s_delay_alu instid0(VALU_DEP_1) | instskip(NEXT) | instid1(VALU_DEP_1)
	v_add3_u32 v10, v31, v9, v10
	v_mov_b32_dpp v31, v10 row_shr:1 row_mask:0xf bank_mask:0xf
	s_delay_alu instid0(VALU_DEP_1) | instskip(NEXT) | instid1(VALU_DEP_1)
	v_cndmask_b32_e64 v31, v31, 0, s2
	v_add_nc_u32_e32 v10, v31, v10
	s_delay_alu instid0(VALU_DEP_1) | instskip(NEXT) | instid1(VALU_DEP_1)
	v_mov_b32_dpp v31, v10 row_shr:2 row_mask:0xf bank_mask:0xf
	v_cndmask_b32_e64 v31, 0, v31, s3
	s_delay_alu instid0(VALU_DEP_1) | instskip(NEXT) | instid1(VALU_DEP_1)
	v_add_nc_u32_e32 v10, v10, v31
	v_mov_b32_dpp v31, v10 row_shr:4 row_mask:0xf bank_mask:0xf
	s_delay_alu instid0(VALU_DEP_1) | instskip(NEXT) | instid1(VALU_DEP_1)
	v_cndmask_b32_e64 v31, 0, v31, s4
	v_add_nc_u32_e32 v10, v10, v31
	s_delay_alu instid0(VALU_DEP_1) | instskip(NEXT) | instid1(VALU_DEP_1)
	v_mov_b32_dpp v31, v10 row_shr:8 row_mask:0xf bank_mask:0xf
	v_cndmask_b32_e64 v31, 0, v31, s5
	s_delay_alu instid0(VALU_DEP_1) | instskip(SKIP_3) | instid1(VALU_DEP_1)
	v_add_nc_u32_e32 v10, v10, v31
	ds_swizzle_b32 v31, v10 offset:swizzle(BROADCAST,32,15)
	s_waitcnt lgkmcnt(0)
	v_cndmask_b32_e64 v31, v31, 0, s6
	v_add_nc_u32_e32 v10, v10, v31
	s_and_saveexec_b32 s10, s7
	s_cbranch_execz .LBB94_8
; %bb.7:                                ;   in Loop: Header=BB94_4 Depth=2
	ds_store_b32 v20, v10 offset:4096
.LBB94_8:                               ;   in Loop: Header=BB94_4 Depth=2
	s_or_b32 exec_lo, exec_lo, s10
	s_waitcnt lgkmcnt(0)
	s_barrier
	buffer_gl0_inv
	s_and_saveexec_b32 s10, vcc_lo
	s_cbranch_execz .LBB94_10
; %bb.9:                                ;   in Loop: Header=BB94_4 Depth=2
	ds_load_b32 v31, v17 offset:4096
	s_waitcnt lgkmcnt(0)
	v_mov_b32_dpp v32, v31 row_shr:1 row_mask:0xf bank_mask:0xf
	s_delay_alu instid0(VALU_DEP_1) | instskip(NEXT) | instid1(VALU_DEP_1)
	v_cndmask_b32_e64 v32, v32, 0, s8
	v_add_nc_u32_e32 v31, v32, v31
	s_delay_alu instid0(VALU_DEP_1) | instskip(NEXT) | instid1(VALU_DEP_1)
	v_mov_b32_dpp v32, v31 row_shr:2 row_mask:0xf bank_mask:0xf
	v_cndmask_b32_e64 v32, 0, v32, s9
	s_delay_alu instid0(VALU_DEP_1)
	v_add_nc_u32_e32 v31, v31, v32
	ds_store_b32 v17, v31 offset:4096
.LBB94_10:                              ;   in Loop: Header=BB94_4 Depth=2
	s_or_b32 exec_lo, exec_lo, s10
	v_mov_b32_e32 v31, 0
	s_waitcnt lgkmcnt(0)
	s_barrier
	buffer_gl0_inv
	s_and_saveexec_b32 s10, s0
	s_cbranch_execz .LBB94_3
; %bb.11:                               ;   in Loop: Header=BB94_4 Depth=2
	ds_load_b32 v31, v20 offset:4092
	s_branch .LBB94_3
.LBB94_12:
	ds_load_u16 v0, v24
	ds_load_u16 v1, v26
	;; [unrolled: 1-line block ×4, first 2 shown]
	v_and_b32_e32 v4, 0xffff, v23
	v_and_b32_e32 v5, 0xffff, v25
	;; [unrolled: 1-line block ×4, first 2 shown]
	s_lshl_b64 s[0:1], s[12:13], 2
	s_delay_alu instid0(SALU_CYCLE_1)
	s_add_u32 s0, s18, s0
	s_addc_u32 s1, s19, s1
	s_waitcnt lgkmcnt(3)
	v_add_nc_u32_e32 v0, v0, v4
	s_waitcnt lgkmcnt(2)
	v_add_nc_u32_e32 v1, v1, v5
	;; [unrolled: 2-line block ×4, first 2 shown]
	v_lshlrev_b32_e32 v4, 2, v17
	global_store_b128 v4, v[0:3], s[0:1]
	s_nop 0
	s_sendmsg sendmsg(MSG_DEALLOC_VGPRS)
	s_endpgm
	.section	.rodata,"a",@progbits
	.p2align	6, 0x0
	.amdhsa_kernel _Z11rank_kernelIxLj4ELb0EL18RadixRankAlgorithm1ELj128ELj4ELj10EEvPKT_Pi
		.amdhsa_group_segment_fixed_size 4112
		.amdhsa_private_segment_fixed_size 0
		.amdhsa_kernarg_size 16
		.amdhsa_user_sgpr_count 15
		.amdhsa_user_sgpr_dispatch_ptr 0
		.amdhsa_user_sgpr_queue_ptr 0
		.amdhsa_user_sgpr_kernarg_segment_ptr 1
		.amdhsa_user_sgpr_dispatch_id 0
		.amdhsa_user_sgpr_private_segment_size 0
		.amdhsa_wavefront_size32 1
		.amdhsa_uses_dynamic_stack 0
		.amdhsa_enable_private_segment 0
		.amdhsa_system_sgpr_workgroup_id_x 1
		.amdhsa_system_sgpr_workgroup_id_y 0
		.amdhsa_system_sgpr_workgroup_id_z 0
		.amdhsa_system_sgpr_workgroup_info 0
		.amdhsa_system_vgpr_workitem_id 0
		.amdhsa_next_free_vgpr 33
		.amdhsa_next_free_sgpr 20
		.amdhsa_reserve_vcc 1
		.amdhsa_float_round_mode_32 0
		.amdhsa_float_round_mode_16_64 0
		.amdhsa_float_denorm_mode_32 3
		.amdhsa_float_denorm_mode_16_64 3
		.amdhsa_dx10_clamp 1
		.amdhsa_ieee_mode 1
		.amdhsa_fp16_overflow 0
		.amdhsa_workgroup_processor_mode 1
		.amdhsa_memory_ordered 1
		.amdhsa_forward_progress 0
		.amdhsa_shared_vgpr_count 0
		.amdhsa_exception_fp_ieee_invalid_op 0
		.amdhsa_exception_fp_denorm_src 0
		.amdhsa_exception_fp_ieee_div_zero 0
		.amdhsa_exception_fp_ieee_overflow 0
		.amdhsa_exception_fp_ieee_underflow 0
		.amdhsa_exception_fp_ieee_inexact 0
		.amdhsa_exception_int_div_zero 0
	.end_amdhsa_kernel
	.section	.text._Z11rank_kernelIxLj4ELb0EL18RadixRankAlgorithm1ELj128ELj4ELj10EEvPKT_Pi,"axG",@progbits,_Z11rank_kernelIxLj4ELb0EL18RadixRankAlgorithm1ELj128ELj4ELj10EEvPKT_Pi,comdat
.Lfunc_end94:
	.size	_Z11rank_kernelIxLj4ELb0EL18RadixRankAlgorithm1ELj128ELj4ELj10EEvPKT_Pi, .Lfunc_end94-_Z11rank_kernelIxLj4ELb0EL18RadixRankAlgorithm1ELj128ELj4ELj10EEvPKT_Pi
                                        ; -- End function
	.section	.AMDGPU.csdata,"",@progbits
; Kernel info:
; codeLenInByte = 1344
; NumSgprs: 22
; NumVgprs: 33
; ScratchSize: 0
; MemoryBound: 0
; FloatMode: 240
; IeeeMode: 1
; LDSByteSize: 4112 bytes/workgroup (compile time only)
; SGPRBlocks: 2
; VGPRBlocks: 4
; NumSGPRsForWavesPerEU: 22
; NumVGPRsForWavesPerEU: 33
; Occupancy: 16
; WaveLimiterHint : 0
; COMPUTE_PGM_RSRC2:SCRATCH_EN: 0
; COMPUTE_PGM_RSRC2:USER_SGPR: 15
; COMPUTE_PGM_RSRC2:TRAP_HANDLER: 0
; COMPUTE_PGM_RSRC2:TGID_X_EN: 1
; COMPUTE_PGM_RSRC2:TGID_Y_EN: 0
; COMPUTE_PGM_RSRC2:TGID_Z_EN: 0
; COMPUTE_PGM_RSRC2:TIDIG_COMP_CNT: 0
	.section	.text._Z11rank_kernelIxLj4ELb0EL18RadixRankAlgorithm2ELj128ELj4ELj10EEvPKT_Pi,"axG",@progbits,_Z11rank_kernelIxLj4ELb0EL18RadixRankAlgorithm2ELj128ELj4ELj10EEvPKT_Pi,comdat
	.protected	_Z11rank_kernelIxLj4ELb0EL18RadixRankAlgorithm2ELj128ELj4ELj10EEvPKT_Pi ; -- Begin function _Z11rank_kernelIxLj4ELb0EL18RadixRankAlgorithm2ELj128ELj4ELj10EEvPKT_Pi
	.globl	_Z11rank_kernelIxLj4ELb0EL18RadixRankAlgorithm2ELj128ELj4ELj10EEvPKT_Pi
	.p2align	8
	.type	_Z11rank_kernelIxLj4ELb0EL18RadixRankAlgorithm2ELj128ELj4ELj10EEvPKT_Pi,@function
_Z11rank_kernelIxLj4ELb0EL18RadixRankAlgorithm2ELj128ELj4ELj10EEvPKT_Pi: ; @_Z11rank_kernelIxLj4ELb0EL18RadixRankAlgorithm2ELj128ELj4ELj10EEvPKT_Pi
; %bb.0:
	s_clause 0x1
	s_load_b128 s[16:19], s[0:1], 0x0
	s_load_b32 s7, s[0:1], 0x1c
	v_dual_mov_b32 v9, 0 :: v_dual_and_b32 v10, 0x3ff, v0
	s_mov_b32 s13, 0
	s_lshl_b32 s12, s15, 9
	v_mbcnt_lo_u32_b32 v11, -1, 0
	s_lshl_b64 s[2:3], s[12:13], 3
	v_lshlrev_b32_e32 v5, 5, v10
	v_bfe_u32 v12, v0, 10, 10
	v_bfe_u32 v13, v0, 20, 10
	v_and_b32_e32 v15, 16, v11
	v_add_nc_u32_e32 v16, -1, v11
	v_and_b32_e32 v14, 15, v11
	v_cmp_eq_u32_e32 vcc_lo, 0, v11
	v_and_b32_e32 v17, 3, v11
	v_cmp_eq_u32_e64 s4, 0, v15
	v_lshlrev_b32_e32 v0, 2, v10
	v_cmp_lt_u32_e64 s6, 31, v10
	s_delay_alu instid0(VALU_DEP_4)
	v_cmp_lt_u32_e64 s8, 1, v17
	s_waitcnt lgkmcnt(0)
	s_add_u32 s0, s16, s2
	s_addc_u32 s1, s17, s3
	s_clause 0x1
	global_load_b128 v[1:4], v5, s[0:1]
	global_load_b128 v[5:8], v5, s[0:1] offset:16
	s_lshr_b32 s5, s7, 16
	s_and_b32 s7, s7, 0xffff
	v_mad_u32_u24 v15, v13, s5, v12
	v_cmp_eq_u32_e64 s0, 0, v14
	v_cmp_lt_u32_e64 s1, 1, v14
	v_cmp_lt_u32_e64 s2, 3, v14
	;; [unrolled: 1-line block ×3, first 2 shown]
	v_mad_u64_u32 v[12:13], null, v15, s7, v[10:11]
	v_cmp_gt_i32_e64 s7, 0, v16
	v_or_b32_e32 v14, 31, v10
	v_lshrrev_b32_e32 v13, 3, v10
	v_cmp_gt_u32_e64 s5, 4, v10
	s_mov_b32 s16, s13
	v_cndmask_b32_e64 v11, v16, v11, s7
	v_cmp_eq_u32_e64 s9, v14, v10
	v_cmp_eq_u32_e64 s7, 0, v17
	v_lshrrev_b32_e32 v12, 5, v12
	s_delay_alu instid0(VALU_DEP_4) | instskip(SKIP_1) | instid1(VALU_DEP_1)
	v_lshlrev_b32_e32 v10, 2, v11
	v_and_b32_e32 v11, 12, v13
	v_add_nc_u32_e32 v13, -4, v11
	s_waitcnt vmcnt(1)
	v_xor_b32_e32 v2, 0x80000000, v2
	v_xor_b32_e32 v4, 0x80000000, v4
	s_waitcnt vmcnt(0)
	v_xor_b32_e32 v6, 0x80000000, v6
	v_xor_b32_e32 v8, 0x80000000, v8
	s_branch .LBB95_2
.LBB95_1:                               ;   in Loop: Header=BB95_2 Depth=1
	s_add_i32 s16, s16, 1
	s_delay_alu instid0(SALU_CYCLE_1)
	s_cmp_eq_u32 s16, 10
	s_cbranch_scc1 .LBB95_18
.LBB95_2:                               ; =>This Loop Header: Depth=1
                                        ;     Child Loop BB95_4 Depth 2
	s_mov_b64 s[14:15], 60
	s_mov_b32 s17, -4
	s_branch .LBB95_4
.LBB95_3:                               ;   in Loop: Header=BB95_4 Depth=2
	s_or_b32 exec_lo, exec_lo, s10
	s_waitcnt lgkmcnt(0)
	v_add_nc_u32_e32 v25, v26, v25
	s_add_i32 s17, s17, 4
	s_add_u32 s14, s14, -4
	s_addc_u32 s15, s15, -1
	s_cmp_lt_u32 s17, 60
	ds_bpermute_b32 v25, v10, v25
	s_waitcnt lgkmcnt(0)
	v_cndmask_b32_e32 v25, v25, v26, vcc_lo
	ds_store_b32 v0, v25 offset:16
	s_waitcnt lgkmcnt(0)
	s_barrier
	buffer_gl0_inv
	s_cbranch_scc0 .LBB95_1
.LBB95_4:                               ;   Parent Loop BB95_2 Depth=1
                                        ; =>  This Inner Loop Header: Depth=2
	v_lshlrev_b64 v[14:15], s14, v[1:2]
	ds_store_b32 v0, v9 offset:16
	s_waitcnt lgkmcnt(0)
	s_barrier
	buffer_gl0_inv
	v_bfe_u32 v14, v15, 28, 1
	v_lshrrev_b32_e32 v17, 28, v15
	v_and_b32_e32 v15, 0xf0000000, v15
	; wave barrier
	s_delay_alu instid0(VALU_DEP_3) | instskip(NEXT) | instid1(VALU_DEP_1)
	v_add_co_u32 v14, s10, v14, -1
	v_cndmask_b32_e64 v16, 0, 1, s10
	s_delay_alu instid0(VALU_DEP_4) | instskip(SKIP_2) | instid1(VALU_DEP_4)
	v_lshlrev_b32_e32 v18, 30, v17
	v_lshlrev_b32_e32 v19, 29, v17
	v_not_b32_e32 v20, v15
	v_cmp_ne_u32_e64 s10, 0, v16
	s_delay_alu instid0(VALU_DEP_4) | instskip(SKIP_2) | instid1(VALU_DEP_4)
	v_not_b32_e32 v16, v18
	v_cmp_gt_i32_e64 s11, 0, v18
	v_not_b32_e32 v18, v19
	v_xor_b32_e32 v14, s10, v14
	s_delay_alu instid0(VALU_DEP_4) | instskip(SKIP_1) | instid1(VALU_DEP_4)
	v_ashrrev_i32_e32 v16, 31, v16
	v_cmp_gt_i32_e64 s10, 0, v19
	v_ashrrev_i32_e32 v18, 31, v18
	s_delay_alu instid0(VALU_DEP_4) | instskip(NEXT) | instid1(VALU_DEP_4)
	v_and_b32_e32 v14, exec_lo, v14
	v_xor_b32_e32 v16, s11, v16
	v_cmp_gt_i32_e64 s11, 0, v15
	v_ashrrev_i32_e32 v15, 31, v20
	v_xor_b32_e32 v18, s10, v18
	s_delay_alu instid0(VALU_DEP_4) | instskip(NEXT) | instid1(VALU_DEP_3)
	v_and_b32_e32 v14, v14, v16
	v_xor_b32_e32 v15, s11, v15
	s_delay_alu instid0(VALU_DEP_2) | instskip(NEXT) | instid1(VALU_DEP_1)
	v_and_b32_e32 v14, v14, v18
	v_and_b32_e32 v16, v14, v15
	v_mad_u32_u24 v15, v17, 5, v12
	s_delay_alu instid0(VALU_DEP_2) | instskip(SKIP_1) | instid1(VALU_DEP_3)
	v_mbcnt_lo_u32_b32 v14, v16, 0
	v_cmp_ne_u32_e64 s11, 0, v16
	v_lshl_add_u32 v15, v15, 2, 16
	s_delay_alu instid0(VALU_DEP_3) | instskip(NEXT) | instid1(VALU_DEP_1)
	v_cmp_eq_u32_e64 s10, 0, v14
	s_and_b32 s11, s11, s10
	s_delay_alu instid0(SALU_CYCLE_1)
	s_and_saveexec_b32 s10, s11
	s_cbranch_execz .LBB95_6
; %bb.5:                                ;   in Loop: Header=BB95_4 Depth=2
	v_bcnt_u32_b32 v16, v16, 0
	ds_store_b32 v15, v16
.LBB95_6:                               ;   in Loop: Header=BB95_4 Depth=2
	s_or_b32 exec_lo, exec_lo, s10
	v_lshlrev_b64 v[16:17], s14, v[3:4]
	; wave barrier
	s_delay_alu instid0(VALU_DEP_1) | instskip(SKIP_2) | instid1(VALU_DEP_3)
	v_bfe_u32 v16, v17, 28, 1
	v_lshrrev_b32_e32 v18, 28, v17
	v_and_b32_e32 v17, 0xf0000000, v17
	v_add_co_u32 v16, s10, v16, -1
	s_delay_alu instid0(VALU_DEP_1) | instskip(NEXT) | instid1(VALU_DEP_4)
	v_cndmask_b32_e64 v19, 0, 1, s10
	v_lshlrev_b32_e32 v20, 30, v18
	v_lshlrev_b32_e32 v21, 29, v18
	v_not_b32_e32 v22, v17
	v_mul_u32_u24_e32 v18, 5, v18
	v_cmp_ne_u32_e64 s10, 0, v19
	v_not_b32_e32 v19, v20
	v_cmp_gt_i32_e64 s11, 0, v20
	v_not_b32_e32 v20, v21
	v_add_lshl_u32 v18, v12, v18, 2
	v_xor_b32_e32 v16, s10, v16
	v_ashrrev_i32_e32 v19, 31, v19
	v_cmp_gt_i32_e64 s10, 0, v21
	v_ashrrev_i32_e32 v20, 31, v20
	s_delay_alu instid0(VALU_DEP_4) | instskip(NEXT) | instid1(VALU_DEP_4)
	v_and_b32_e32 v16, exec_lo, v16
	v_xor_b32_e32 v19, s11, v19
	v_cmp_gt_i32_e64 s11, 0, v17
	v_ashrrev_i32_e32 v17, 31, v22
	v_xor_b32_e32 v20, s10, v20
	s_delay_alu instid0(VALU_DEP_4) | instskip(NEXT) | instid1(VALU_DEP_3)
	v_and_b32_e32 v16, v16, v19
	v_xor_b32_e32 v17, s11, v17
	s_delay_alu instid0(VALU_DEP_2) | instskip(SKIP_3) | instid1(VALU_DEP_1)
	v_and_b32_e32 v19, v16, v20
	ds_load_b32 v16, v18 offset:16
	v_add_nc_u32_e32 v18, 16, v18
	; wave barrier
	v_and_b32_e32 v19, v19, v17
	v_mbcnt_lo_u32_b32 v17, v19, 0
	v_cmp_ne_u32_e64 s11, 0, v19
	s_delay_alu instid0(VALU_DEP_2) | instskip(NEXT) | instid1(VALU_DEP_1)
	v_cmp_eq_u32_e64 s10, 0, v17
	s_and_b32 s11, s11, s10
	s_delay_alu instid0(SALU_CYCLE_1)
	s_and_saveexec_b32 s10, s11
	s_cbranch_execz .LBB95_8
; %bb.7:                                ;   in Loop: Header=BB95_4 Depth=2
	s_waitcnt lgkmcnt(0)
	v_bcnt_u32_b32 v19, v19, v16
	ds_store_b32 v18, v19
.LBB95_8:                               ;   in Loop: Header=BB95_4 Depth=2
	s_or_b32 exec_lo, exec_lo, s10
	v_lshlrev_b64 v[19:20], s14, v[5:6]
	; wave barrier
	s_delay_alu instid0(VALU_DEP_1) | instskip(SKIP_2) | instid1(VALU_DEP_3)
	v_bfe_u32 v19, v20, 28, 1
	v_lshrrev_b32_e32 v21, 28, v20
	v_and_b32_e32 v20, 0xf0000000, v20
	v_add_co_u32 v19, s10, v19, -1
	s_delay_alu instid0(VALU_DEP_1) | instskip(NEXT) | instid1(VALU_DEP_4)
	v_cndmask_b32_e64 v22, 0, 1, s10
	v_lshlrev_b32_e32 v23, 30, v21
	v_lshlrev_b32_e32 v24, 29, v21
	v_not_b32_e32 v25, v20
	v_mul_u32_u24_e32 v21, 5, v21
	v_cmp_ne_u32_e64 s10, 0, v22
	v_not_b32_e32 v22, v23
	v_cmp_gt_i32_e64 s11, 0, v23
	v_not_b32_e32 v23, v24
	v_add_lshl_u32 v21, v12, v21, 2
	v_xor_b32_e32 v19, s10, v19
	v_ashrrev_i32_e32 v22, 31, v22
	v_cmp_gt_i32_e64 s10, 0, v24
	v_ashrrev_i32_e32 v23, 31, v23
	s_delay_alu instid0(VALU_DEP_4) | instskip(NEXT) | instid1(VALU_DEP_4)
	v_and_b32_e32 v19, exec_lo, v19
	v_xor_b32_e32 v22, s11, v22
	v_cmp_gt_i32_e64 s11, 0, v20
	v_ashrrev_i32_e32 v20, 31, v25
	v_xor_b32_e32 v23, s10, v23
	s_delay_alu instid0(VALU_DEP_4) | instskip(NEXT) | instid1(VALU_DEP_3)
	v_and_b32_e32 v19, v19, v22
	v_xor_b32_e32 v20, s11, v20
	s_delay_alu instid0(VALU_DEP_2) | instskip(SKIP_3) | instid1(VALU_DEP_1)
	v_and_b32_e32 v22, v19, v23
	ds_load_b32 v19, v21 offset:16
	v_add_nc_u32_e32 v21, 16, v21
	; wave barrier
	v_and_b32_e32 v22, v22, v20
	v_mbcnt_lo_u32_b32 v20, v22, 0
	v_cmp_ne_u32_e64 s11, 0, v22
	s_delay_alu instid0(VALU_DEP_2) | instskip(NEXT) | instid1(VALU_DEP_1)
	v_cmp_eq_u32_e64 s10, 0, v20
	s_and_b32 s11, s11, s10
	s_delay_alu instid0(SALU_CYCLE_1)
	s_and_saveexec_b32 s10, s11
	s_cbranch_execz .LBB95_10
; %bb.9:                                ;   in Loop: Header=BB95_4 Depth=2
	s_waitcnt lgkmcnt(0)
	v_bcnt_u32_b32 v22, v22, v19
	ds_store_b32 v21, v22
.LBB95_10:                              ;   in Loop: Header=BB95_4 Depth=2
	s_or_b32 exec_lo, exec_lo, s10
	v_lshlrev_b64 v[22:23], s14, v[7:8]
	; wave barrier
	s_delay_alu instid0(VALU_DEP_1) | instskip(SKIP_2) | instid1(VALU_DEP_3)
	v_bfe_u32 v22, v23, 28, 1
	v_lshrrev_b32_e32 v24, 28, v23
	v_and_b32_e32 v23, 0xf0000000, v23
	v_add_co_u32 v22, s10, v22, -1
	s_delay_alu instid0(VALU_DEP_1) | instskip(NEXT) | instid1(VALU_DEP_4)
	v_cndmask_b32_e64 v25, 0, 1, s10
	v_lshlrev_b32_e32 v26, 30, v24
	v_lshlrev_b32_e32 v27, 29, v24
	v_not_b32_e32 v28, v23
	v_mul_u32_u24_e32 v24, 5, v24
	v_cmp_ne_u32_e64 s10, 0, v25
	v_not_b32_e32 v25, v26
	v_cmp_gt_i32_e64 s11, 0, v26
	v_not_b32_e32 v26, v27
	v_add_lshl_u32 v24, v12, v24, 2
	v_xor_b32_e32 v22, s10, v22
	v_ashrrev_i32_e32 v25, 31, v25
	v_cmp_gt_i32_e64 s10, 0, v27
	v_ashrrev_i32_e32 v26, 31, v26
	s_delay_alu instid0(VALU_DEP_4) | instskip(NEXT) | instid1(VALU_DEP_4)
	v_and_b32_e32 v22, exec_lo, v22
	v_xor_b32_e32 v25, s11, v25
	v_cmp_gt_i32_e64 s11, 0, v23
	v_ashrrev_i32_e32 v23, 31, v28
	v_xor_b32_e32 v26, s10, v26
	s_delay_alu instid0(VALU_DEP_4) | instskip(NEXT) | instid1(VALU_DEP_3)
	v_and_b32_e32 v22, v22, v25
	v_xor_b32_e32 v23, s11, v23
	s_delay_alu instid0(VALU_DEP_2) | instskip(SKIP_3) | instid1(VALU_DEP_1)
	v_and_b32_e32 v25, v22, v26
	ds_load_b32 v22, v24 offset:16
	v_add_nc_u32_e32 v24, 16, v24
	; wave barrier
	v_and_b32_e32 v25, v25, v23
	v_mbcnt_lo_u32_b32 v23, v25, 0
	v_cmp_ne_u32_e64 s11, 0, v25
	s_delay_alu instid0(VALU_DEP_2) | instskip(NEXT) | instid1(VALU_DEP_1)
	v_cmp_eq_u32_e64 s10, 0, v23
	s_and_b32 s11, s11, s10
	s_delay_alu instid0(SALU_CYCLE_1)
	s_and_saveexec_b32 s10, s11
	s_cbranch_execz .LBB95_12
; %bb.11:                               ;   in Loop: Header=BB95_4 Depth=2
	s_waitcnt lgkmcnt(0)
	v_bcnt_u32_b32 v25, v25, v22
	ds_store_b32 v24, v25
.LBB95_12:                              ;   in Loop: Header=BB95_4 Depth=2
	s_or_b32 exec_lo, exec_lo, s10
	; wave barrier
	s_waitcnt lgkmcnt(0)
	s_barrier
	buffer_gl0_inv
	ds_load_b32 v25, v0 offset:16
	s_waitcnt lgkmcnt(0)
	v_mov_b32_dpp v26, v25 row_shr:1 row_mask:0xf bank_mask:0xf
	s_delay_alu instid0(VALU_DEP_1) | instskip(NEXT) | instid1(VALU_DEP_1)
	v_cndmask_b32_e64 v26, v26, 0, s0
	v_add_nc_u32_e32 v25, v26, v25
	s_delay_alu instid0(VALU_DEP_1) | instskip(NEXT) | instid1(VALU_DEP_1)
	v_mov_b32_dpp v26, v25 row_shr:2 row_mask:0xf bank_mask:0xf
	v_cndmask_b32_e64 v26, 0, v26, s1
	s_delay_alu instid0(VALU_DEP_1) | instskip(NEXT) | instid1(VALU_DEP_1)
	v_add_nc_u32_e32 v25, v25, v26
	v_mov_b32_dpp v26, v25 row_shr:4 row_mask:0xf bank_mask:0xf
	s_delay_alu instid0(VALU_DEP_1) | instskip(NEXT) | instid1(VALU_DEP_1)
	v_cndmask_b32_e64 v26, 0, v26, s2
	v_add_nc_u32_e32 v25, v25, v26
	s_delay_alu instid0(VALU_DEP_1) | instskip(NEXT) | instid1(VALU_DEP_1)
	v_mov_b32_dpp v26, v25 row_shr:8 row_mask:0xf bank_mask:0xf
	v_cndmask_b32_e64 v26, 0, v26, s3
	s_delay_alu instid0(VALU_DEP_1) | instskip(SKIP_3) | instid1(VALU_DEP_1)
	v_add_nc_u32_e32 v25, v25, v26
	ds_swizzle_b32 v26, v25 offset:swizzle(BROADCAST,32,15)
	s_waitcnt lgkmcnt(0)
	v_cndmask_b32_e64 v26, v26, 0, s4
	v_add_nc_u32_e32 v25, v25, v26
	s_and_saveexec_b32 s10, s9
	s_delay_alu instid0(SALU_CYCLE_1)
	s_xor_b32 s10, exec_lo, s10
	s_cbranch_execz .LBB95_14
; %bb.13:                               ;   in Loop: Header=BB95_4 Depth=2
	ds_store_b32 v11, v25
.LBB95_14:                              ;   in Loop: Header=BB95_4 Depth=2
	s_or_b32 exec_lo, exec_lo, s10
	s_waitcnt lgkmcnt(0)
	s_barrier
	buffer_gl0_inv
	s_and_saveexec_b32 s10, s5
	s_cbranch_execz .LBB95_16
; %bb.15:                               ;   in Loop: Header=BB95_4 Depth=2
	ds_load_b32 v26, v0
	s_waitcnt lgkmcnt(0)
	v_mov_b32_dpp v27, v26 row_shr:1 row_mask:0xf bank_mask:0xf
	s_delay_alu instid0(VALU_DEP_1) | instskip(NEXT) | instid1(VALU_DEP_1)
	v_cndmask_b32_e64 v27, v27, 0, s7
	v_add_nc_u32_e32 v26, v27, v26
	s_delay_alu instid0(VALU_DEP_1) | instskip(NEXT) | instid1(VALU_DEP_1)
	v_mov_b32_dpp v27, v26 row_shr:2 row_mask:0xf bank_mask:0xf
	v_cndmask_b32_e64 v27, 0, v27, s8
	s_delay_alu instid0(VALU_DEP_1)
	v_add_nc_u32_e32 v26, v26, v27
	ds_store_b32 v0, v26
.LBB95_16:                              ;   in Loop: Header=BB95_4 Depth=2
	s_or_b32 exec_lo, exec_lo, s10
	v_mov_b32_e32 v26, 0
	s_waitcnt lgkmcnt(0)
	s_barrier
	buffer_gl0_inv
	s_and_saveexec_b32 s10, s6
	s_cbranch_execz .LBB95_3
; %bb.17:                               ;   in Loop: Header=BB95_4 Depth=2
	ds_load_b32 v26, v13
	s_branch .LBB95_3
.LBB95_18:
	ds_load_b32 v1, v15
	ds_load_b32 v2, v18
	;; [unrolled: 1-line block ×4, first 2 shown]
	s_lshl_b64 s[0:1], s[12:13], 2
	v_lshlrev_b32_e32 v0, 2, v0
	s_add_u32 s0, s18, s0
	s_addc_u32 s1, s19, s1
	s_waitcnt lgkmcnt(3)
	v_add_nc_u32_e32 v1, v1, v14
	s_waitcnt lgkmcnt(2)
	v_add3_u32 v2, v17, v16, v2
	s_waitcnt lgkmcnt(1)
	v_add3_u32 v3, v20, v19, v3
	;; [unrolled: 2-line block ×3, first 2 shown]
	global_store_b128 v0, v[1:4], s[0:1]
	s_nop 0
	s_sendmsg sendmsg(MSG_DEALLOC_VGPRS)
	s_endpgm
	.section	.rodata,"a",@progbits
	.p2align	6, 0x0
	.amdhsa_kernel _Z11rank_kernelIxLj4ELb0EL18RadixRankAlgorithm2ELj128ELj4ELj10EEvPKT_Pi
		.amdhsa_group_segment_fixed_size 528
		.amdhsa_private_segment_fixed_size 0
		.amdhsa_kernarg_size 272
		.amdhsa_user_sgpr_count 15
		.amdhsa_user_sgpr_dispatch_ptr 0
		.amdhsa_user_sgpr_queue_ptr 0
		.amdhsa_user_sgpr_kernarg_segment_ptr 1
		.amdhsa_user_sgpr_dispatch_id 0
		.amdhsa_user_sgpr_private_segment_size 0
		.amdhsa_wavefront_size32 1
		.amdhsa_uses_dynamic_stack 0
		.amdhsa_enable_private_segment 0
		.amdhsa_system_sgpr_workgroup_id_x 1
		.amdhsa_system_sgpr_workgroup_id_y 0
		.amdhsa_system_sgpr_workgroup_id_z 0
		.amdhsa_system_sgpr_workgroup_info 0
		.amdhsa_system_vgpr_workitem_id 2
		.amdhsa_next_free_vgpr 29
		.amdhsa_next_free_sgpr 20
		.amdhsa_reserve_vcc 1
		.amdhsa_float_round_mode_32 0
		.amdhsa_float_round_mode_16_64 0
		.amdhsa_float_denorm_mode_32 3
		.amdhsa_float_denorm_mode_16_64 3
		.amdhsa_dx10_clamp 1
		.amdhsa_ieee_mode 1
		.amdhsa_fp16_overflow 0
		.amdhsa_workgroup_processor_mode 1
		.amdhsa_memory_ordered 1
		.amdhsa_forward_progress 0
		.amdhsa_shared_vgpr_count 0
		.amdhsa_exception_fp_ieee_invalid_op 0
		.amdhsa_exception_fp_denorm_src 0
		.amdhsa_exception_fp_ieee_div_zero 0
		.amdhsa_exception_fp_ieee_overflow 0
		.amdhsa_exception_fp_ieee_underflow 0
		.amdhsa_exception_fp_ieee_inexact 0
		.amdhsa_exception_int_div_zero 0
	.end_amdhsa_kernel
	.section	.text._Z11rank_kernelIxLj4ELb0EL18RadixRankAlgorithm2ELj128ELj4ELj10EEvPKT_Pi,"axG",@progbits,_Z11rank_kernelIxLj4ELb0EL18RadixRankAlgorithm2ELj128ELj4ELj10EEvPKT_Pi,comdat
.Lfunc_end95:
	.size	_Z11rank_kernelIxLj4ELb0EL18RadixRankAlgorithm2ELj128ELj4ELj10EEvPKT_Pi, .Lfunc_end95-_Z11rank_kernelIxLj4ELb0EL18RadixRankAlgorithm2ELj128ELj4ELj10EEvPKT_Pi
                                        ; -- End function
	.section	.AMDGPU.csdata,"",@progbits
; Kernel info:
; codeLenInByte = 1900
; NumSgprs: 22
; NumVgprs: 29
; ScratchSize: 0
; MemoryBound: 0
; FloatMode: 240
; IeeeMode: 1
; LDSByteSize: 528 bytes/workgroup (compile time only)
; SGPRBlocks: 2
; VGPRBlocks: 3
; NumSGPRsForWavesPerEU: 22
; NumVGPRsForWavesPerEU: 29
; Occupancy: 16
; WaveLimiterHint : 0
; COMPUTE_PGM_RSRC2:SCRATCH_EN: 0
; COMPUTE_PGM_RSRC2:USER_SGPR: 15
; COMPUTE_PGM_RSRC2:TRAP_HANDLER: 0
; COMPUTE_PGM_RSRC2:TGID_X_EN: 1
; COMPUTE_PGM_RSRC2:TGID_Y_EN: 0
; COMPUTE_PGM_RSRC2:TGID_Z_EN: 0
; COMPUTE_PGM_RSRC2:TIDIG_COMP_CNT: 2
	.section	.text._Z11rank_kernelIxLj4ELb0EL18RadixRankAlgorithm0ELj128ELj8ELj10EEvPKT_Pi,"axG",@progbits,_Z11rank_kernelIxLj4ELb0EL18RadixRankAlgorithm0ELj128ELj8ELj10EEvPKT_Pi,comdat
	.protected	_Z11rank_kernelIxLj4ELb0EL18RadixRankAlgorithm0ELj128ELj8ELj10EEvPKT_Pi ; -- Begin function _Z11rank_kernelIxLj4ELb0EL18RadixRankAlgorithm0ELj128ELj8ELj10EEvPKT_Pi
	.globl	_Z11rank_kernelIxLj4ELb0EL18RadixRankAlgorithm0ELj128ELj8ELj10EEvPKT_Pi
	.p2align	8
	.type	_Z11rank_kernelIxLj4ELb0EL18RadixRankAlgorithm0ELj128ELj8ELj10EEvPKT_Pi,@function
_Z11rank_kernelIxLj4ELb0EL18RadixRankAlgorithm0ELj128ELj8ELj10EEvPKT_Pi: ; @_Z11rank_kernelIxLj4ELb0EL18RadixRankAlgorithm0ELj128ELj8ELj10EEvPKT_Pi
; %bb.0:
	s_load_b128 s[16:19], s[0:1], 0x0
	s_mov_b32 s13, 0
	s_lshl_b32 s12, s15, 10
	v_dual_mov_b32 v18, 0 :: v_dual_lshlrev_b32 v13, 6, v0
	s_lshl_b64 s[0:1], s[12:13], 3
	v_mbcnt_lo_u32_b32 v21, -1, 0
	v_or_b32_e32 v24, 31, v0
	v_lshrrev_b32_e32 v26, 3, v0
	v_lshlrev_b32_e32 v17, 3, v0
	v_lshlrev_b32_e32 v19, 5, v0
	v_add_nc_u32_e32 v25, -1, v21
	v_and_b32_e32 v22, 15, v21
	v_and_b32_e32 v23, 16, v21
	;; [unrolled: 1-line block ×3, first 2 shown]
	v_cmp_gt_u32_e32 vcc_lo, 4, v0
	v_cmp_gt_i32_e64 s7, 0, v25
	v_cmp_eq_u32_e64 s2, 0, v22
	v_cmp_lt_u32_e64 s3, 1, v22
	v_cmp_lt_u32_e64 s4, 3, v22
	s_waitcnt lgkmcnt(0)
	s_add_u32 s0, s16, s0
	s_addc_u32 s1, s17, s1
	v_cmp_lt_u32_e64 s5, 7, v22
	s_clause 0x3
	global_load_b128 v[1:4], v13, s[0:1]
	global_load_b128 v[5:8], v13, s[0:1] offset:16
	global_load_b128 v[9:12], v13, s[0:1] offset:32
	;; [unrolled: 1-line block ×3, first 2 shown]
	v_cndmask_b32_e64 v22, v25, v21, s7
	v_cmp_lt_u32_e64 s0, 31, v0
	v_cmp_eq_u32_e64 s1, 0, v21
	v_lshlrev_b32_e32 v20, 2, v0
	v_cmp_eq_u32_e64 s6, 0, v23
	v_cmp_eq_u32_e64 s7, v24, v0
	v_and_b32_e32 v21, 12, v26
	v_cmp_eq_u32_e64 s8, 0, v27
	v_cmp_lt_u32_e64 s9, 1, v27
	v_lshlrev_b32_e32 v22, 2, v22
	v_or_b32_e32 v23, 0xffffff80, v0
	s_mov_b32 s11, s13
	s_waitcnt vmcnt(3)
	v_xor_b32_e32 v2, 0x80000000, v2
	v_xor_b32_e32 v4, 0x80000000, v4
	s_waitcnt vmcnt(2)
	v_xor_b32_e32 v6, 0x80000000, v6
	v_xor_b32_e32 v8, 0x80000000, v8
	;; [unrolled: 3-line block ×4, first 2 shown]
	s_branch .LBB96_2
.LBB96_1:                               ;   in Loop: Header=BB96_2 Depth=1
	s_add_i32 s11, s11, 1
	s_delay_alu instid0(SALU_CYCLE_1)
	s_cmp_eq_u32 s11, 10
	s_cbranch_scc1 .LBB96_12
.LBB96_2:                               ; =>This Loop Header: Depth=1
                                        ;     Child Loop BB96_4 Depth 2
                                        ;       Child Loop BB96_5 Depth 3
	s_mov_b32 s14, 0
	s_branch .LBB96_4
.LBB96_3:                               ;   in Loop: Header=BB96_4 Depth=2
	s_or_b32 exec_lo, exec_lo, s10
	s_waitcnt lgkmcnt(0)
	v_add_nc_u32_e32 v40, v41, v40
	ds_load_b32 v44, v18 offset:4108
	ds_load_2addr_b32 v[42:43], v19 offset1:1
	s_add_i32 s10, s14, 4
	s_cmp_lt_u32 s14, 60
	s_mov_b32 s14, s10
	ds_bpermute_b32 v40, v22, v40
	s_waitcnt lgkmcnt(0)
	v_cndmask_b32_e64 v45, v40, v41, s1
	ds_load_2addr_b32 v[40:41], v19 offset0:2 offset1:3
	v_lshl_add_u32 v46, v44, 16, v45
	ds_load_2addr_b32 v[44:45], v19 offset0:4 offset1:5
	ds_load_b32 v47, v19 offset:24
	v_add_nc_u32_e32 v42, v46, v42
	s_delay_alu instid0(VALU_DEP_1) | instskip(SKIP_1) | instid1(VALU_DEP_1)
	v_add_nc_u32_e32 v43, v43, v42
	s_waitcnt lgkmcnt(2)
	v_add_nc_u32_e32 v40, v40, v43
	s_delay_alu instid0(VALU_DEP_1) | instskip(SKIP_1) | instid1(VALU_DEP_1)
	v_add_nc_u32_e32 v41, v41, v40
	s_waitcnt lgkmcnt(1)
	;; [unrolled: 4-line block ×3, first 2 shown]
	v_add_nc_u32_e32 v47, v47, v45
	ds_store_2addr_b32 v19, v46, v42 offset1:1
	ds_store_2addr_b32 v19, v43, v40 offset0:2 offset1:3
	ds_store_2addr_b32 v19, v41, v44 offset0:4 offset1:5
	;; [unrolled: 1-line block ×3, first 2 shown]
	s_waitcnt lgkmcnt(0)
	s_barrier
	buffer_gl0_inv
	s_cbranch_scc0 .LBB96_1
.LBB96_4:                               ;   Parent Loop BB96_2 Depth=1
                                        ; =>  This Loop Header: Depth=2
                                        ;       Child Loop BB96_5 Depth 3
	v_dual_mov_b32 v24, v23 :: v_dual_mov_b32 v25, v20
	s_mov_b32 s15, 0
.LBB96_5:                               ;   Parent Loop BB96_2 Depth=1
                                        ;     Parent Loop BB96_4 Depth=2
                                        ; =>    This Inner Loop Header: Depth=3
	s_delay_alu instid0(VALU_DEP_1) | instskip(SKIP_3) | instid1(VALU_DEP_1)
	v_add_nc_u32_e32 v24, 0x80, v24
	ds_store_b32 v25, v18
	v_add_nc_u32_e32 v25, 0x200, v25
	v_cmp_lt_u32_e64 s10, 0x37f, v24
	s_or_b32 s15, s10, s15
	s_delay_alu instid0(SALU_CYCLE_1)
	s_and_not1_b32 exec_lo, exec_lo, s15
	s_cbranch_execnz .LBB96_5
; %bb.6:                                ;   in Loop: Header=BB96_4 Depth=2
	s_or_b32 exec_lo, exec_lo, s15
	s_sub_i32 s10, 60, s14
	s_delay_alu instid0(SALU_CYCLE_1) | instskip(SKIP_1) | instid1(VALU_DEP_2)
	v_lshlrev_b64 v[24:25], s10, v[1:2]
	v_lshlrev_b64 v[26:27], s10, v[3:4]
	v_lshrrev_b32_e32 v24, 21, v25
	v_lshrrev_b32_e32 v25, 30, v25
	s_delay_alu instid0(VALU_DEP_3) | instskip(SKIP_1) | instid1(VALU_DEP_4)
	v_lshrrev_b32_e32 v26, 21, v27
	v_lshrrev_b32_e32 v27, 30, v27
	v_and_or_b32 v24, 0x380, v24, v0
	s_delay_alu instid0(VALU_DEP_4) | instskip(NEXT) | instid1(VALU_DEP_4)
	v_and_b32_e32 v25, 2, v25
	v_and_or_b32 v26, 0x380, v26, v0
	s_delay_alu instid0(VALU_DEP_4) | instskip(NEXT) | instid1(VALU_DEP_3)
	v_and_b32_e32 v27, 2, v27
	v_lshl_or_b32 v25, v24, 2, v25
	s_delay_alu instid0(VALU_DEP_2)
	v_lshl_or_b32 v27, v26, 2, v27
	ds_load_u16 v24, v25
	s_waitcnt lgkmcnt(0)
	v_add_nc_u16 v28, v24, 1
	ds_store_b16 v25, v28
	ds_load_u16 v26, v27
	v_lshlrev_b64 v[28:29], s10, v[5:6]
	s_delay_alu instid0(VALU_DEP_1) | instskip(SKIP_1) | instid1(VALU_DEP_2)
	v_lshrrev_b32_e32 v28, 21, v29
	v_lshrrev_b32_e32 v29, 30, v29
	v_and_or_b32 v28, 0x380, v28, v0
	s_delay_alu instid0(VALU_DEP_2) | instskip(NEXT) | instid1(VALU_DEP_1)
	v_and_b32_e32 v29, 2, v29
	v_lshl_or_b32 v29, v28, 2, v29
	s_waitcnt lgkmcnt(0)
	v_add_nc_u16 v30, v26, 1
	ds_store_b16 v27, v30
	ds_load_u16 v28, v29
	v_lshlrev_b64 v[30:31], s10, v[7:8]
	s_delay_alu instid0(VALU_DEP_1) | instskip(SKIP_1) | instid1(VALU_DEP_2)
	v_lshrrev_b32_e32 v30, 21, v31
	v_lshrrev_b32_e32 v31, 30, v31
	v_and_or_b32 v30, 0x380, v30, v0
	s_delay_alu instid0(VALU_DEP_2) | instskip(NEXT) | instid1(VALU_DEP_1)
	v_and_b32_e32 v31, 2, v31
	v_lshl_or_b32 v31, v30, 2, v31
	;; [unrolled: 12-line block ×6, first 2 shown]
	s_waitcnt lgkmcnt(0)
	v_add_nc_u16 v40, v36, 1
	ds_store_b16 v37, v40
	ds_load_u16 v38, v39
	s_waitcnt lgkmcnt(0)
	v_add_nc_u16 v40, v38, 1
	ds_store_b16 v39, v40
	s_waitcnt lgkmcnt(0)
	s_barrier
	buffer_gl0_inv
	ds_load_2addr_b32 v[40:41], v19 offset1:1
	ds_load_2addr_b32 v[42:43], v19 offset0:2 offset1:3
	ds_load_2addr_b32 v[44:45], v19 offset0:4 offset1:5
	;; [unrolled: 1-line block ×3, first 2 shown]
	s_waitcnt lgkmcnt(3)
	v_add_nc_u32_e32 v40, v41, v40
	s_waitcnt lgkmcnt(2)
	s_delay_alu instid0(VALU_DEP_1) | instskip(SKIP_1) | instid1(VALU_DEP_1)
	v_add3_u32 v40, v40, v42, v43
	s_waitcnt lgkmcnt(1)
	v_add3_u32 v40, v40, v44, v45
	s_waitcnt lgkmcnt(0)
	s_delay_alu instid0(VALU_DEP_1) | instskip(NEXT) | instid1(VALU_DEP_1)
	v_add3_u32 v40, v40, v46, v47
	v_mov_b32_dpp v41, v40 row_shr:1 row_mask:0xf bank_mask:0xf
	s_delay_alu instid0(VALU_DEP_1) | instskip(NEXT) | instid1(VALU_DEP_1)
	v_cndmask_b32_e64 v41, v41, 0, s2
	v_add_nc_u32_e32 v40, v41, v40
	s_delay_alu instid0(VALU_DEP_1) | instskip(NEXT) | instid1(VALU_DEP_1)
	v_mov_b32_dpp v41, v40 row_shr:2 row_mask:0xf bank_mask:0xf
	v_cndmask_b32_e64 v41, 0, v41, s3
	s_delay_alu instid0(VALU_DEP_1) | instskip(NEXT) | instid1(VALU_DEP_1)
	v_add_nc_u32_e32 v40, v40, v41
	v_mov_b32_dpp v41, v40 row_shr:4 row_mask:0xf bank_mask:0xf
	s_delay_alu instid0(VALU_DEP_1) | instskip(NEXT) | instid1(VALU_DEP_1)
	v_cndmask_b32_e64 v41, 0, v41, s4
	v_add_nc_u32_e32 v40, v40, v41
	s_delay_alu instid0(VALU_DEP_1) | instskip(NEXT) | instid1(VALU_DEP_1)
	v_mov_b32_dpp v41, v40 row_shr:8 row_mask:0xf bank_mask:0xf
	v_cndmask_b32_e64 v41, 0, v41, s5
	s_delay_alu instid0(VALU_DEP_1) | instskip(SKIP_3) | instid1(VALU_DEP_1)
	v_add_nc_u32_e32 v40, v40, v41
	ds_swizzle_b32 v41, v40 offset:swizzle(BROADCAST,32,15)
	s_waitcnt lgkmcnt(0)
	v_cndmask_b32_e64 v41, v41, 0, s6
	v_add_nc_u32_e32 v40, v40, v41
	s_and_saveexec_b32 s10, s7
	s_cbranch_execz .LBB96_8
; %bb.7:                                ;   in Loop: Header=BB96_4 Depth=2
	ds_store_b32 v21, v40 offset:4096
.LBB96_8:                               ;   in Loop: Header=BB96_4 Depth=2
	s_or_b32 exec_lo, exec_lo, s10
	s_waitcnt lgkmcnt(0)
	s_barrier
	buffer_gl0_inv
	s_and_saveexec_b32 s10, vcc_lo
	s_cbranch_execz .LBB96_10
; %bb.9:                                ;   in Loop: Header=BB96_4 Depth=2
	ds_load_b32 v41, v20 offset:4096
	s_waitcnt lgkmcnt(0)
	v_mov_b32_dpp v42, v41 row_shr:1 row_mask:0xf bank_mask:0xf
	s_delay_alu instid0(VALU_DEP_1) | instskip(NEXT) | instid1(VALU_DEP_1)
	v_cndmask_b32_e64 v42, v42, 0, s8
	v_add_nc_u32_e32 v41, v42, v41
	s_delay_alu instid0(VALU_DEP_1) | instskip(NEXT) | instid1(VALU_DEP_1)
	v_mov_b32_dpp v42, v41 row_shr:2 row_mask:0xf bank_mask:0xf
	v_cndmask_b32_e64 v42, 0, v42, s9
	s_delay_alu instid0(VALU_DEP_1)
	v_add_nc_u32_e32 v41, v41, v42
	ds_store_b32 v20, v41 offset:4096
.LBB96_10:                              ;   in Loop: Header=BB96_4 Depth=2
	s_or_b32 exec_lo, exec_lo, s10
	v_mov_b32_e32 v41, 0
	s_waitcnt lgkmcnt(0)
	s_barrier
	buffer_gl0_inv
	s_and_saveexec_b32 s10, s0
	s_cbranch_execz .LBB96_3
; %bb.11:                               ;   in Loop: Header=BB96_4 Depth=2
	ds_load_b32 v41, v21 offset:4092
	s_branch .LBB96_3
.LBB96_12:
	ds_load_u16 v0, v25
	ds_load_u16 v1, v27
	;; [unrolled: 1-line block ×8, first 2 shown]
	v_and_b32_e32 v8, 0xffff, v24
	v_and_b32_e32 v9, 0xffff, v26
	;; [unrolled: 1-line block ×8, first 2 shown]
	s_lshl_b64 s[0:1], s[12:13], 2
	s_delay_alu instid0(SALU_CYCLE_1)
	s_add_u32 s0, s18, s0
	s_addc_u32 s1, s19, s1
	s_waitcnt lgkmcnt(7)
	v_add_nc_u32_e32 v0, v0, v8
	s_waitcnt lgkmcnt(6)
	v_add_nc_u32_e32 v1, v1, v9
	;; [unrolled: 2-line block ×4, first 2 shown]
	v_lshlrev_b32_e32 v8, 2, v17
	s_waitcnt lgkmcnt(3)
	v_add_nc_u32_e32 v4, v4, v12
	s_waitcnt lgkmcnt(2)
	v_add_nc_u32_e32 v5, v5, v13
	;; [unrolled: 2-line block ×4, first 2 shown]
	s_clause 0x1
	global_store_b128 v8, v[0:3], s[0:1]
	global_store_b128 v8, v[4:7], s[0:1] offset:16
	s_nop 0
	s_sendmsg sendmsg(MSG_DEALLOC_VGPRS)
	s_endpgm
	.section	.rodata,"a",@progbits
	.p2align	6, 0x0
	.amdhsa_kernel _Z11rank_kernelIxLj4ELb0EL18RadixRankAlgorithm0ELj128ELj8ELj10EEvPKT_Pi
		.amdhsa_group_segment_fixed_size 4112
		.amdhsa_private_segment_fixed_size 0
		.amdhsa_kernarg_size 16
		.amdhsa_user_sgpr_count 15
		.amdhsa_user_sgpr_dispatch_ptr 0
		.amdhsa_user_sgpr_queue_ptr 0
		.amdhsa_user_sgpr_kernarg_segment_ptr 1
		.amdhsa_user_sgpr_dispatch_id 0
		.amdhsa_user_sgpr_private_segment_size 0
		.amdhsa_wavefront_size32 1
		.amdhsa_uses_dynamic_stack 0
		.amdhsa_enable_private_segment 0
		.amdhsa_system_sgpr_workgroup_id_x 1
		.amdhsa_system_sgpr_workgroup_id_y 0
		.amdhsa_system_sgpr_workgroup_id_z 0
		.amdhsa_system_sgpr_workgroup_info 0
		.amdhsa_system_vgpr_workitem_id 0
		.amdhsa_next_free_vgpr 48
		.amdhsa_next_free_sgpr 20
		.amdhsa_reserve_vcc 1
		.amdhsa_float_round_mode_32 0
		.amdhsa_float_round_mode_16_64 0
		.amdhsa_float_denorm_mode_32 3
		.amdhsa_float_denorm_mode_16_64 3
		.amdhsa_dx10_clamp 1
		.amdhsa_ieee_mode 1
		.amdhsa_fp16_overflow 0
		.amdhsa_workgroup_processor_mode 1
		.amdhsa_memory_ordered 1
		.amdhsa_forward_progress 0
		.amdhsa_shared_vgpr_count 0
		.amdhsa_exception_fp_ieee_invalid_op 0
		.amdhsa_exception_fp_denorm_src 0
		.amdhsa_exception_fp_ieee_div_zero 0
		.amdhsa_exception_fp_ieee_overflow 0
		.amdhsa_exception_fp_ieee_underflow 0
		.amdhsa_exception_fp_ieee_inexact 0
		.amdhsa_exception_int_div_zero 0
	.end_amdhsa_kernel
	.section	.text._Z11rank_kernelIxLj4ELb0EL18RadixRankAlgorithm0ELj128ELj8ELj10EEvPKT_Pi,"axG",@progbits,_Z11rank_kernelIxLj4ELb0EL18RadixRankAlgorithm0ELj128ELj8ELj10EEvPKT_Pi,comdat
.Lfunc_end96:
	.size	_Z11rank_kernelIxLj4ELb0EL18RadixRankAlgorithm0ELj128ELj8ELj10EEvPKT_Pi, .Lfunc_end96-_Z11rank_kernelIxLj4ELb0EL18RadixRankAlgorithm0ELj128ELj8ELj10EEvPKT_Pi
                                        ; -- End function
	.section	.AMDGPU.csdata,"",@progbits
; Kernel info:
; codeLenInByte = 1864
; NumSgprs: 22
; NumVgprs: 48
; ScratchSize: 0
; MemoryBound: 0
; FloatMode: 240
; IeeeMode: 1
; LDSByteSize: 4112 bytes/workgroup (compile time only)
; SGPRBlocks: 2
; VGPRBlocks: 5
; NumSGPRsForWavesPerEU: 22
; NumVGPRsForWavesPerEU: 48
; Occupancy: 16
; WaveLimiterHint : 0
; COMPUTE_PGM_RSRC2:SCRATCH_EN: 0
; COMPUTE_PGM_RSRC2:USER_SGPR: 15
; COMPUTE_PGM_RSRC2:TRAP_HANDLER: 0
; COMPUTE_PGM_RSRC2:TGID_X_EN: 1
; COMPUTE_PGM_RSRC2:TGID_Y_EN: 0
; COMPUTE_PGM_RSRC2:TGID_Z_EN: 0
; COMPUTE_PGM_RSRC2:TIDIG_COMP_CNT: 0
	.section	.text._Z11rank_kernelIxLj4ELb0EL18RadixRankAlgorithm1ELj128ELj8ELj10EEvPKT_Pi,"axG",@progbits,_Z11rank_kernelIxLj4ELb0EL18RadixRankAlgorithm1ELj128ELj8ELj10EEvPKT_Pi,comdat
	.protected	_Z11rank_kernelIxLj4ELb0EL18RadixRankAlgorithm1ELj128ELj8ELj10EEvPKT_Pi ; -- Begin function _Z11rank_kernelIxLj4ELb0EL18RadixRankAlgorithm1ELj128ELj8ELj10EEvPKT_Pi
	.globl	_Z11rank_kernelIxLj4ELb0EL18RadixRankAlgorithm1ELj128ELj8ELj10EEvPKT_Pi
	.p2align	8
	.type	_Z11rank_kernelIxLj4ELb0EL18RadixRankAlgorithm1ELj128ELj8ELj10EEvPKT_Pi,@function
_Z11rank_kernelIxLj4ELb0EL18RadixRankAlgorithm1ELj128ELj8ELj10EEvPKT_Pi: ; @_Z11rank_kernelIxLj4ELb0EL18RadixRankAlgorithm1ELj128ELj8ELj10EEvPKT_Pi
; %bb.0:
	s_load_b128 s[16:19], s[0:1], 0x0
	s_mov_b32 s13, 0
	s_lshl_b32 s12, s15, 10
	v_dual_mov_b32 v26, 0 :: v_dual_lshlrev_b32 v13, 6, v0
	s_lshl_b64 s[0:1], s[12:13], 3
	v_mbcnt_lo_u32_b32 v17, -1, 0
	v_or_b32_e32 v20, 31, v0
	v_lshrrev_b32_e32 v22, 3, v0
	v_lshlrev_b32_e32 v25, 3, v0
	v_lshlrev_b32_e32 v27, 5, v0
	v_add_nc_u32_e32 v21, -1, v17
	v_and_b32_e32 v18, 15, v17
	v_and_b32_e32 v19, 16, v17
	;; [unrolled: 1-line block ×3, first 2 shown]
	v_cmp_gt_u32_e32 vcc_lo, 4, v0
	v_cmp_gt_i32_e64 s7, 0, v21
	v_lshlrev_b32_e32 v28, 2, v0
	v_cmp_eq_u32_e64 s2, 0, v18
	v_cmp_lt_u32_e64 s3, 1, v18
	s_waitcnt lgkmcnt(0)
	s_add_u32 s0, s16, s0
	s_addc_u32 s1, s17, s1
	v_cmp_lt_u32_e64 s4, 3, v18
	s_clause 0x3
	global_load_b128 v[1:4], v13, s[0:1]
	global_load_b128 v[5:8], v13, s[0:1] offset:16
	global_load_b128 v[9:12], v13, s[0:1] offset:32
	;; [unrolled: 1-line block ×3, first 2 shown]
	v_cmp_eq_u32_e64 s1, 0, v17
	v_cndmask_b32_e64 v17, v21, v17, s7
	v_cmp_lt_u32_e64 s0, 31, v0
	v_cmp_lt_u32_e64 s5, 7, v18
	v_cmp_eq_u32_e64 s6, 0, v19
	v_cmp_eq_u32_e64 s7, v20, v0
	v_and_b32_e32 v29, 12, v22
	v_cmp_eq_u32_e64 s8, 0, v23
	v_cmp_lt_u32_e64 s9, 1, v23
	v_lshlrev_b32_e32 v30, 2, v17
	v_or_b32_e32 v31, 0xffffff80, v0
	s_mov_b32 s11, s13
	s_waitcnt vmcnt(3)
	v_xor_b32_e32 v2, 0x80000000, v2
	v_xor_b32_e32 v4, 0x80000000, v4
	s_waitcnt vmcnt(2)
	v_xor_b32_e32 v6, 0x80000000, v6
	v_xor_b32_e32 v8, 0x80000000, v8
	;; [unrolled: 3-line block ×4, first 2 shown]
	s_branch .LBB97_2
.LBB97_1:                               ;   in Loop: Header=BB97_2 Depth=1
	s_add_i32 s11, s11, 1
	s_delay_alu instid0(SALU_CYCLE_1)
	s_cmp_eq_u32 s11, 10
	s_cbranch_scc1 .LBB97_12
.LBB97_2:                               ; =>This Loop Header: Depth=1
                                        ;     Child Loop BB97_4 Depth 2
                                        ;       Child Loop BB97_5 Depth 3
	s_mov_b32 s14, 0
	s_branch .LBB97_4
.LBB97_3:                               ;   in Loop: Header=BB97_4 Depth=2
	s_or_b32 exec_lo, exec_lo, s10
	s_waitcnt lgkmcnt(0)
	v_add_nc_u32_e32 v18, v48, v18
	ds_load_b32 v49, v26 offset:4108
	s_add_i32 s10, s14, 4
	s_cmp_lt_u32 s14, 60
	s_mov_b32 s14, s10
	ds_bpermute_b32 v18, v30, v18
	s_waitcnt lgkmcnt(0)
	v_cndmask_b32_e64 v18, v18, v48, s1
	s_delay_alu instid0(VALU_DEP_1) | instskip(NEXT) | instid1(VALU_DEP_1)
	v_lshl_add_u32 v18, v49, 16, v18
	v_add_nc_u32_e32 v23, v18, v23
	s_delay_alu instid0(VALU_DEP_1) | instskip(NEXT) | instid1(VALU_DEP_1)
	v_add_nc_u32_e32 v24, v23, v24
	v_add_nc_u32_e32 v21, v24, v21
	s_delay_alu instid0(VALU_DEP_1) | instskip(NEXT) | instid1(VALU_DEP_1)
	v_add_nc_u32_e32 v22, v21, v22
	;; [unrolled: 3-line block ×3, first 2 shown]
	v_add_nc_u32_e32 v17, v20, v17
	ds_store_2addr_b32 v27, v18, v23 offset1:1
	ds_store_2addr_b32 v27, v24, v21 offset0:2 offset1:3
	ds_store_2addr_b32 v27, v22, v19 offset0:4 offset1:5
	;; [unrolled: 1-line block ×3, first 2 shown]
	s_waitcnt lgkmcnt(0)
	s_barrier
	buffer_gl0_inv
	s_cbranch_scc0 .LBB97_1
.LBB97_4:                               ;   Parent Loop BB97_2 Depth=1
                                        ; =>  This Loop Header: Depth=2
                                        ;       Child Loop BB97_5 Depth 3
	v_dual_mov_b32 v17, v31 :: v_dual_mov_b32 v18, v28
	s_mov_b32 s15, 0
.LBB97_5:                               ;   Parent Loop BB97_2 Depth=1
                                        ;     Parent Loop BB97_4 Depth=2
                                        ; =>    This Inner Loop Header: Depth=3
	s_delay_alu instid0(VALU_DEP_1) | instskip(SKIP_3) | instid1(VALU_DEP_1)
	v_add_nc_u32_e32 v17, 0x80, v17
	ds_store_b32 v18, v26
	v_add_nc_u32_e32 v18, 0x200, v18
	v_cmp_lt_u32_e64 s10, 0x37f, v17
	s_or_b32 s15, s10, s15
	s_delay_alu instid0(SALU_CYCLE_1)
	s_and_not1_b32 exec_lo, exec_lo, s15
	s_cbranch_execnz .LBB97_5
; %bb.6:                                ;   in Loop: Header=BB97_4 Depth=2
	s_or_b32 exec_lo, exec_lo, s15
	s_sub_i32 s10, 60, s14
	s_delay_alu instid0(SALU_CYCLE_1) | instskip(NEXT) | instid1(VALU_DEP_1)
	v_lshlrev_b64 v[17:18], s10, v[1:2]
	v_lshrrev_b32_e32 v17, 21, v18
	v_lshrrev_b32_e32 v18, 30, v18
	s_delay_alu instid0(VALU_DEP_2) | instskip(NEXT) | instid1(VALU_DEP_2)
	v_and_or_b32 v17, 0x380, v17, v0
	v_and_b32_e32 v18, 2, v18
	s_delay_alu instid0(VALU_DEP_1) | instskip(SKIP_4) | instid1(VALU_DEP_2)
	v_lshl_or_b32 v33, v17, 2, v18
	v_lshlrev_b64 v[17:18], s10, v[3:4]
	ds_load_u16 v32, v33
	v_lshrrev_b32_e32 v17, 21, v18
	v_lshrrev_b32_e32 v18, 30, v18
	v_and_or_b32 v17, 0x380, v17, v0
	s_delay_alu instid0(VALU_DEP_2) | instskip(NEXT) | instid1(VALU_DEP_1)
	v_and_b32_e32 v18, 2, v18
	v_lshl_or_b32 v35, v17, 2, v18
	v_lshlrev_b64 v[17:18], s10, v[5:6]
	s_delay_alu instid0(VALU_DEP_1) | instskip(SKIP_3) | instid1(VALU_DEP_3)
	v_lshrrev_b32_e32 v17, 21, v18
	s_waitcnt lgkmcnt(0)
	v_add_nc_u16 v19, v32, 1
	v_lshrrev_b32_e32 v18, 30, v18
	v_and_or_b32 v17, 0x380, v17, v0
	ds_store_b16 v33, v19
	ds_load_u16 v34, v35
	v_and_b32_e32 v18, 2, v18
	s_delay_alu instid0(VALU_DEP_1) | instskip(SKIP_1) | instid1(VALU_DEP_1)
	v_lshl_or_b32 v37, v17, 2, v18
	v_lshlrev_b64 v[17:18], s10, v[7:8]
	v_lshrrev_b32_e32 v17, 21, v18
	v_lshrrev_b32_e32 v18, 30, v18
	s_delay_alu instid0(VALU_DEP_2) | instskip(NEXT) | instid1(VALU_DEP_2)
	v_and_or_b32 v17, 0x380, v17, v0
	v_and_b32_e32 v18, 2, v18
	s_waitcnt lgkmcnt(0)
	v_add_nc_u16 v19, v34, 1
	s_delay_alu instid0(VALU_DEP_2) | instskip(SKIP_3) | instid1(VALU_DEP_1)
	v_lshl_or_b32 v39, v17, 2, v18
	ds_store_b16 v35, v19
	ds_load_u16 v36, v37
	v_lshlrev_b64 v[17:18], s10, v[9:10]
	v_lshrrev_b32_e32 v17, 21, v18
	v_lshrrev_b32_e32 v18, 30, v18
	s_delay_alu instid0(VALU_DEP_2) | instskip(NEXT) | instid1(VALU_DEP_2)
	v_and_or_b32 v17, 0x380, v17, v0
	v_and_b32_e32 v18, 2, v18
	s_delay_alu instid0(VALU_DEP_1) | instskip(SKIP_3) | instid1(VALU_DEP_2)
	v_lshl_or_b32 v41, v17, 2, v18
	v_lshlrev_b64 v[17:18], s10, v[11:12]
	s_waitcnt lgkmcnt(0)
	v_add_nc_u16 v19, v36, 1
	v_lshrrev_b32_e32 v17, 21, v18
	ds_store_b16 v37, v19
	ds_load_u16 v38, v39
	v_lshrrev_b32_e32 v18, 30, v18
	v_and_or_b32 v17, 0x380, v17, v0
	s_delay_alu instid0(VALU_DEP_2) | instskip(NEXT) | instid1(VALU_DEP_1)
	v_and_b32_e32 v18, 2, v18
	v_lshl_or_b32 v43, v17, 2, v18
	v_lshlrev_b64 v[17:18], s10, v[13:14]
	s_delay_alu instid0(VALU_DEP_1) | instskip(SKIP_3) | instid1(VALU_DEP_3)
	v_lshrrev_b32_e32 v17, 21, v18
	v_lshrrev_b32_e32 v18, 30, v18
	s_waitcnt lgkmcnt(0)
	v_add_nc_u16 v19, v38, 1
	v_and_or_b32 v17, 0x380, v17, v0
	s_delay_alu instid0(VALU_DEP_3) | instskip(SKIP_4) | instid1(VALU_DEP_1)
	v_and_b32_e32 v18, 2, v18
	ds_store_b16 v39, v19
	ds_load_u16 v40, v41
	v_lshl_or_b32 v45, v17, 2, v18
	v_lshlrev_b64 v[17:18], s10, v[15:16]
	v_lshrrev_b32_e32 v17, 21, v18
	v_lshrrev_b32_e32 v18, 30, v18
	s_delay_alu instid0(VALU_DEP_2) | instskip(NEXT) | instid1(VALU_DEP_2)
	v_and_or_b32 v17, 0x380, v17, v0
	v_and_b32_e32 v18, 2, v18
	s_waitcnt lgkmcnt(0)
	v_add_nc_u16 v19, v40, 1
	s_delay_alu instid0(VALU_DEP_2)
	v_lshl_or_b32 v47, v17, 2, v18
	ds_store_b16 v41, v19
	ds_load_u16 v42, v43
	s_waitcnt lgkmcnt(0)
	v_add_nc_u16 v19, v42, 1
	ds_store_b16 v43, v19
	ds_load_u16 v44, v45
	s_waitcnt lgkmcnt(0)
	v_add_nc_u16 v19, v44, 1
	;; [unrolled: 4-line block ×3, first 2 shown]
	ds_store_b16 v47, v17
	s_waitcnt lgkmcnt(0)
	s_barrier
	buffer_gl0_inv
	ds_load_2addr_b32 v[23:24], v27 offset1:1
	ds_load_2addr_b32 v[21:22], v27 offset0:2 offset1:3
	ds_load_2addr_b32 v[19:20], v27 offset0:4 offset1:5
	;; [unrolled: 1-line block ×3, first 2 shown]
	s_waitcnt lgkmcnt(3)
	v_add_nc_u32_e32 v48, v24, v23
	s_waitcnt lgkmcnt(2)
	s_delay_alu instid0(VALU_DEP_1) | instskip(SKIP_1) | instid1(VALU_DEP_1)
	v_add3_u32 v48, v48, v21, v22
	s_waitcnt lgkmcnt(1)
	v_add3_u32 v48, v48, v19, v20
	s_waitcnt lgkmcnt(0)
	s_delay_alu instid0(VALU_DEP_1) | instskip(NEXT) | instid1(VALU_DEP_1)
	v_add3_u32 v18, v48, v17, v18
	v_mov_b32_dpp v48, v18 row_shr:1 row_mask:0xf bank_mask:0xf
	s_delay_alu instid0(VALU_DEP_1) | instskip(NEXT) | instid1(VALU_DEP_1)
	v_cndmask_b32_e64 v48, v48, 0, s2
	v_add_nc_u32_e32 v18, v48, v18
	s_delay_alu instid0(VALU_DEP_1) | instskip(NEXT) | instid1(VALU_DEP_1)
	v_mov_b32_dpp v48, v18 row_shr:2 row_mask:0xf bank_mask:0xf
	v_cndmask_b32_e64 v48, 0, v48, s3
	s_delay_alu instid0(VALU_DEP_1) | instskip(NEXT) | instid1(VALU_DEP_1)
	v_add_nc_u32_e32 v18, v18, v48
	v_mov_b32_dpp v48, v18 row_shr:4 row_mask:0xf bank_mask:0xf
	s_delay_alu instid0(VALU_DEP_1) | instskip(NEXT) | instid1(VALU_DEP_1)
	v_cndmask_b32_e64 v48, 0, v48, s4
	v_add_nc_u32_e32 v18, v18, v48
	s_delay_alu instid0(VALU_DEP_1) | instskip(NEXT) | instid1(VALU_DEP_1)
	v_mov_b32_dpp v48, v18 row_shr:8 row_mask:0xf bank_mask:0xf
	v_cndmask_b32_e64 v48, 0, v48, s5
	s_delay_alu instid0(VALU_DEP_1) | instskip(SKIP_3) | instid1(VALU_DEP_1)
	v_add_nc_u32_e32 v18, v18, v48
	ds_swizzle_b32 v48, v18 offset:swizzle(BROADCAST,32,15)
	s_waitcnt lgkmcnt(0)
	v_cndmask_b32_e64 v48, v48, 0, s6
	v_add_nc_u32_e32 v18, v18, v48
	s_and_saveexec_b32 s10, s7
	s_cbranch_execz .LBB97_8
; %bb.7:                                ;   in Loop: Header=BB97_4 Depth=2
	ds_store_b32 v29, v18 offset:4096
.LBB97_8:                               ;   in Loop: Header=BB97_4 Depth=2
	s_or_b32 exec_lo, exec_lo, s10
	s_waitcnt lgkmcnt(0)
	s_barrier
	buffer_gl0_inv
	s_and_saveexec_b32 s10, vcc_lo
	s_cbranch_execz .LBB97_10
; %bb.9:                                ;   in Loop: Header=BB97_4 Depth=2
	ds_load_b32 v48, v28 offset:4096
	s_waitcnt lgkmcnt(0)
	v_mov_b32_dpp v49, v48 row_shr:1 row_mask:0xf bank_mask:0xf
	s_delay_alu instid0(VALU_DEP_1) | instskip(NEXT) | instid1(VALU_DEP_1)
	v_cndmask_b32_e64 v49, v49, 0, s8
	v_add_nc_u32_e32 v48, v49, v48
	s_delay_alu instid0(VALU_DEP_1) | instskip(NEXT) | instid1(VALU_DEP_1)
	v_mov_b32_dpp v49, v48 row_shr:2 row_mask:0xf bank_mask:0xf
	v_cndmask_b32_e64 v49, 0, v49, s9
	s_delay_alu instid0(VALU_DEP_1)
	v_add_nc_u32_e32 v48, v48, v49
	ds_store_b32 v28, v48 offset:4096
.LBB97_10:                              ;   in Loop: Header=BB97_4 Depth=2
	s_or_b32 exec_lo, exec_lo, s10
	v_mov_b32_e32 v48, 0
	s_waitcnt lgkmcnt(0)
	s_barrier
	buffer_gl0_inv
	s_and_saveexec_b32 s10, s0
	s_cbranch_execz .LBB97_3
; %bb.11:                               ;   in Loop: Header=BB97_4 Depth=2
	ds_load_b32 v48, v29 offset:4092
	s_branch .LBB97_3
.LBB97_12:
	ds_load_u16 v0, v33
	ds_load_u16 v1, v35
	ds_load_u16 v2, v37
	ds_load_u16 v3, v39
	ds_load_u16 v4, v41
	ds_load_u16 v5, v43
	ds_load_u16 v6, v45
	ds_load_u16 v7, v47
	v_and_b32_e32 v8, 0xffff, v32
	v_and_b32_e32 v9, 0xffff, v34
	;; [unrolled: 1-line block ×8, first 2 shown]
	s_lshl_b64 s[0:1], s[12:13], 2
	s_delay_alu instid0(SALU_CYCLE_1)
	s_add_u32 s0, s18, s0
	s_addc_u32 s1, s19, s1
	s_waitcnt lgkmcnt(7)
	v_add_nc_u32_e32 v0, v0, v8
	s_waitcnt lgkmcnt(6)
	v_add_nc_u32_e32 v1, v1, v9
	;; [unrolled: 2-line block ×4, first 2 shown]
	v_lshlrev_b32_e32 v8, 2, v25
	s_waitcnt lgkmcnt(3)
	v_add_nc_u32_e32 v4, v4, v12
	s_waitcnt lgkmcnt(2)
	v_add_nc_u32_e32 v5, v5, v13
	;; [unrolled: 2-line block ×4, first 2 shown]
	s_clause 0x1
	global_store_b128 v8, v[0:3], s[0:1]
	global_store_b128 v8, v[4:7], s[0:1] offset:16
	s_nop 0
	s_sendmsg sendmsg(MSG_DEALLOC_VGPRS)
	s_endpgm
	.section	.rodata,"a",@progbits
	.p2align	6, 0x0
	.amdhsa_kernel _Z11rank_kernelIxLj4ELb0EL18RadixRankAlgorithm1ELj128ELj8ELj10EEvPKT_Pi
		.amdhsa_group_segment_fixed_size 4112
		.amdhsa_private_segment_fixed_size 0
		.amdhsa_kernarg_size 16
		.amdhsa_user_sgpr_count 15
		.amdhsa_user_sgpr_dispatch_ptr 0
		.amdhsa_user_sgpr_queue_ptr 0
		.amdhsa_user_sgpr_kernarg_segment_ptr 1
		.amdhsa_user_sgpr_dispatch_id 0
		.amdhsa_user_sgpr_private_segment_size 0
		.amdhsa_wavefront_size32 1
		.amdhsa_uses_dynamic_stack 0
		.amdhsa_enable_private_segment 0
		.amdhsa_system_sgpr_workgroup_id_x 1
		.amdhsa_system_sgpr_workgroup_id_y 0
		.amdhsa_system_sgpr_workgroup_id_z 0
		.amdhsa_system_sgpr_workgroup_info 0
		.amdhsa_system_vgpr_workitem_id 0
		.amdhsa_next_free_vgpr 50
		.amdhsa_next_free_sgpr 20
		.amdhsa_reserve_vcc 1
		.amdhsa_float_round_mode_32 0
		.amdhsa_float_round_mode_16_64 0
		.amdhsa_float_denorm_mode_32 3
		.amdhsa_float_denorm_mode_16_64 3
		.amdhsa_dx10_clamp 1
		.amdhsa_ieee_mode 1
		.amdhsa_fp16_overflow 0
		.amdhsa_workgroup_processor_mode 1
		.amdhsa_memory_ordered 1
		.amdhsa_forward_progress 0
		.amdhsa_shared_vgpr_count 0
		.amdhsa_exception_fp_ieee_invalid_op 0
		.amdhsa_exception_fp_denorm_src 0
		.amdhsa_exception_fp_ieee_div_zero 0
		.amdhsa_exception_fp_ieee_overflow 0
		.amdhsa_exception_fp_ieee_underflow 0
		.amdhsa_exception_fp_ieee_inexact 0
		.amdhsa_exception_int_div_zero 0
	.end_amdhsa_kernel
	.section	.text._Z11rank_kernelIxLj4ELb0EL18RadixRankAlgorithm1ELj128ELj8ELj10EEvPKT_Pi,"axG",@progbits,_Z11rank_kernelIxLj4ELb0EL18RadixRankAlgorithm1ELj128ELj8ELj10EEvPKT_Pi,comdat
.Lfunc_end97:
	.size	_Z11rank_kernelIxLj4ELb0EL18RadixRankAlgorithm1ELj128ELj8ELj10EEvPKT_Pi, .Lfunc_end97-_Z11rank_kernelIxLj4ELb0EL18RadixRankAlgorithm1ELj128ELj8ELj10EEvPKT_Pi
                                        ; -- End function
	.section	.AMDGPU.csdata,"",@progbits
; Kernel info:
; codeLenInByte = 1816
; NumSgprs: 22
; NumVgprs: 50
; ScratchSize: 0
; MemoryBound: 0
; FloatMode: 240
; IeeeMode: 1
; LDSByteSize: 4112 bytes/workgroup (compile time only)
; SGPRBlocks: 2
; VGPRBlocks: 6
; NumSGPRsForWavesPerEU: 22
; NumVGPRsForWavesPerEU: 50
; Occupancy: 16
; WaveLimiterHint : 0
; COMPUTE_PGM_RSRC2:SCRATCH_EN: 0
; COMPUTE_PGM_RSRC2:USER_SGPR: 15
; COMPUTE_PGM_RSRC2:TRAP_HANDLER: 0
; COMPUTE_PGM_RSRC2:TGID_X_EN: 1
; COMPUTE_PGM_RSRC2:TGID_Y_EN: 0
; COMPUTE_PGM_RSRC2:TGID_Z_EN: 0
; COMPUTE_PGM_RSRC2:TIDIG_COMP_CNT: 0
	.section	.text._Z11rank_kernelIxLj4ELb0EL18RadixRankAlgorithm2ELj128ELj8ELj10EEvPKT_Pi,"axG",@progbits,_Z11rank_kernelIxLj4ELb0EL18RadixRankAlgorithm2ELj128ELj8ELj10EEvPKT_Pi,comdat
	.protected	_Z11rank_kernelIxLj4ELb0EL18RadixRankAlgorithm2ELj128ELj8ELj10EEvPKT_Pi ; -- Begin function _Z11rank_kernelIxLj4ELb0EL18RadixRankAlgorithm2ELj128ELj8ELj10EEvPKT_Pi
	.globl	_Z11rank_kernelIxLj4ELb0EL18RadixRankAlgorithm2ELj128ELj8ELj10EEvPKT_Pi
	.p2align	8
	.type	_Z11rank_kernelIxLj4ELb0EL18RadixRankAlgorithm2ELj128ELj8ELj10EEvPKT_Pi,@function
_Z11rank_kernelIxLj4ELb0EL18RadixRankAlgorithm2ELj128ELj8ELj10EEvPKT_Pi: ; @_Z11rank_kernelIxLj4ELb0EL18RadixRankAlgorithm2ELj128ELj8ELj10EEvPKT_Pi
; %bb.0:
	s_clause 0x1
	s_load_b128 s[16:19], s[0:1], 0x0
	s_load_b32 s7, s[0:1], 0x1c
	v_and_b32_e32 v19, 0x3ff, v0
	s_mov_b32 s13, 0
	s_lshl_b32 s12, s15, 10
	v_mbcnt_lo_u32_b32 v20, -1, 0
	s_lshl_b64 s[2:3], s[12:13], 3
	v_lshlrev_b32_e32 v13, 6, v19
	v_mov_b32_e32 v17, 0
	v_bfe_u32 v21, v0, 10, 10
	v_and_b32_e32 v24, 16, v20
	v_bfe_u32 v22, v0, 20, 10
	v_add_nc_u32_e32 v25, -1, v20
	v_and_b32_e32 v23, 15, v20
	v_cmp_eq_u32_e32 vcc_lo, 0, v20
	v_cmp_eq_u32_e64 s4, 0, v24
	v_and_b32_e32 v26, 3, v20
	v_lshlrev_b32_e32 v0, 3, v19
	v_lshlrev_b32_e32 v18, 2, v19
	v_cmp_lt_u32_e64 s6, 31, v19
	s_waitcnt lgkmcnt(0)
	s_add_u32 s0, s16, s2
	s_addc_u32 s1, s17, s3
	s_lshr_b32 s5, s7, 16
	s_clause 0x3
	global_load_b128 v[1:4], v13, s[0:1]
	global_load_b128 v[5:8], v13, s[0:1] offset:16
	global_load_b128 v[9:12], v13, s[0:1] offset:32
	;; [unrolled: 1-line block ×3, first 2 shown]
	v_mad_u32_u24 v24, v22, s5, v21
	s_and_b32 s7, s7, 0xffff
	v_cmp_eq_u32_e64 s0, 0, v23
	v_cmp_lt_u32_e64 s1, 1, v23
	v_cmp_lt_u32_e64 s2, 3, v23
	v_mad_u64_u32 v[21:22], null, v24, s7, v[19:20]
	v_cmp_gt_i32_e64 s7, 0, v25
	v_cmp_lt_u32_e64 s3, 7, v23
	v_or_b32_e32 v23, 31, v19
	v_lshrrev_b32_e32 v22, 3, v19
	v_cmp_gt_u32_e64 s5, 4, v19
	v_cndmask_b32_e64 v20, v25, v20, s7
	v_cmp_eq_u32_e64 s7, 0, v26
	v_cmp_eq_u32_e64 s9, v23, v19
	v_cmp_lt_u32_e64 s8, 1, v26
	v_lshrrev_b32_e32 v21, 5, v21
	v_lshlrev_b32_e32 v19, 2, v20
	v_and_b32_e32 v20, 12, v22
	s_mov_b32 s16, s13
	s_delay_alu instid0(VALU_DEP_1)
	v_add_nc_u32_e32 v22, -4, v20
	s_waitcnt vmcnt(3)
	v_xor_b32_e32 v2, 0x80000000, v2
	v_xor_b32_e32 v4, 0x80000000, v4
	s_waitcnt vmcnt(2)
	v_xor_b32_e32 v6, 0x80000000, v6
	v_xor_b32_e32 v8, 0x80000000, v8
	;; [unrolled: 3-line block ×4, first 2 shown]
	s_branch .LBB98_2
.LBB98_1:                               ;   in Loop: Header=BB98_2 Depth=1
	s_add_i32 s16, s16, 1
	s_delay_alu instid0(SALU_CYCLE_1)
	s_cmp_eq_u32 s16, 10
	s_cbranch_scc1 .LBB98_26
.LBB98_2:                               ; =>This Loop Header: Depth=1
                                        ;     Child Loop BB98_4 Depth 2
	s_mov_b64 s[14:15], 60
	s_mov_b32 s17, -4
	s_branch .LBB98_4
.LBB98_3:                               ;   in Loop: Header=BB98_4 Depth=2
	s_or_b32 exec_lo, exec_lo, s10
	s_waitcnt lgkmcnt(0)
	v_add_nc_u32_e32 v46, v47, v46
	s_add_i32 s17, s17, 4
	s_add_u32 s14, s14, -4
	s_addc_u32 s15, s15, -1
	s_cmp_lt_u32 s17, 60
	ds_bpermute_b32 v46, v19, v46
	s_waitcnt lgkmcnt(0)
	v_cndmask_b32_e32 v46, v46, v47, vcc_lo
	ds_store_b32 v18, v46 offset:16
	s_waitcnt lgkmcnt(0)
	s_barrier
	buffer_gl0_inv
	s_cbranch_scc0 .LBB98_1
.LBB98_4:                               ;   Parent Loop BB98_2 Depth=1
                                        ; =>  This Inner Loop Header: Depth=2
	v_lshlrev_b64 v[23:24], s14, v[1:2]
	ds_store_b32 v18, v17 offset:16
	s_waitcnt lgkmcnt(0)
	s_barrier
	buffer_gl0_inv
	v_bfe_u32 v23, v24, 28, 1
	v_lshrrev_b32_e32 v26, 28, v24
	v_and_b32_e32 v24, 0xf0000000, v24
	; wave barrier
	s_delay_alu instid0(VALU_DEP_3) | instskip(NEXT) | instid1(VALU_DEP_1)
	v_add_co_u32 v23, s10, v23, -1
	v_cndmask_b32_e64 v25, 0, 1, s10
	s_delay_alu instid0(VALU_DEP_4) | instskip(SKIP_2) | instid1(VALU_DEP_4)
	v_lshlrev_b32_e32 v27, 30, v26
	v_lshlrev_b32_e32 v28, 29, v26
	v_not_b32_e32 v29, v24
	v_cmp_ne_u32_e64 s10, 0, v25
	s_delay_alu instid0(VALU_DEP_4) | instskip(SKIP_2) | instid1(VALU_DEP_4)
	v_not_b32_e32 v25, v27
	v_cmp_gt_i32_e64 s11, 0, v27
	v_not_b32_e32 v27, v28
	v_xor_b32_e32 v23, s10, v23
	s_delay_alu instid0(VALU_DEP_4) | instskip(SKIP_1) | instid1(VALU_DEP_4)
	v_ashrrev_i32_e32 v25, 31, v25
	v_cmp_gt_i32_e64 s10, 0, v28
	v_ashrrev_i32_e32 v27, 31, v27
	s_delay_alu instid0(VALU_DEP_4) | instskip(NEXT) | instid1(VALU_DEP_4)
	v_and_b32_e32 v23, exec_lo, v23
	v_xor_b32_e32 v25, s11, v25
	v_cmp_gt_i32_e64 s11, 0, v24
	v_ashrrev_i32_e32 v24, 31, v29
	v_xor_b32_e32 v27, s10, v27
	s_delay_alu instid0(VALU_DEP_4) | instskip(NEXT) | instid1(VALU_DEP_3)
	v_and_b32_e32 v23, v23, v25
	v_xor_b32_e32 v24, s11, v24
	s_delay_alu instid0(VALU_DEP_2) | instskip(NEXT) | instid1(VALU_DEP_1)
	v_and_b32_e32 v23, v23, v27
	v_and_b32_e32 v25, v23, v24
	v_mad_u32_u24 v24, v26, 5, v21
	s_delay_alu instid0(VALU_DEP_2) | instskip(SKIP_1) | instid1(VALU_DEP_3)
	v_mbcnt_lo_u32_b32 v23, v25, 0
	v_cmp_ne_u32_e64 s11, 0, v25
	v_lshl_add_u32 v24, v24, 2, 16
	s_delay_alu instid0(VALU_DEP_3) | instskip(NEXT) | instid1(VALU_DEP_1)
	v_cmp_eq_u32_e64 s10, 0, v23
	s_and_b32 s11, s11, s10
	s_delay_alu instid0(SALU_CYCLE_1)
	s_and_saveexec_b32 s10, s11
	s_cbranch_execz .LBB98_6
; %bb.5:                                ;   in Loop: Header=BB98_4 Depth=2
	v_bcnt_u32_b32 v25, v25, 0
	ds_store_b32 v24, v25
.LBB98_6:                               ;   in Loop: Header=BB98_4 Depth=2
	s_or_b32 exec_lo, exec_lo, s10
	v_lshlrev_b64 v[25:26], s14, v[3:4]
	; wave barrier
	s_delay_alu instid0(VALU_DEP_1) | instskip(SKIP_2) | instid1(VALU_DEP_3)
	v_bfe_u32 v25, v26, 28, 1
	v_lshrrev_b32_e32 v27, 28, v26
	v_and_b32_e32 v26, 0xf0000000, v26
	v_add_co_u32 v25, s10, v25, -1
	s_delay_alu instid0(VALU_DEP_1) | instskip(NEXT) | instid1(VALU_DEP_4)
	v_cndmask_b32_e64 v28, 0, 1, s10
	v_lshlrev_b32_e32 v29, 30, v27
	v_lshlrev_b32_e32 v30, 29, v27
	v_not_b32_e32 v31, v26
	v_mul_u32_u24_e32 v27, 5, v27
	v_cmp_ne_u32_e64 s10, 0, v28
	v_not_b32_e32 v28, v29
	v_cmp_gt_i32_e64 s11, 0, v29
	v_not_b32_e32 v29, v30
	v_add_lshl_u32 v27, v21, v27, 2
	v_xor_b32_e32 v25, s10, v25
	v_ashrrev_i32_e32 v28, 31, v28
	v_cmp_gt_i32_e64 s10, 0, v30
	v_ashrrev_i32_e32 v29, 31, v29
	s_delay_alu instid0(VALU_DEP_4) | instskip(NEXT) | instid1(VALU_DEP_4)
	v_and_b32_e32 v25, exec_lo, v25
	v_xor_b32_e32 v28, s11, v28
	v_cmp_gt_i32_e64 s11, 0, v26
	v_ashrrev_i32_e32 v26, 31, v31
	v_xor_b32_e32 v29, s10, v29
	s_delay_alu instid0(VALU_DEP_4) | instskip(NEXT) | instid1(VALU_DEP_3)
	v_and_b32_e32 v25, v25, v28
	v_xor_b32_e32 v26, s11, v26
	s_delay_alu instid0(VALU_DEP_2) | instskip(SKIP_3) | instid1(VALU_DEP_1)
	v_and_b32_e32 v28, v25, v29
	ds_load_b32 v25, v27 offset:16
	v_add_nc_u32_e32 v27, 16, v27
	; wave barrier
	v_and_b32_e32 v28, v28, v26
	v_mbcnt_lo_u32_b32 v26, v28, 0
	v_cmp_ne_u32_e64 s11, 0, v28
	s_delay_alu instid0(VALU_DEP_2) | instskip(NEXT) | instid1(VALU_DEP_1)
	v_cmp_eq_u32_e64 s10, 0, v26
	s_and_b32 s11, s11, s10
	s_delay_alu instid0(SALU_CYCLE_1)
	s_and_saveexec_b32 s10, s11
	s_cbranch_execz .LBB98_8
; %bb.7:                                ;   in Loop: Header=BB98_4 Depth=2
	s_waitcnt lgkmcnt(0)
	v_bcnt_u32_b32 v28, v28, v25
	ds_store_b32 v27, v28
.LBB98_8:                               ;   in Loop: Header=BB98_4 Depth=2
	s_or_b32 exec_lo, exec_lo, s10
	v_lshlrev_b64 v[28:29], s14, v[5:6]
	; wave barrier
	s_delay_alu instid0(VALU_DEP_1) | instskip(SKIP_2) | instid1(VALU_DEP_3)
	v_bfe_u32 v28, v29, 28, 1
	v_lshrrev_b32_e32 v30, 28, v29
	v_and_b32_e32 v29, 0xf0000000, v29
	v_add_co_u32 v28, s10, v28, -1
	s_delay_alu instid0(VALU_DEP_1) | instskip(NEXT) | instid1(VALU_DEP_4)
	v_cndmask_b32_e64 v31, 0, 1, s10
	v_lshlrev_b32_e32 v32, 30, v30
	v_lshlrev_b32_e32 v33, 29, v30
	v_not_b32_e32 v34, v29
	v_mul_u32_u24_e32 v30, 5, v30
	v_cmp_ne_u32_e64 s10, 0, v31
	v_not_b32_e32 v31, v32
	v_cmp_gt_i32_e64 s11, 0, v32
	v_not_b32_e32 v32, v33
	v_add_lshl_u32 v30, v21, v30, 2
	v_xor_b32_e32 v28, s10, v28
	v_ashrrev_i32_e32 v31, 31, v31
	v_cmp_gt_i32_e64 s10, 0, v33
	v_ashrrev_i32_e32 v32, 31, v32
	s_delay_alu instid0(VALU_DEP_4) | instskip(NEXT) | instid1(VALU_DEP_4)
	v_and_b32_e32 v28, exec_lo, v28
	v_xor_b32_e32 v31, s11, v31
	v_cmp_gt_i32_e64 s11, 0, v29
	v_ashrrev_i32_e32 v29, 31, v34
	v_xor_b32_e32 v32, s10, v32
	s_delay_alu instid0(VALU_DEP_4) | instskip(NEXT) | instid1(VALU_DEP_3)
	v_and_b32_e32 v28, v28, v31
	v_xor_b32_e32 v29, s11, v29
	s_delay_alu instid0(VALU_DEP_2) | instskip(SKIP_3) | instid1(VALU_DEP_1)
	v_and_b32_e32 v31, v28, v32
	ds_load_b32 v28, v30 offset:16
	v_add_nc_u32_e32 v30, 16, v30
	; wave barrier
	v_and_b32_e32 v31, v31, v29
	v_mbcnt_lo_u32_b32 v29, v31, 0
	v_cmp_ne_u32_e64 s11, 0, v31
	s_delay_alu instid0(VALU_DEP_2) | instskip(NEXT) | instid1(VALU_DEP_1)
	v_cmp_eq_u32_e64 s10, 0, v29
	s_and_b32 s11, s11, s10
	s_delay_alu instid0(SALU_CYCLE_1)
	s_and_saveexec_b32 s10, s11
	s_cbranch_execz .LBB98_10
; %bb.9:                                ;   in Loop: Header=BB98_4 Depth=2
	s_waitcnt lgkmcnt(0)
	v_bcnt_u32_b32 v31, v31, v28
	ds_store_b32 v30, v31
.LBB98_10:                              ;   in Loop: Header=BB98_4 Depth=2
	s_or_b32 exec_lo, exec_lo, s10
	v_lshlrev_b64 v[31:32], s14, v[7:8]
	; wave barrier
	s_delay_alu instid0(VALU_DEP_1) | instskip(SKIP_2) | instid1(VALU_DEP_3)
	v_bfe_u32 v31, v32, 28, 1
	v_lshrrev_b32_e32 v33, 28, v32
	v_and_b32_e32 v32, 0xf0000000, v32
	v_add_co_u32 v31, s10, v31, -1
	s_delay_alu instid0(VALU_DEP_1) | instskip(NEXT) | instid1(VALU_DEP_4)
	v_cndmask_b32_e64 v34, 0, 1, s10
	v_lshlrev_b32_e32 v35, 30, v33
	v_lshlrev_b32_e32 v36, 29, v33
	v_not_b32_e32 v37, v32
	v_mul_u32_u24_e32 v33, 5, v33
	v_cmp_ne_u32_e64 s10, 0, v34
	v_not_b32_e32 v34, v35
	v_cmp_gt_i32_e64 s11, 0, v35
	v_not_b32_e32 v35, v36
	v_add_lshl_u32 v33, v21, v33, 2
	v_xor_b32_e32 v31, s10, v31
	v_ashrrev_i32_e32 v34, 31, v34
	v_cmp_gt_i32_e64 s10, 0, v36
	v_ashrrev_i32_e32 v35, 31, v35
	s_delay_alu instid0(VALU_DEP_4) | instskip(NEXT) | instid1(VALU_DEP_4)
	v_and_b32_e32 v31, exec_lo, v31
	v_xor_b32_e32 v34, s11, v34
	v_cmp_gt_i32_e64 s11, 0, v32
	v_ashrrev_i32_e32 v32, 31, v37
	v_xor_b32_e32 v35, s10, v35
	s_delay_alu instid0(VALU_DEP_4) | instskip(NEXT) | instid1(VALU_DEP_3)
	v_and_b32_e32 v31, v31, v34
	v_xor_b32_e32 v32, s11, v32
	s_delay_alu instid0(VALU_DEP_2) | instskip(SKIP_3) | instid1(VALU_DEP_1)
	v_and_b32_e32 v34, v31, v35
	ds_load_b32 v31, v33 offset:16
	v_add_nc_u32_e32 v33, 16, v33
	; wave barrier
	v_and_b32_e32 v34, v34, v32
	v_mbcnt_lo_u32_b32 v32, v34, 0
	v_cmp_ne_u32_e64 s11, 0, v34
	s_delay_alu instid0(VALU_DEP_2) | instskip(NEXT) | instid1(VALU_DEP_1)
	v_cmp_eq_u32_e64 s10, 0, v32
	s_and_b32 s11, s11, s10
	s_delay_alu instid0(SALU_CYCLE_1)
	s_and_saveexec_b32 s10, s11
	s_cbranch_execz .LBB98_12
; %bb.11:                               ;   in Loop: Header=BB98_4 Depth=2
	s_waitcnt lgkmcnt(0)
	v_bcnt_u32_b32 v34, v34, v31
	ds_store_b32 v33, v34
.LBB98_12:                              ;   in Loop: Header=BB98_4 Depth=2
	s_or_b32 exec_lo, exec_lo, s10
	v_lshlrev_b64 v[34:35], s14, v[9:10]
	; wave barrier
	s_delay_alu instid0(VALU_DEP_1) | instskip(SKIP_2) | instid1(VALU_DEP_3)
	v_bfe_u32 v34, v35, 28, 1
	v_lshrrev_b32_e32 v36, 28, v35
	v_and_b32_e32 v35, 0xf0000000, v35
	v_add_co_u32 v34, s10, v34, -1
	s_delay_alu instid0(VALU_DEP_1) | instskip(NEXT) | instid1(VALU_DEP_4)
	v_cndmask_b32_e64 v37, 0, 1, s10
	v_lshlrev_b32_e32 v38, 30, v36
	v_lshlrev_b32_e32 v39, 29, v36
	v_not_b32_e32 v40, v35
	v_mul_u32_u24_e32 v36, 5, v36
	v_cmp_ne_u32_e64 s10, 0, v37
	v_not_b32_e32 v37, v38
	v_cmp_gt_i32_e64 s11, 0, v38
	v_not_b32_e32 v38, v39
	v_add_lshl_u32 v36, v21, v36, 2
	v_xor_b32_e32 v34, s10, v34
	v_ashrrev_i32_e32 v37, 31, v37
	v_cmp_gt_i32_e64 s10, 0, v39
	v_ashrrev_i32_e32 v38, 31, v38
	s_delay_alu instid0(VALU_DEP_4) | instskip(NEXT) | instid1(VALU_DEP_4)
	v_and_b32_e32 v34, exec_lo, v34
	v_xor_b32_e32 v37, s11, v37
	v_cmp_gt_i32_e64 s11, 0, v35
	v_ashrrev_i32_e32 v35, 31, v40
	v_xor_b32_e32 v38, s10, v38
	s_delay_alu instid0(VALU_DEP_4) | instskip(NEXT) | instid1(VALU_DEP_3)
	v_and_b32_e32 v34, v34, v37
	v_xor_b32_e32 v35, s11, v35
	s_delay_alu instid0(VALU_DEP_2) | instskip(SKIP_3) | instid1(VALU_DEP_1)
	v_and_b32_e32 v37, v34, v38
	ds_load_b32 v34, v36 offset:16
	v_add_nc_u32_e32 v36, 16, v36
	; wave barrier
	v_and_b32_e32 v37, v37, v35
	v_mbcnt_lo_u32_b32 v35, v37, 0
	v_cmp_ne_u32_e64 s11, 0, v37
	s_delay_alu instid0(VALU_DEP_2) | instskip(NEXT) | instid1(VALU_DEP_1)
	v_cmp_eq_u32_e64 s10, 0, v35
	s_and_b32 s11, s11, s10
	s_delay_alu instid0(SALU_CYCLE_1)
	s_and_saveexec_b32 s10, s11
	s_cbranch_execz .LBB98_14
; %bb.13:                               ;   in Loop: Header=BB98_4 Depth=2
	s_waitcnt lgkmcnt(0)
	v_bcnt_u32_b32 v37, v37, v34
	ds_store_b32 v36, v37
.LBB98_14:                              ;   in Loop: Header=BB98_4 Depth=2
	;; [unrolled: 51-line block ×5, first 2 shown]
	s_or_b32 exec_lo, exec_lo, s10
	; wave barrier
	s_waitcnt lgkmcnt(0)
	s_barrier
	buffer_gl0_inv
	ds_load_b32 v46, v18 offset:16
	s_waitcnt lgkmcnt(0)
	v_mov_b32_dpp v47, v46 row_shr:1 row_mask:0xf bank_mask:0xf
	s_delay_alu instid0(VALU_DEP_1) | instskip(NEXT) | instid1(VALU_DEP_1)
	v_cndmask_b32_e64 v47, v47, 0, s0
	v_add_nc_u32_e32 v46, v47, v46
	s_delay_alu instid0(VALU_DEP_1) | instskip(NEXT) | instid1(VALU_DEP_1)
	v_mov_b32_dpp v47, v46 row_shr:2 row_mask:0xf bank_mask:0xf
	v_cndmask_b32_e64 v47, 0, v47, s1
	s_delay_alu instid0(VALU_DEP_1) | instskip(NEXT) | instid1(VALU_DEP_1)
	v_add_nc_u32_e32 v46, v46, v47
	v_mov_b32_dpp v47, v46 row_shr:4 row_mask:0xf bank_mask:0xf
	s_delay_alu instid0(VALU_DEP_1) | instskip(NEXT) | instid1(VALU_DEP_1)
	v_cndmask_b32_e64 v47, 0, v47, s2
	v_add_nc_u32_e32 v46, v46, v47
	s_delay_alu instid0(VALU_DEP_1) | instskip(NEXT) | instid1(VALU_DEP_1)
	v_mov_b32_dpp v47, v46 row_shr:8 row_mask:0xf bank_mask:0xf
	v_cndmask_b32_e64 v47, 0, v47, s3
	s_delay_alu instid0(VALU_DEP_1) | instskip(SKIP_3) | instid1(VALU_DEP_1)
	v_add_nc_u32_e32 v46, v46, v47
	ds_swizzle_b32 v47, v46 offset:swizzle(BROADCAST,32,15)
	s_waitcnt lgkmcnt(0)
	v_cndmask_b32_e64 v47, v47, 0, s4
	v_add_nc_u32_e32 v46, v46, v47
	s_and_saveexec_b32 s10, s9
	s_delay_alu instid0(SALU_CYCLE_1)
	s_xor_b32 s10, exec_lo, s10
	s_cbranch_execz .LBB98_22
; %bb.21:                               ;   in Loop: Header=BB98_4 Depth=2
	ds_store_b32 v20, v46
.LBB98_22:                              ;   in Loop: Header=BB98_4 Depth=2
	s_or_b32 exec_lo, exec_lo, s10
	s_waitcnt lgkmcnt(0)
	s_barrier
	buffer_gl0_inv
	s_and_saveexec_b32 s10, s5
	s_cbranch_execz .LBB98_24
; %bb.23:                               ;   in Loop: Header=BB98_4 Depth=2
	ds_load_b32 v47, v18
	s_waitcnt lgkmcnt(0)
	v_mov_b32_dpp v48, v47 row_shr:1 row_mask:0xf bank_mask:0xf
	s_delay_alu instid0(VALU_DEP_1) | instskip(NEXT) | instid1(VALU_DEP_1)
	v_cndmask_b32_e64 v48, v48, 0, s7
	v_add_nc_u32_e32 v47, v48, v47
	s_delay_alu instid0(VALU_DEP_1) | instskip(NEXT) | instid1(VALU_DEP_1)
	v_mov_b32_dpp v48, v47 row_shr:2 row_mask:0xf bank_mask:0xf
	v_cndmask_b32_e64 v48, 0, v48, s8
	s_delay_alu instid0(VALU_DEP_1)
	v_add_nc_u32_e32 v47, v47, v48
	ds_store_b32 v18, v47
.LBB98_24:                              ;   in Loop: Header=BB98_4 Depth=2
	s_or_b32 exec_lo, exec_lo, s10
	v_mov_b32_e32 v47, 0
	s_waitcnt lgkmcnt(0)
	s_barrier
	buffer_gl0_inv
	s_and_saveexec_b32 s10, s6
	s_cbranch_execz .LBB98_3
; %bb.25:                               ;   in Loop: Header=BB98_4 Depth=2
	ds_load_b32 v47, v22
	s_branch .LBB98_3
.LBB98_26:
	ds_load_b32 v1, v24
	ds_load_b32 v2, v27
	;; [unrolled: 1-line block ×8, first 2 shown]
	s_lshl_b64 s[0:1], s[12:13], 2
	v_lshlrev_b32_e32 v9, 2, v0
	s_add_u32 s0, s18, s0
	s_addc_u32 s1, s19, s1
	s_waitcnt lgkmcnt(7)
	v_add_nc_u32_e32 v0, v1, v23
	s_waitcnt lgkmcnt(6)
	v_add3_u32 v1, v26, v25, v2
	s_waitcnt lgkmcnt(5)
	v_add3_u32 v2, v29, v28, v3
	s_waitcnt lgkmcnt(4)
	v_add3_u32 v3, v32, v31, v4
	s_waitcnt lgkmcnt(3)
	v_add3_u32 v4, v35, v34, v5
	s_waitcnt lgkmcnt(2)
	v_add3_u32 v5, v38, v37, v6
	s_waitcnt lgkmcnt(1)
	v_add3_u32 v6, v41, v40, v7
	s_waitcnt lgkmcnt(0)
	v_add3_u32 v7, v44, v43, v8
	s_clause 0x1
	global_store_b128 v9, v[0:3], s[0:1]
	global_store_b128 v9, v[4:7], s[0:1] offset:16
	s_nop 0
	s_sendmsg sendmsg(MSG_DEALLOC_VGPRS)
	s_endpgm
	.section	.rodata,"a",@progbits
	.p2align	6, 0x0
	.amdhsa_kernel _Z11rank_kernelIxLj4ELb0EL18RadixRankAlgorithm2ELj128ELj8ELj10EEvPKT_Pi
		.amdhsa_group_segment_fixed_size 528
		.amdhsa_private_segment_fixed_size 0
		.amdhsa_kernarg_size 272
		.amdhsa_user_sgpr_count 15
		.amdhsa_user_sgpr_dispatch_ptr 0
		.amdhsa_user_sgpr_queue_ptr 0
		.amdhsa_user_sgpr_kernarg_segment_ptr 1
		.amdhsa_user_sgpr_dispatch_id 0
		.amdhsa_user_sgpr_private_segment_size 0
		.amdhsa_wavefront_size32 1
		.amdhsa_uses_dynamic_stack 0
		.amdhsa_enable_private_segment 0
		.amdhsa_system_sgpr_workgroup_id_x 1
		.amdhsa_system_sgpr_workgroup_id_y 0
		.amdhsa_system_sgpr_workgroup_id_z 0
		.amdhsa_system_sgpr_workgroup_info 0
		.amdhsa_system_vgpr_workitem_id 2
		.amdhsa_next_free_vgpr 50
		.amdhsa_next_free_sgpr 20
		.amdhsa_reserve_vcc 1
		.amdhsa_float_round_mode_32 0
		.amdhsa_float_round_mode_16_64 0
		.amdhsa_float_denorm_mode_32 3
		.amdhsa_float_denorm_mode_16_64 3
		.amdhsa_dx10_clamp 1
		.amdhsa_ieee_mode 1
		.amdhsa_fp16_overflow 0
		.amdhsa_workgroup_processor_mode 1
		.amdhsa_memory_ordered 1
		.amdhsa_forward_progress 0
		.amdhsa_shared_vgpr_count 0
		.amdhsa_exception_fp_ieee_invalid_op 0
		.amdhsa_exception_fp_denorm_src 0
		.amdhsa_exception_fp_ieee_div_zero 0
		.amdhsa_exception_fp_ieee_overflow 0
		.amdhsa_exception_fp_ieee_underflow 0
		.amdhsa_exception_fp_ieee_inexact 0
		.amdhsa_exception_int_div_zero 0
	.end_amdhsa_kernel
	.section	.text._Z11rank_kernelIxLj4ELb0EL18RadixRankAlgorithm2ELj128ELj8ELj10EEvPKT_Pi,"axG",@progbits,_Z11rank_kernelIxLj4ELb0EL18RadixRankAlgorithm2ELj128ELj8ELj10EEvPKT_Pi,comdat
.Lfunc_end98:
	.size	_Z11rank_kernelIxLj4ELb0EL18RadixRankAlgorithm2ELj128ELj8ELj10EEvPKT_Pi, .Lfunc_end98-_Z11rank_kernelIxLj4ELb0EL18RadixRankAlgorithm2ELj128ELj8ELj10EEvPKT_Pi
                                        ; -- End function
	.section	.AMDGPU.csdata,"",@progbits
; Kernel info:
; codeLenInByte = 3056
; NumSgprs: 22
; NumVgprs: 50
; ScratchSize: 0
; MemoryBound: 0
; FloatMode: 240
; IeeeMode: 1
; LDSByteSize: 528 bytes/workgroup (compile time only)
; SGPRBlocks: 2
; VGPRBlocks: 6
; NumSGPRsForWavesPerEU: 22
; NumVGPRsForWavesPerEU: 50
; Occupancy: 16
; WaveLimiterHint : 0
; COMPUTE_PGM_RSRC2:SCRATCH_EN: 0
; COMPUTE_PGM_RSRC2:USER_SGPR: 15
; COMPUTE_PGM_RSRC2:TRAP_HANDLER: 0
; COMPUTE_PGM_RSRC2:TGID_X_EN: 1
; COMPUTE_PGM_RSRC2:TGID_Y_EN: 0
; COMPUTE_PGM_RSRC2:TGID_Z_EN: 0
; COMPUTE_PGM_RSRC2:TIDIG_COMP_CNT: 2
	.section	.text._Z11rank_kernelIxLj4ELb0EL18RadixRankAlgorithm0ELj128ELj16ELj10EEvPKT_Pi,"axG",@progbits,_Z11rank_kernelIxLj4ELb0EL18RadixRankAlgorithm0ELj128ELj16ELj10EEvPKT_Pi,comdat
	.protected	_Z11rank_kernelIxLj4ELb0EL18RadixRankAlgorithm0ELj128ELj16ELj10EEvPKT_Pi ; -- Begin function _Z11rank_kernelIxLj4ELb0EL18RadixRankAlgorithm0ELj128ELj16ELj10EEvPKT_Pi
	.globl	_Z11rank_kernelIxLj4ELb0EL18RadixRankAlgorithm0ELj128ELj16ELj10EEvPKT_Pi
	.p2align	8
	.type	_Z11rank_kernelIxLj4ELb0EL18RadixRankAlgorithm0ELj128ELj16ELj10EEvPKT_Pi,@function
_Z11rank_kernelIxLj4ELb0EL18RadixRankAlgorithm0ELj128ELj16ELj10EEvPKT_Pi: ; @_Z11rank_kernelIxLj4ELb0EL18RadixRankAlgorithm0ELj128ELj16ELj10EEvPKT_Pi
; %bb.0:
	s_load_b128 s[16:19], s[0:1], 0x0
	s_mov_b32 s13, 0
	s_lshl_b32 s12, s15, 11
	v_dual_mov_b32 v34, 0 :: v_dual_lshlrev_b32 v29, 7, v0
	s_lshl_b64 s[0:1], s[12:13], 3
	v_mbcnt_lo_u32_b32 v37, -1, 0
	v_or_b32_e32 v40, 31, v0
	v_lshrrev_b32_e32 v42, 3, v0
	v_lshlrev_b32_e32 v33, 4, v0
	v_lshlrev_b32_e32 v35, 5, v0
	v_add_nc_u32_e32 v41, -1, v37
	v_and_b32_e32 v38, 15, v37
	v_and_b32_e32 v39, 16, v37
	;; [unrolled: 1-line block ×3, first 2 shown]
	v_cmp_gt_u32_e32 vcc_lo, 4, v0
	v_cmp_gt_i32_e64 s7, 0, v41
	v_cmp_eq_u32_e64 s2, 0, v38
	v_cmp_lt_u32_e64 s3, 1, v38
	v_cmp_lt_u32_e64 s4, 3, v38
	s_waitcnt lgkmcnt(0)
	s_add_u32 s0, s16, s0
	s_addc_u32 s1, s17, s1
	v_cmp_lt_u32_e64 s5, 7, v38
	s_clause 0x7
	global_load_b128 v[1:4], v29, s[0:1]
	global_load_b128 v[5:8], v29, s[0:1] offset:16
	global_load_b128 v[9:12], v29, s[0:1] offset:32
	;; [unrolled: 1-line block ×7, first 2 shown]
	v_cndmask_b32_e64 v38, v41, v37, s7
	v_cmp_lt_u32_e64 s0, 31, v0
	v_cmp_eq_u32_e64 s1, 0, v37
	v_lshlrev_b32_e32 v36, 2, v0
	v_cmp_eq_u32_e64 s6, 0, v39
	v_cmp_eq_u32_e64 s7, v40, v0
	v_and_b32_e32 v37, 12, v42
	v_cmp_eq_u32_e64 s8, 0, v43
	v_cmp_lt_u32_e64 s9, 1, v43
	v_lshlrev_b32_e32 v38, 2, v38
	v_or_b32_e32 v39, 0xffffff80, v0
	s_mov_b32 s11, s13
	s_waitcnt vmcnt(7)
	v_xor_b32_e32 v2, 0x80000000, v2
	v_xor_b32_e32 v4, 0x80000000, v4
	s_waitcnt vmcnt(6)
	v_xor_b32_e32 v6, 0x80000000, v6
	v_xor_b32_e32 v8, 0x80000000, v8
	;; [unrolled: 3-line block ×8, first 2 shown]
	s_branch .LBB99_2
.LBB99_1:                               ;   in Loop: Header=BB99_2 Depth=1
	s_add_i32 s11, s11, 1
	s_delay_alu instid0(SALU_CYCLE_1)
	s_cmp_eq_u32 s11, 10
	s_cbranch_scc1 .LBB99_12
.LBB99_2:                               ; =>This Loop Header: Depth=1
                                        ;     Child Loop BB99_4 Depth 2
                                        ;       Child Loop BB99_5 Depth 3
	s_mov_b32 s14, 0
	s_branch .LBB99_4
.LBB99_3:                               ;   in Loop: Header=BB99_4 Depth=2
	s_or_b32 exec_lo, exec_lo, s10
	s_waitcnt lgkmcnt(0)
	v_add_nc_u32_e32 v72, v73, v72
	ds_load_b32 v76, v34 offset:4108
	ds_load_2addr_b32 v[74:75], v35 offset1:1
	s_add_i32 s10, s14, 4
	s_cmp_lt_u32 s14, 60
	s_mov_b32 s14, s10
	ds_bpermute_b32 v72, v38, v72
	s_waitcnt lgkmcnt(0)
	v_cndmask_b32_e64 v77, v72, v73, s1
	ds_load_2addr_b32 v[72:73], v35 offset0:2 offset1:3
	v_lshl_add_u32 v78, v76, 16, v77
	ds_load_2addr_b32 v[76:77], v35 offset0:4 offset1:5
	ds_load_b32 v79, v35 offset:24
	v_add_nc_u32_e32 v74, v78, v74
	s_delay_alu instid0(VALU_DEP_1) | instskip(SKIP_1) | instid1(VALU_DEP_1)
	v_add_nc_u32_e32 v75, v75, v74
	s_waitcnt lgkmcnt(2)
	v_add_nc_u32_e32 v72, v72, v75
	s_delay_alu instid0(VALU_DEP_1) | instskip(SKIP_1) | instid1(VALU_DEP_1)
	v_add_nc_u32_e32 v73, v73, v72
	s_waitcnt lgkmcnt(1)
	v_add_nc_u32_e32 v76, v76, v73
	s_delay_alu instid0(VALU_DEP_1) | instskip(SKIP_1) | instid1(VALU_DEP_1)
	v_add_nc_u32_e32 v77, v77, v76
	s_waitcnt lgkmcnt(0)
	v_add_nc_u32_e32 v79, v79, v77
	ds_store_2addr_b32 v35, v78, v74 offset1:1
	ds_store_2addr_b32 v35, v75, v72 offset0:2 offset1:3
	ds_store_2addr_b32 v35, v73, v76 offset0:4 offset1:5
	;; [unrolled: 1-line block ×3, first 2 shown]
	s_waitcnt lgkmcnt(0)
	s_barrier
	buffer_gl0_inv
	s_cbranch_scc0 .LBB99_1
.LBB99_4:                               ;   Parent Loop BB99_2 Depth=1
                                        ; =>  This Loop Header: Depth=2
                                        ;       Child Loop BB99_5 Depth 3
	v_dual_mov_b32 v40, v39 :: v_dual_mov_b32 v41, v36
	s_mov_b32 s15, 0
.LBB99_5:                               ;   Parent Loop BB99_2 Depth=1
                                        ;     Parent Loop BB99_4 Depth=2
                                        ; =>    This Inner Loop Header: Depth=3
	s_delay_alu instid0(VALU_DEP_1) | instskip(SKIP_3) | instid1(VALU_DEP_1)
	v_add_nc_u32_e32 v40, 0x80, v40
	ds_store_b32 v41, v34
	v_add_nc_u32_e32 v41, 0x200, v41
	v_cmp_lt_u32_e64 s10, 0x37f, v40
	s_or_b32 s15, s10, s15
	s_delay_alu instid0(SALU_CYCLE_1)
	s_and_not1_b32 exec_lo, exec_lo, s15
	s_cbranch_execnz .LBB99_5
; %bb.6:                                ;   in Loop: Header=BB99_4 Depth=2
	s_or_b32 exec_lo, exec_lo, s15
	s_sub_i32 s10, 60, s14
	s_delay_alu instid0(SALU_CYCLE_1)
	v_lshlrev_b64 v[40:41], s10, v[1:2]
	v_lshlrev_b64 v[46:47], s10, v[5:6]
	;; [unrolled: 1-line block ×6, first 2 shown]
	v_lshrrev_b32_e32 v40, 21, v41
	v_lshrrev_b32_e32 v41, 30, v41
	v_lshlrev_b64 v[57:58], s10, v[17:18]
	v_lshlrev_b64 v[59:60], s10, v[19:20]
	v_lshrrev_b32_e32 v53, 30, v54
	v_and_or_b32 v40, 0x380, v40, v0
	v_and_b32_e32 v41, 2, v41
	v_lshrrev_b32_e32 v55, 30, v56
	v_lshrrev_b32_e32 v57, 30, v58
	v_and_b32_e32 v53, 2, v53
	v_lshrrev_b32_e32 v59, 30, v60
	v_lshl_or_b32 v40, v40, 2, v41
	v_lshlrev_b64 v[41:42], s10, v[3:4]
	v_and_b32_e32 v55, 2, v55
	v_and_b32_e32 v57, 2, v57
	;; [unrolled: 1-line block ×3, first 2 shown]
	ds_load_u16 v43, v40
	v_lshlrev_b64 v[64:65], s10, v[23:24]
	v_lshrrev_b32_e32 v41, 21, v42
	v_lshrrev_b32_e32 v42, 30, v42
	s_delay_alu instid0(VALU_DEP_2) | instskip(NEXT) | instid1(VALU_DEP_2)
	v_and_or_b32 v41, 0x380, v41, v0
	v_and_b32_e32 v42, 2, v42
	s_delay_alu instid0(VALU_DEP_1) | instskip(SKIP_1) | instid1(VALU_DEP_1)
	v_lshl_or_b32 v41, v41, 2, v42
	v_lshrrev_b32_e32 v42, 21, v47
	v_and_or_b32 v42, 0x380, v42, v0
	s_waitcnt lgkmcnt(0)
	v_add_nc_u16 v44, v43, 1
	ds_store_b16 v40, v44
	ds_load_u16 v45, v41
	v_lshrrev_b32_e32 v44, 30, v47
	s_delay_alu instid0(VALU_DEP_1) | instskip(NEXT) | instid1(VALU_DEP_1)
	v_and_b32_e32 v44, 2, v44
	v_lshl_or_b32 v42, v42, 2, v44
	v_lshrrev_b32_e32 v44, 21, v49
	s_delay_alu instid0(VALU_DEP_1)
	v_and_or_b32 v44, 0x380, v44, v0
	s_waitcnt lgkmcnt(0)
	v_add_nc_u16 v46, v45, 1
	ds_store_b16 v41, v46
	ds_load_u16 v47, v42
	v_lshrrev_b32_e32 v46, 30, v49
	s_delay_alu instid0(VALU_DEP_1) | instskip(NEXT) | instid1(VALU_DEP_1)
	v_and_b32_e32 v46, 2, v46
	v_lshl_or_b32 v44, v44, 2, v46
	v_lshrrev_b32_e32 v46, 21, v51
	s_delay_alu instid0(VALU_DEP_1)
	v_and_or_b32 v46, 0x380, v46, v0
	s_waitcnt lgkmcnt(0)
	v_add_nc_u16 v48, v47, 1
	ds_store_b16 v42, v48
	ds_load_u16 v49, v44
	v_lshrrev_b32_e32 v48, 30, v51
	v_lshlrev_b64 v[51:52], s10, v[11:12]
	s_delay_alu instid0(VALU_DEP_2) | instskip(NEXT) | instid1(VALU_DEP_2)
	v_and_b32_e32 v48, 2, v48
	v_lshrrev_b32_e32 v51, 30, v52
	s_delay_alu instid0(VALU_DEP_2) | instskip(SKIP_1) | instid1(VALU_DEP_3)
	v_lshl_or_b32 v46, v46, 2, v48
	v_lshrrev_b32_e32 v48, 21, v52
	v_and_b32_e32 v51, 2, v51
	s_delay_alu instid0(VALU_DEP_2) | instskip(SKIP_2) | instid1(VALU_DEP_2)
	v_and_or_b32 v48, 0x380, v48, v0
	s_waitcnt lgkmcnt(0)
	v_add_nc_u16 v50, v49, 1
	v_lshl_or_b32 v48, v48, 2, v51
	v_lshrrev_b32_e32 v51, 21, v54
	ds_store_b16 v44, v50
	ds_load_u16 v50, v46
	v_and_or_b32 v51, 0x380, v51, v0
	s_delay_alu instid0(VALU_DEP_1) | instskip(SKIP_1) | instid1(VALU_DEP_1)
	v_lshl_or_b32 v51, v51, 2, v53
	v_lshrrev_b32_e32 v53, 21, v56
	v_and_or_b32 v53, 0x380, v53, v0
	s_delay_alu instid0(VALU_DEP_1) | instskip(SKIP_3) | instid1(VALU_DEP_2)
	v_lshl_or_b32 v53, v53, 2, v55
	v_lshrrev_b32_e32 v55, 21, v58
	s_waitcnt lgkmcnt(0)
	v_add_nc_u16 v52, v50, 1
	v_and_or_b32 v55, 0x380, v55, v0
	ds_store_b16 v46, v52
	ds_load_u16 v52, v48
	v_lshl_or_b32 v55, v55, 2, v57
	v_lshrrev_b32_e32 v57, 21, v60
	s_delay_alu instid0(VALU_DEP_1) | instskip(NEXT) | instid1(VALU_DEP_1)
	v_and_or_b32 v57, 0x380, v57, v0
	v_lshl_or_b32 v57, v57, 2, v59
	s_waitcnt lgkmcnt(0)
	v_add_nc_u16 v54, v52, 1
	ds_store_b16 v48, v54
	ds_load_u16 v54, v51
	s_waitcnt lgkmcnt(0)
	v_add_nc_u16 v56, v54, 1
	ds_store_b16 v51, v56
	ds_load_u16 v56, v53
	;; [unrolled: 4-line block ×4, first 2 shown]
	v_lshlrev_b64 v[59:60], s10, v[21:22]
	s_delay_alu instid0(VALU_DEP_1) | instskip(SKIP_1) | instid1(VALU_DEP_2)
	v_lshrrev_b32_e32 v59, 21, v60
	v_lshrrev_b32_e32 v60, 30, v60
	v_and_or_b32 v59, 0x380, v59, v0
	s_delay_alu instid0(VALU_DEP_2) | instskip(NEXT) | instid1(VALU_DEP_1)
	v_and_b32_e32 v60, 2, v60
	v_lshl_or_b32 v60, v59, 2, v60
	v_lshrrev_b32_e32 v59, 21, v65
	s_waitcnt lgkmcnt(0)
	v_add_nc_u16 v62, v61, 1
	s_delay_alu instid0(VALU_DEP_2) | instskip(SKIP_3) | instid1(VALU_DEP_1)
	v_and_or_b32 v59, 0x380, v59, v0
	ds_store_b16 v57, v62
	ds_load_u16 v63, v60
	v_lshrrev_b32_e32 v62, 30, v65
	v_and_b32_e32 v62, 2, v62
	s_delay_alu instid0(VALU_DEP_1)
	v_lshl_or_b32 v64, v59, 2, v62
	s_waitcnt lgkmcnt(0)
	v_add_nc_u16 v65, v63, 1
	ds_store_b16 v60, v65
	ds_load_u16 v59, v64
	v_lshlrev_b64 v[65:66], s10, v[25:26]
	s_delay_alu instid0(VALU_DEP_1) | instskip(SKIP_1) | instid1(VALU_DEP_2)
	v_lshrrev_b32_e32 v62, 21, v66
	v_lshrrev_b32_e32 v65, 30, v66
	v_and_or_b32 v62, 0x380, v62, v0
	s_delay_alu instid0(VALU_DEP_2) | instskip(NEXT) | instid1(VALU_DEP_1)
	v_and_b32_e32 v65, 2, v65
	v_lshl_or_b32 v66, v62, 2, v65
	s_waitcnt lgkmcnt(0)
	v_add_nc_u16 v67, v59, 1
	ds_store_b16 v64, v67
	ds_load_u16 v62, v66
	v_lshlrev_b64 v[67:68], s10, v[27:28]
	s_delay_alu instid0(VALU_DEP_1) | instskip(SKIP_1) | instid1(VALU_DEP_2)
	v_lshrrev_b32_e32 v65, 21, v68
	v_lshrrev_b32_e32 v67, 30, v68
	v_and_or_b32 v65, 0x380, v65, v0
	s_delay_alu instid0(VALU_DEP_2) | instskip(NEXT) | instid1(VALU_DEP_1)
	v_and_b32_e32 v67, 2, v67
	;; [unrolled: 12-line block ×4, first 2 shown]
	v_lshl_or_b32 v71, v69, 2, v71
	s_waitcnt lgkmcnt(0)
	v_add_nc_u16 v72, v67, 1
	ds_store_b16 v70, v72
	ds_load_u16 v69, v71
	s_waitcnt lgkmcnt(0)
	v_add_nc_u16 v72, v69, 1
	ds_store_b16 v71, v72
	s_waitcnt lgkmcnt(0)
	s_barrier
	buffer_gl0_inv
	ds_load_2addr_b32 v[72:73], v35 offset1:1
	ds_load_2addr_b32 v[74:75], v35 offset0:2 offset1:3
	ds_load_2addr_b32 v[76:77], v35 offset0:4 offset1:5
	ds_load_2addr_b32 v[78:79], v35 offset0:6 offset1:7
	s_waitcnt lgkmcnt(3)
	v_add_nc_u32_e32 v72, v73, v72
	s_waitcnt lgkmcnt(2)
	s_delay_alu instid0(VALU_DEP_1) | instskip(SKIP_1) | instid1(VALU_DEP_1)
	v_add3_u32 v72, v72, v74, v75
	s_waitcnt lgkmcnt(1)
	v_add3_u32 v72, v72, v76, v77
	s_waitcnt lgkmcnt(0)
	s_delay_alu instid0(VALU_DEP_1) | instskip(NEXT) | instid1(VALU_DEP_1)
	v_add3_u32 v72, v72, v78, v79
	v_mov_b32_dpp v73, v72 row_shr:1 row_mask:0xf bank_mask:0xf
	s_delay_alu instid0(VALU_DEP_1) | instskip(NEXT) | instid1(VALU_DEP_1)
	v_cndmask_b32_e64 v73, v73, 0, s2
	v_add_nc_u32_e32 v72, v73, v72
	s_delay_alu instid0(VALU_DEP_1) | instskip(NEXT) | instid1(VALU_DEP_1)
	v_mov_b32_dpp v73, v72 row_shr:2 row_mask:0xf bank_mask:0xf
	v_cndmask_b32_e64 v73, 0, v73, s3
	s_delay_alu instid0(VALU_DEP_1) | instskip(NEXT) | instid1(VALU_DEP_1)
	v_add_nc_u32_e32 v72, v72, v73
	v_mov_b32_dpp v73, v72 row_shr:4 row_mask:0xf bank_mask:0xf
	s_delay_alu instid0(VALU_DEP_1) | instskip(NEXT) | instid1(VALU_DEP_1)
	v_cndmask_b32_e64 v73, 0, v73, s4
	v_add_nc_u32_e32 v72, v72, v73
	s_delay_alu instid0(VALU_DEP_1) | instskip(NEXT) | instid1(VALU_DEP_1)
	v_mov_b32_dpp v73, v72 row_shr:8 row_mask:0xf bank_mask:0xf
	v_cndmask_b32_e64 v73, 0, v73, s5
	s_delay_alu instid0(VALU_DEP_1) | instskip(SKIP_3) | instid1(VALU_DEP_1)
	v_add_nc_u32_e32 v72, v72, v73
	ds_swizzle_b32 v73, v72 offset:swizzle(BROADCAST,32,15)
	s_waitcnt lgkmcnt(0)
	v_cndmask_b32_e64 v73, v73, 0, s6
	v_add_nc_u32_e32 v72, v72, v73
	s_and_saveexec_b32 s10, s7
	s_cbranch_execz .LBB99_8
; %bb.7:                                ;   in Loop: Header=BB99_4 Depth=2
	ds_store_b32 v37, v72 offset:4096
.LBB99_8:                               ;   in Loop: Header=BB99_4 Depth=2
	s_or_b32 exec_lo, exec_lo, s10
	s_waitcnt lgkmcnt(0)
	s_barrier
	buffer_gl0_inv
	s_and_saveexec_b32 s10, vcc_lo
	s_cbranch_execz .LBB99_10
; %bb.9:                                ;   in Loop: Header=BB99_4 Depth=2
	ds_load_b32 v73, v36 offset:4096
	s_waitcnt lgkmcnt(0)
	v_mov_b32_dpp v74, v73 row_shr:1 row_mask:0xf bank_mask:0xf
	s_delay_alu instid0(VALU_DEP_1) | instskip(NEXT) | instid1(VALU_DEP_1)
	v_cndmask_b32_e64 v74, v74, 0, s8
	v_add_nc_u32_e32 v73, v74, v73
	s_delay_alu instid0(VALU_DEP_1) | instskip(NEXT) | instid1(VALU_DEP_1)
	v_mov_b32_dpp v74, v73 row_shr:2 row_mask:0xf bank_mask:0xf
	v_cndmask_b32_e64 v74, 0, v74, s9
	s_delay_alu instid0(VALU_DEP_1)
	v_add_nc_u32_e32 v73, v73, v74
	ds_store_b32 v36, v73 offset:4096
.LBB99_10:                              ;   in Loop: Header=BB99_4 Depth=2
	s_or_b32 exec_lo, exec_lo, s10
	v_mov_b32_e32 v73, 0
	s_waitcnt lgkmcnt(0)
	s_barrier
	buffer_gl0_inv
	s_and_saveexec_b32 s10, s0
	s_cbranch_execz .LBB99_3
; %bb.11:                               ;   in Loop: Header=BB99_4 Depth=2
	ds_load_b32 v73, v37 offset:4092
	s_branch .LBB99_3
.LBB99_12:
	ds_load_u16 v0, v71
	ds_load_u16 v1, v70
	;; [unrolled: 1-line block ×16, first 2 shown]
	v_and_b32_e32 v8, 0xffff, v43
	v_and_b32_e32 v12, 0xffff, v45
	;; [unrolled: 1-line block ×16, first 2 shown]
	s_waitcnt lgkmcnt(15)
	v_add_nc_u32_e32 v3, v0, v2
	s_waitcnt lgkmcnt(14)
	v_add_nc_u32_e32 v2, v1, v29
	;; [unrolled: 2-line block ×9, first 2 shown]
	s_lshl_b64 s[0:1], s[12:13], 2
	v_lshlrev_b32_e32 v17, 2, v33
	v_add_nc_u32_e32 v11, v21, v11
	v_add_nc_u32_e32 v10, v22, v10
	;; [unrolled: 1-line block ×7, first 2 shown]
	s_add_u32 s0, s18, s0
	s_addc_u32 s1, s19, s1
	s_clause 0x3
	global_store_b128 v17, v[12:15], s[0:1]
	global_store_b128 v17, v[8:11], s[0:1] offset:16
	global_store_b128 v17, v[4:7], s[0:1] offset:32
	;; [unrolled: 1-line block ×3, first 2 shown]
	s_nop 0
	s_sendmsg sendmsg(MSG_DEALLOC_VGPRS)
	s_endpgm
	.section	.rodata,"a",@progbits
	.p2align	6, 0x0
	.amdhsa_kernel _Z11rank_kernelIxLj4ELb0EL18RadixRankAlgorithm0ELj128ELj16ELj10EEvPKT_Pi
		.amdhsa_group_segment_fixed_size 4112
		.amdhsa_private_segment_fixed_size 0
		.amdhsa_kernarg_size 16
		.amdhsa_user_sgpr_count 15
		.amdhsa_user_sgpr_dispatch_ptr 0
		.amdhsa_user_sgpr_queue_ptr 0
		.amdhsa_user_sgpr_kernarg_segment_ptr 1
		.amdhsa_user_sgpr_dispatch_id 0
		.amdhsa_user_sgpr_private_segment_size 0
		.amdhsa_wavefront_size32 1
		.amdhsa_uses_dynamic_stack 0
		.amdhsa_enable_private_segment 0
		.amdhsa_system_sgpr_workgroup_id_x 1
		.amdhsa_system_sgpr_workgroup_id_y 0
		.amdhsa_system_sgpr_workgroup_id_z 0
		.amdhsa_system_sgpr_workgroup_info 0
		.amdhsa_system_vgpr_workitem_id 0
		.amdhsa_next_free_vgpr 80
		.amdhsa_next_free_sgpr 20
		.amdhsa_reserve_vcc 1
		.amdhsa_float_round_mode_32 0
		.amdhsa_float_round_mode_16_64 0
		.amdhsa_float_denorm_mode_32 3
		.amdhsa_float_denorm_mode_16_64 3
		.amdhsa_dx10_clamp 1
		.amdhsa_ieee_mode 1
		.amdhsa_fp16_overflow 0
		.amdhsa_workgroup_processor_mode 1
		.amdhsa_memory_ordered 1
		.amdhsa_forward_progress 0
		.amdhsa_shared_vgpr_count 0
		.amdhsa_exception_fp_ieee_invalid_op 0
		.amdhsa_exception_fp_denorm_src 0
		.amdhsa_exception_fp_ieee_div_zero 0
		.amdhsa_exception_fp_ieee_overflow 0
		.amdhsa_exception_fp_ieee_underflow 0
		.amdhsa_exception_fp_ieee_inexact 0
		.amdhsa_exception_int_div_zero 0
	.end_amdhsa_kernel
	.section	.text._Z11rank_kernelIxLj4ELb0EL18RadixRankAlgorithm0ELj128ELj16ELj10EEvPKT_Pi,"axG",@progbits,_Z11rank_kernelIxLj4ELb0EL18RadixRankAlgorithm0ELj128ELj16ELj10EEvPKT_Pi,comdat
.Lfunc_end99:
	.size	_Z11rank_kernelIxLj4ELb0EL18RadixRankAlgorithm0ELj128ELj16ELj10EEvPKT_Pi, .Lfunc_end99-_Z11rank_kernelIxLj4ELb0EL18RadixRankAlgorithm0ELj128ELj16ELj10EEvPKT_Pi
                                        ; -- End function
	.section	.AMDGPU.csdata,"",@progbits
; Kernel info:
; codeLenInByte = 2728
; NumSgprs: 22
; NumVgprs: 80
; ScratchSize: 0
; MemoryBound: 0
; FloatMode: 240
; IeeeMode: 1
; LDSByteSize: 4112 bytes/workgroup (compile time only)
; SGPRBlocks: 2
; VGPRBlocks: 9
; NumSGPRsForWavesPerEU: 22
; NumVGPRsForWavesPerEU: 80
; Occupancy: 16
; WaveLimiterHint : 0
; COMPUTE_PGM_RSRC2:SCRATCH_EN: 0
; COMPUTE_PGM_RSRC2:USER_SGPR: 15
; COMPUTE_PGM_RSRC2:TRAP_HANDLER: 0
; COMPUTE_PGM_RSRC2:TGID_X_EN: 1
; COMPUTE_PGM_RSRC2:TGID_Y_EN: 0
; COMPUTE_PGM_RSRC2:TGID_Z_EN: 0
; COMPUTE_PGM_RSRC2:TIDIG_COMP_CNT: 0
	.section	.text._Z11rank_kernelIxLj4ELb0EL18RadixRankAlgorithm1ELj128ELj16ELj10EEvPKT_Pi,"axG",@progbits,_Z11rank_kernelIxLj4ELb0EL18RadixRankAlgorithm1ELj128ELj16ELj10EEvPKT_Pi,comdat
	.protected	_Z11rank_kernelIxLj4ELb0EL18RadixRankAlgorithm1ELj128ELj16ELj10EEvPKT_Pi ; -- Begin function _Z11rank_kernelIxLj4ELb0EL18RadixRankAlgorithm1ELj128ELj16ELj10EEvPKT_Pi
	.globl	_Z11rank_kernelIxLj4ELb0EL18RadixRankAlgorithm1ELj128ELj16ELj10EEvPKT_Pi
	.p2align	8
	.type	_Z11rank_kernelIxLj4ELb0EL18RadixRankAlgorithm1ELj128ELj16ELj10EEvPKT_Pi,@function
_Z11rank_kernelIxLj4ELb0EL18RadixRankAlgorithm1ELj128ELj16ELj10EEvPKT_Pi: ; @_Z11rank_kernelIxLj4ELb0EL18RadixRankAlgorithm1ELj128ELj16ELj10EEvPKT_Pi
; %bb.0:
	s_load_b128 s[16:19], s[0:1], 0x0
	s_mov_b32 s13, 0
	s_lshl_b32 s12, s15, 11
	v_dual_mov_b32 v42, 0 :: v_dual_lshlrev_b32 v29, 7, v0
	s_lshl_b64 s[0:1], s[12:13], 3
	v_mbcnt_lo_u32_b32 v33, -1, 0
	v_or_b32_e32 v36, 31, v0
	v_lshrrev_b32_e32 v38, 3, v0
	v_lshlrev_b32_e32 v41, 4, v0
	v_lshlrev_b32_e32 v43, 5, v0
	v_add_nc_u32_e32 v37, -1, v33
	v_and_b32_e32 v34, 15, v33
	v_and_b32_e32 v35, 16, v33
	;; [unrolled: 1-line block ×3, first 2 shown]
	v_cmp_gt_u32_e32 vcc_lo, 4, v0
	v_cmp_gt_i32_e64 s7, 0, v37
	v_lshlrev_b32_e32 v44, 2, v0
	v_cmp_eq_u32_e64 s2, 0, v34
	v_cmp_lt_u32_e64 s3, 1, v34
	s_waitcnt lgkmcnt(0)
	s_add_u32 s0, s16, s0
	s_addc_u32 s1, s17, s1
	v_cmp_lt_u32_e64 s4, 3, v34
	s_clause 0x7
	global_load_b128 v[1:4], v29, s[0:1]
	global_load_b128 v[5:8], v29, s[0:1] offset:16
	global_load_b128 v[9:12], v29, s[0:1] offset:32
	;; [unrolled: 1-line block ×7, first 2 shown]
	v_cmp_eq_u32_e64 s1, 0, v33
	v_cndmask_b32_e64 v33, v37, v33, s7
	v_cmp_lt_u32_e64 s0, 31, v0
	v_cmp_lt_u32_e64 s5, 7, v34
	v_cmp_eq_u32_e64 s6, 0, v35
	v_cmp_eq_u32_e64 s7, v36, v0
	v_and_b32_e32 v45, 12, v38
	v_cmp_eq_u32_e64 s8, 0, v39
	v_cmp_lt_u32_e64 s9, 1, v39
	v_lshlrev_b32_e32 v46, 2, v33
	v_or_b32_e32 v47, 0xffffff80, v0
	s_mov_b32 s11, s13
	s_waitcnt vmcnt(7)
	v_xor_b32_e32 v2, 0x80000000, v2
	v_xor_b32_e32 v4, 0x80000000, v4
	s_waitcnt vmcnt(6)
	v_xor_b32_e32 v6, 0x80000000, v6
	v_xor_b32_e32 v8, 0x80000000, v8
	;; [unrolled: 3-line block ×8, first 2 shown]
	s_branch .LBB100_2
.LBB100_1:                              ;   in Loop: Header=BB100_2 Depth=1
	s_add_i32 s11, s11, 1
	s_delay_alu instid0(SALU_CYCLE_1)
	s_cmp_eq_u32 s11, 10
	s_cbranch_scc1 .LBB100_12
.LBB100_2:                              ; =>This Loop Header: Depth=1
                                        ;     Child Loop BB100_4 Depth 2
                                        ;       Child Loop BB100_5 Depth 3
	s_mov_b32 s14, 0
	s_branch .LBB100_4
.LBB100_3:                              ;   in Loop: Header=BB100_4 Depth=2
	s_or_b32 exec_lo, exec_lo, s10
	s_waitcnt lgkmcnt(0)
	v_add_nc_u32_e32 v34, v80, v34
	ds_load_b32 v81, v42 offset:4108
	s_add_i32 s10, s14, 4
	s_cmp_lt_u32 s14, 60
	s_mov_b32 s14, s10
	ds_bpermute_b32 v34, v46, v34
	s_waitcnt lgkmcnt(0)
	v_cndmask_b32_e64 v34, v34, v80, s1
	s_delay_alu instid0(VALU_DEP_1) | instskip(NEXT) | instid1(VALU_DEP_1)
	v_lshl_add_u32 v34, v81, 16, v34
	v_add_nc_u32_e32 v39, v34, v39
	s_delay_alu instid0(VALU_DEP_1) | instskip(NEXT) | instid1(VALU_DEP_1)
	v_add_nc_u32_e32 v40, v39, v40
	v_add_nc_u32_e32 v37, v40, v37
	s_delay_alu instid0(VALU_DEP_1) | instskip(NEXT) | instid1(VALU_DEP_1)
	v_add_nc_u32_e32 v38, v37, v38
	;; [unrolled: 3-line block ×3, first 2 shown]
	v_add_nc_u32_e32 v33, v36, v33
	ds_store_2addr_b32 v43, v34, v39 offset1:1
	ds_store_2addr_b32 v43, v40, v37 offset0:2 offset1:3
	ds_store_2addr_b32 v43, v38, v35 offset0:4 offset1:5
	;; [unrolled: 1-line block ×3, first 2 shown]
	s_waitcnt lgkmcnt(0)
	s_barrier
	buffer_gl0_inv
	s_cbranch_scc0 .LBB100_1
.LBB100_4:                              ;   Parent Loop BB100_2 Depth=1
                                        ; =>  This Loop Header: Depth=2
                                        ;       Child Loop BB100_5 Depth 3
	v_dual_mov_b32 v33, v47 :: v_dual_mov_b32 v34, v44
	s_mov_b32 s15, 0
.LBB100_5:                              ;   Parent Loop BB100_2 Depth=1
                                        ;     Parent Loop BB100_4 Depth=2
                                        ; =>    This Inner Loop Header: Depth=3
	s_delay_alu instid0(VALU_DEP_1) | instskip(SKIP_3) | instid1(VALU_DEP_1)
	v_add_nc_u32_e32 v33, 0x80, v33
	ds_store_b32 v34, v42
	v_add_nc_u32_e32 v34, 0x200, v34
	v_cmp_lt_u32_e64 s10, 0x37f, v33
	s_or_b32 s15, s10, s15
	s_delay_alu instid0(SALU_CYCLE_1)
	s_and_not1_b32 exec_lo, exec_lo, s15
	s_cbranch_execnz .LBB100_5
; %bb.6:                                ;   in Loop: Header=BB100_4 Depth=2
	s_or_b32 exec_lo, exec_lo, s15
	s_sub_i32 s10, 60, s14
	s_delay_alu instid0(SALU_CYCLE_1) | instskip(NEXT) | instid1(VALU_DEP_1)
	v_lshlrev_b64 v[33:34], s10, v[1:2]
	v_lshrrev_b32_e32 v33, 21, v34
	v_lshrrev_b32_e32 v34, 30, v34
	s_delay_alu instid0(VALU_DEP_2) | instskip(NEXT) | instid1(VALU_DEP_2)
	v_and_or_b32 v33, 0x380, v33, v0
	v_and_b32_e32 v34, 2, v34
	s_delay_alu instid0(VALU_DEP_1) | instskip(SKIP_4) | instid1(VALU_DEP_2)
	v_lshl_or_b32 v48, v33, 2, v34
	v_lshlrev_b64 v[33:34], s10, v[3:4]
	ds_load_u16 v51, v48
	v_lshrrev_b32_e32 v33, 21, v34
	v_lshrrev_b32_e32 v34, 30, v34
	v_and_or_b32 v33, 0x380, v33, v0
	s_delay_alu instid0(VALU_DEP_2) | instskip(NEXT) | instid1(VALU_DEP_1)
	v_and_b32_e32 v34, 2, v34
	v_lshl_or_b32 v49, v33, 2, v34
	v_lshlrev_b64 v[33:34], s10, v[5:6]
	s_delay_alu instid0(VALU_DEP_1) | instskip(SKIP_3) | instid1(VALU_DEP_3)
	v_lshrrev_b32_e32 v33, 21, v34
	s_waitcnt lgkmcnt(0)
	v_add_nc_u16 v35, v51, 1
	v_lshrrev_b32_e32 v34, 30, v34
	v_and_or_b32 v33, 0x380, v33, v0
	ds_store_b16 v48, v35
	ds_load_u16 v53, v49
	v_and_b32_e32 v34, 2, v34
	s_delay_alu instid0(VALU_DEP_1) | instskip(SKIP_1) | instid1(VALU_DEP_1)
	v_lshl_or_b32 v50, v33, 2, v34
	v_lshlrev_b64 v[33:34], s10, v[7:8]
	v_lshrrev_b32_e32 v33, 21, v34
	v_lshrrev_b32_e32 v34, 30, v34
	s_delay_alu instid0(VALU_DEP_2) | instskip(NEXT) | instid1(VALU_DEP_2)
	v_and_or_b32 v33, 0x380, v33, v0
	v_and_b32_e32 v34, 2, v34
	s_waitcnt lgkmcnt(0)
	v_add_nc_u16 v35, v53, 1
	s_delay_alu instid0(VALU_DEP_2) | instskip(SKIP_3) | instid1(VALU_DEP_1)
	v_lshl_or_b32 v52, v33, 2, v34
	ds_store_b16 v49, v35
	ds_load_u16 v55, v50
	v_lshlrev_b64 v[33:34], s10, v[9:10]
	v_lshrrev_b32_e32 v33, 21, v34
	v_lshrrev_b32_e32 v34, 30, v34
	s_delay_alu instid0(VALU_DEP_2) | instskip(NEXT) | instid1(VALU_DEP_2)
	v_and_or_b32 v33, 0x380, v33, v0
	v_and_b32_e32 v34, 2, v34
	s_delay_alu instid0(VALU_DEP_1) | instskip(SKIP_3) | instid1(VALU_DEP_2)
	v_lshl_or_b32 v54, v33, 2, v34
	v_lshlrev_b64 v[33:34], s10, v[11:12]
	s_waitcnt lgkmcnt(0)
	v_add_nc_u16 v35, v55, 1
	v_lshrrev_b32_e32 v33, 21, v34
	ds_store_b16 v50, v35
	ds_load_u16 v57, v52
	v_lshrrev_b32_e32 v34, 30, v34
	v_and_or_b32 v33, 0x380, v33, v0
	s_delay_alu instid0(VALU_DEP_2) | instskip(NEXT) | instid1(VALU_DEP_1)
	v_and_b32_e32 v34, 2, v34
	v_lshl_or_b32 v56, v33, 2, v34
	v_lshlrev_b64 v[33:34], s10, v[13:14]
	s_delay_alu instid0(VALU_DEP_1) | instskip(SKIP_3) | instid1(VALU_DEP_3)
	v_lshrrev_b32_e32 v33, 21, v34
	v_lshrrev_b32_e32 v34, 30, v34
	s_waitcnt lgkmcnt(0)
	v_add_nc_u16 v35, v57, 1
	v_and_or_b32 v33, 0x380, v33, v0
	s_delay_alu instid0(VALU_DEP_3) | instskip(SKIP_4) | instid1(VALU_DEP_1)
	v_and_b32_e32 v34, 2, v34
	ds_store_b16 v52, v35
	ds_load_u16 v58, v54
	v_lshl_or_b32 v59, v33, 2, v34
	v_lshlrev_b64 v[33:34], s10, v[15:16]
	v_lshrrev_b32_e32 v33, 21, v34
	v_lshrrev_b32_e32 v34, 30, v34
	s_delay_alu instid0(VALU_DEP_2) | instskip(NEXT) | instid1(VALU_DEP_2)
	v_and_or_b32 v33, 0x380, v33, v0
	v_and_b32_e32 v34, 2, v34
	s_waitcnt lgkmcnt(0)
	v_add_nc_u16 v35, v58, 1
	s_delay_alu instid0(VALU_DEP_2)
	v_lshl_or_b32 v61, v33, 2, v34
	v_lshlrev_b64 v[33:34], s10, v[17:18]
	ds_store_b16 v54, v35
	ds_load_u16 v60, v56
	v_lshrrev_b32_e32 v33, 21, v34
	v_lshrrev_b32_e32 v34, 30, v34
	s_delay_alu instid0(VALU_DEP_2) | instskip(NEXT) | instid1(VALU_DEP_2)
	v_and_or_b32 v33, 0x380, v33, v0
	v_and_b32_e32 v34, 2, v34
	s_delay_alu instid0(VALU_DEP_1) | instskip(SKIP_1) | instid1(VALU_DEP_1)
	v_lshl_or_b32 v63, v33, 2, v34
	v_lshlrev_b64 v[33:34], s10, v[19:20]
	v_lshrrev_b32_e32 v33, 21, v34
	s_waitcnt lgkmcnt(0)
	v_add_nc_u16 v35, v60, 1
	v_lshrrev_b32_e32 v34, 30, v34
	s_delay_alu instid0(VALU_DEP_3) | instskip(SKIP_3) | instid1(VALU_DEP_1)
	v_and_or_b32 v33, 0x380, v33, v0
	ds_store_b16 v56, v35
	ds_load_u16 v62, v59
	v_and_b32_e32 v34, 2, v34
	v_lshl_or_b32 v65, v33, 2, v34
	v_lshlrev_b64 v[33:34], s10, v[21:22]
	s_delay_alu instid0(VALU_DEP_1) | instskip(SKIP_1) | instid1(VALU_DEP_2)
	v_lshrrev_b32_e32 v33, 21, v34
	v_lshrrev_b32_e32 v34, 30, v34
	v_and_or_b32 v33, 0x380, v33, v0
	s_delay_alu instid0(VALU_DEP_2) | instskip(SKIP_2) | instid1(VALU_DEP_2)
	v_and_b32_e32 v34, 2, v34
	s_waitcnt lgkmcnt(0)
	v_add_nc_u16 v35, v62, 1
	v_lshl_or_b32 v68, v33, 2, v34
	ds_store_b16 v59, v35
	ds_load_u16 v64, v61
	v_lshlrev_b64 v[33:34], s10, v[23:24]
	s_delay_alu instid0(VALU_DEP_1) | instskip(SKIP_1) | instid1(VALU_DEP_2)
	v_lshrrev_b32_e32 v33, 21, v34
	v_lshrrev_b32_e32 v34, 30, v34
	v_and_or_b32 v33, 0x380, v33, v0
	s_delay_alu instid0(VALU_DEP_2) | instskip(NEXT) | instid1(VALU_DEP_1)
	v_and_b32_e32 v34, 2, v34
	v_lshl_or_b32 v72, v33, 2, v34
	v_lshlrev_b64 v[33:34], s10, v[25:26]
	s_waitcnt lgkmcnt(0)
	v_add_nc_u16 v35, v64, 1
	ds_store_b16 v61, v35
	ds_load_u16 v66, v63
	v_lshrrev_b32_e32 v33, 21, v34
	v_lshrrev_b32_e32 v34, 30, v34
	s_delay_alu instid0(VALU_DEP_2) | instskip(NEXT) | instid1(VALU_DEP_2)
	v_and_or_b32 v33, 0x380, v33, v0
	v_and_b32_e32 v34, 2, v34
	s_delay_alu instid0(VALU_DEP_1) | instskip(SKIP_1) | instid1(VALU_DEP_1)
	v_lshl_or_b32 v74, v33, 2, v34
	v_lshlrev_b64 v[33:34], s10, v[27:28]
	v_lshrrev_b32_e32 v33, 21, v34
	s_waitcnt lgkmcnt(0)
	v_add_nc_u16 v35, v66, 1
	v_lshrrev_b32_e32 v34, 30, v34
	s_delay_alu instid0(VALU_DEP_3) | instskip(SKIP_3) | instid1(VALU_DEP_1)
	v_and_or_b32 v33, 0x380, v33, v0
	ds_store_b16 v63, v35
	ds_load_u16 v69, v65
	v_and_b32_e32 v34, 2, v34
	v_lshl_or_b32 v76, v33, 2, v34
	v_lshlrev_b64 v[33:34], s10, v[29:30]
	s_delay_alu instid0(VALU_DEP_1) | instskip(SKIP_1) | instid1(VALU_DEP_2)
	v_lshrrev_b32_e32 v33, 21, v34
	v_lshrrev_b32_e32 v34, 30, v34
	v_and_or_b32 v33, 0x380, v33, v0
	s_delay_alu instid0(VALU_DEP_2) | instskip(SKIP_2) | instid1(VALU_DEP_2)
	v_and_b32_e32 v34, 2, v34
	s_waitcnt lgkmcnt(0)
	v_add_nc_u16 v35, v69, 1
	v_lshl_or_b32 v78, v33, 2, v34
	ds_store_b16 v65, v35
	ds_load_u16 v71, v68
	v_lshlrev_b64 v[33:34], s10, v[31:32]
	s_delay_alu instid0(VALU_DEP_1) | instskip(SKIP_1) | instid1(VALU_DEP_2)
	v_lshrrev_b32_e32 v33, 21, v34
	v_lshrrev_b32_e32 v34, 30, v34
	v_and_or_b32 v33, 0x380, v33, v0
	s_delay_alu instid0(VALU_DEP_2) | instskip(NEXT) | instid1(VALU_DEP_1)
	v_and_b32_e32 v34, 2, v34
	v_lshl_or_b32 v79, v33, 2, v34
	s_waitcnt lgkmcnt(0)
	v_add_nc_u16 v35, v71, 1
	ds_store_b16 v68, v35
	ds_load_u16 v67, v72
	s_waitcnt lgkmcnt(0)
	v_add_nc_u16 v35, v67, 1
	ds_store_b16 v72, v35
	ds_load_u16 v70, v74
	;; [unrolled: 4-line block ×5, first 2 shown]
	s_waitcnt lgkmcnt(0)
	v_add_nc_u16 v33, v77, 1
	ds_store_b16 v79, v33
	s_waitcnt lgkmcnt(0)
	s_barrier
	buffer_gl0_inv
	ds_load_2addr_b32 v[39:40], v43 offset1:1
	ds_load_2addr_b32 v[37:38], v43 offset0:2 offset1:3
	ds_load_2addr_b32 v[35:36], v43 offset0:4 offset1:5
	;; [unrolled: 1-line block ×3, first 2 shown]
	s_waitcnt lgkmcnt(3)
	v_add_nc_u32_e32 v80, v40, v39
	s_waitcnt lgkmcnt(2)
	s_delay_alu instid0(VALU_DEP_1) | instskip(SKIP_1) | instid1(VALU_DEP_1)
	v_add3_u32 v80, v80, v37, v38
	s_waitcnt lgkmcnt(1)
	v_add3_u32 v80, v80, v35, v36
	s_waitcnt lgkmcnt(0)
	s_delay_alu instid0(VALU_DEP_1) | instskip(NEXT) | instid1(VALU_DEP_1)
	v_add3_u32 v34, v80, v33, v34
	v_mov_b32_dpp v80, v34 row_shr:1 row_mask:0xf bank_mask:0xf
	s_delay_alu instid0(VALU_DEP_1) | instskip(NEXT) | instid1(VALU_DEP_1)
	v_cndmask_b32_e64 v80, v80, 0, s2
	v_add_nc_u32_e32 v34, v80, v34
	s_delay_alu instid0(VALU_DEP_1) | instskip(NEXT) | instid1(VALU_DEP_1)
	v_mov_b32_dpp v80, v34 row_shr:2 row_mask:0xf bank_mask:0xf
	v_cndmask_b32_e64 v80, 0, v80, s3
	s_delay_alu instid0(VALU_DEP_1) | instskip(NEXT) | instid1(VALU_DEP_1)
	v_add_nc_u32_e32 v34, v34, v80
	v_mov_b32_dpp v80, v34 row_shr:4 row_mask:0xf bank_mask:0xf
	s_delay_alu instid0(VALU_DEP_1) | instskip(NEXT) | instid1(VALU_DEP_1)
	v_cndmask_b32_e64 v80, 0, v80, s4
	v_add_nc_u32_e32 v34, v34, v80
	s_delay_alu instid0(VALU_DEP_1) | instskip(NEXT) | instid1(VALU_DEP_1)
	v_mov_b32_dpp v80, v34 row_shr:8 row_mask:0xf bank_mask:0xf
	v_cndmask_b32_e64 v80, 0, v80, s5
	s_delay_alu instid0(VALU_DEP_1) | instskip(SKIP_3) | instid1(VALU_DEP_1)
	v_add_nc_u32_e32 v34, v34, v80
	ds_swizzle_b32 v80, v34 offset:swizzle(BROADCAST,32,15)
	s_waitcnt lgkmcnt(0)
	v_cndmask_b32_e64 v80, v80, 0, s6
	v_add_nc_u32_e32 v34, v34, v80
	s_and_saveexec_b32 s10, s7
	s_cbranch_execz .LBB100_8
; %bb.7:                                ;   in Loop: Header=BB100_4 Depth=2
	ds_store_b32 v45, v34 offset:4096
.LBB100_8:                              ;   in Loop: Header=BB100_4 Depth=2
	s_or_b32 exec_lo, exec_lo, s10
	s_waitcnt lgkmcnt(0)
	s_barrier
	buffer_gl0_inv
	s_and_saveexec_b32 s10, vcc_lo
	s_cbranch_execz .LBB100_10
; %bb.9:                                ;   in Loop: Header=BB100_4 Depth=2
	ds_load_b32 v80, v44 offset:4096
	s_waitcnt lgkmcnt(0)
	v_mov_b32_dpp v81, v80 row_shr:1 row_mask:0xf bank_mask:0xf
	s_delay_alu instid0(VALU_DEP_1) | instskip(NEXT) | instid1(VALU_DEP_1)
	v_cndmask_b32_e64 v81, v81, 0, s8
	v_add_nc_u32_e32 v80, v81, v80
	s_delay_alu instid0(VALU_DEP_1) | instskip(NEXT) | instid1(VALU_DEP_1)
	v_mov_b32_dpp v81, v80 row_shr:2 row_mask:0xf bank_mask:0xf
	v_cndmask_b32_e64 v81, 0, v81, s9
	s_delay_alu instid0(VALU_DEP_1)
	v_add_nc_u32_e32 v80, v80, v81
	ds_store_b32 v44, v80 offset:4096
.LBB100_10:                             ;   in Loop: Header=BB100_4 Depth=2
	s_or_b32 exec_lo, exec_lo, s10
	v_mov_b32_e32 v80, 0
	s_waitcnt lgkmcnt(0)
	s_barrier
	buffer_gl0_inv
	s_and_saveexec_b32 s10, s0
	s_cbranch_execz .LBB100_3
; %bb.11:                               ;   in Loop: Header=BB100_4 Depth=2
	ds_load_b32 v80, v45 offset:4092
	s_branch .LBB100_3
.LBB100_12:
	ds_load_u16 v0, v79
	ds_load_u16 v1, v78
	;; [unrolled: 1-line block ×16, first 2 shown]
	v_and_b32_e32 v8, 0xffff, v51
	v_and_b32_e32 v12, 0xffff, v53
	;; [unrolled: 1-line block ×16, first 2 shown]
	s_waitcnt lgkmcnt(15)
	v_add_nc_u32_e32 v3, v0, v2
	s_waitcnt lgkmcnt(14)
	v_add_nc_u32_e32 v2, v1, v29
	;; [unrolled: 2-line block ×9, first 2 shown]
	s_lshl_b64 s[0:1], s[12:13], 2
	v_lshlrev_b32_e32 v17, 2, v41
	v_add_nc_u32_e32 v11, v21, v11
	v_add_nc_u32_e32 v10, v22, v10
	;; [unrolled: 1-line block ×7, first 2 shown]
	s_add_u32 s0, s18, s0
	s_addc_u32 s1, s19, s1
	s_clause 0x3
	global_store_b128 v17, v[12:15], s[0:1]
	global_store_b128 v17, v[8:11], s[0:1] offset:16
	global_store_b128 v17, v[4:7], s[0:1] offset:32
	;; [unrolled: 1-line block ×3, first 2 shown]
	s_nop 0
	s_sendmsg sendmsg(MSG_DEALLOC_VGPRS)
	s_endpgm
	.section	.rodata,"a",@progbits
	.p2align	6, 0x0
	.amdhsa_kernel _Z11rank_kernelIxLj4ELb0EL18RadixRankAlgorithm1ELj128ELj16ELj10EEvPKT_Pi
		.amdhsa_group_segment_fixed_size 4112
		.amdhsa_private_segment_fixed_size 0
		.amdhsa_kernarg_size 16
		.amdhsa_user_sgpr_count 15
		.amdhsa_user_sgpr_dispatch_ptr 0
		.amdhsa_user_sgpr_queue_ptr 0
		.amdhsa_user_sgpr_kernarg_segment_ptr 1
		.amdhsa_user_sgpr_dispatch_id 0
		.amdhsa_user_sgpr_private_segment_size 0
		.amdhsa_wavefront_size32 1
		.amdhsa_uses_dynamic_stack 0
		.amdhsa_enable_private_segment 0
		.amdhsa_system_sgpr_workgroup_id_x 1
		.amdhsa_system_sgpr_workgroup_id_y 0
		.amdhsa_system_sgpr_workgroup_id_z 0
		.amdhsa_system_sgpr_workgroup_info 0
		.amdhsa_system_vgpr_workitem_id 0
		.amdhsa_next_free_vgpr 82
		.amdhsa_next_free_sgpr 20
		.amdhsa_reserve_vcc 1
		.amdhsa_float_round_mode_32 0
		.amdhsa_float_round_mode_16_64 0
		.amdhsa_float_denorm_mode_32 3
		.amdhsa_float_denorm_mode_16_64 3
		.amdhsa_dx10_clamp 1
		.amdhsa_ieee_mode 1
		.amdhsa_fp16_overflow 0
		.amdhsa_workgroup_processor_mode 1
		.amdhsa_memory_ordered 1
		.amdhsa_forward_progress 0
		.amdhsa_shared_vgpr_count 0
		.amdhsa_exception_fp_ieee_invalid_op 0
		.amdhsa_exception_fp_denorm_src 0
		.amdhsa_exception_fp_ieee_div_zero 0
		.amdhsa_exception_fp_ieee_overflow 0
		.amdhsa_exception_fp_ieee_underflow 0
		.amdhsa_exception_fp_ieee_inexact 0
		.amdhsa_exception_int_div_zero 0
	.end_amdhsa_kernel
	.section	.text._Z11rank_kernelIxLj4ELb0EL18RadixRankAlgorithm1ELj128ELj16ELj10EEvPKT_Pi,"axG",@progbits,_Z11rank_kernelIxLj4ELb0EL18RadixRankAlgorithm1ELj128ELj16ELj10EEvPKT_Pi,comdat
.Lfunc_end100:
	.size	_Z11rank_kernelIxLj4ELb0EL18RadixRankAlgorithm1ELj128ELj16ELj10EEvPKT_Pi, .Lfunc_end100-_Z11rank_kernelIxLj4ELb0EL18RadixRankAlgorithm1ELj128ELj16ELj10EEvPKT_Pi
                                        ; -- End function
	.section	.AMDGPU.csdata,"",@progbits
; Kernel info:
; codeLenInByte = 2704
; NumSgprs: 22
; NumVgprs: 82
; ScratchSize: 0
; MemoryBound: 0
; FloatMode: 240
; IeeeMode: 1
; LDSByteSize: 4112 bytes/workgroup (compile time only)
; SGPRBlocks: 2
; VGPRBlocks: 10
; NumSGPRsForWavesPerEU: 22
; NumVGPRsForWavesPerEU: 82
; Occupancy: 16
; WaveLimiterHint : 0
; COMPUTE_PGM_RSRC2:SCRATCH_EN: 0
; COMPUTE_PGM_RSRC2:USER_SGPR: 15
; COMPUTE_PGM_RSRC2:TRAP_HANDLER: 0
; COMPUTE_PGM_RSRC2:TGID_X_EN: 1
; COMPUTE_PGM_RSRC2:TGID_Y_EN: 0
; COMPUTE_PGM_RSRC2:TGID_Z_EN: 0
; COMPUTE_PGM_RSRC2:TIDIG_COMP_CNT: 0
	.section	.text._Z11rank_kernelIxLj4ELb0EL18RadixRankAlgorithm2ELj128ELj16ELj10EEvPKT_Pi,"axG",@progbits,_Z11rank_kernelIxLj4ELb0EL18RadixRankAlgorithm2ELj128ELj16ELj10EEvPKT_Pi,comdat
	.protected	_Z11rank_kernelIxLj4ELb0EL18RadixRankAlgorithm2ELj128ELj16ELj10EEvPKT_Pi ; -- Begin function _Z11rank_kernelIxLj4ELb0EL18RadixRankAlgorithm2ELj128ELj16ELj10EEvPKT_Pi
	.globl	_Z11rank_kernelIxLj4ELb0EL18RadixRankAlgorithm2ELj128ELj16ELj10EEvPKT_Pi
	.p2align	8
	.type	_Z11rank_kernelIxLj4ELb0EL18RadixRankAlgorithm2ELj128ELj16ELj10EEvPKT_Pi,@function
_Z11rank_kernelIxLj4ELb0EL18RadixRankAlgorithm2ELj128ELj16ELj10EEvPKT_Pi: ; @_Z11rank_kernelIxLj4ELb0EL18RadixRankAlgorithm2ELj128ELj16ELj10EEvPKT_Pi
; %bb.0:
	s_clause 0x1
	s_load_b128 s[16:19], s[0:1], 0x0
	s_load_b32 s7, s[0:1], 0x1c
	v_and_b32_e32 v35, 0x3ff, v0
	s_mov_b32 s13, 0
	s_lshl_b32 s12, s15, 11
	v_mbcnt_lo_u32_b32 v36, -1, 0
	s_lshl_b64 s[2:3], s[12:13], 3
	v_lshlrev_b32_e32 v29, 7, v35
	v_mov_b32_e32 v33, 0
	v_bfe_u32 v37, v0, 10, 10
	v_and_b32_e32 v40, 16, v36
	v_bfe_u32 v38, v0, 20, 10
	v_add_nc_u32_e32 v41, -1, v36
	v_and_b32_e32 v39, 15, v36
	v_cmp_eq_u32_e32 vcc_lo, 0, v36
	v_cmp_eq_u32_e64 s4, 0, v40
	v_and_b32_e32 v42, 3, v36
	v_lshlrev_b32_e32 v0, 4, v35
	v_lshlrev_b32_e32 v34, 2, v35
	v_cmp_lt_u32_e64 s6, 31, v35
	s_waitcnt lgkmcnt(0)
	s_add_u32 s0, s16, s2
	s_addc_u32 s1, s17, s3
	s_lshr_b32 s5, s7, 16
	s_clause 0x7
	global_load_b128 v[1:4], v29, s[0:1]
	global_load_b128 v[5:8], v29, s[0:1] offset:16
	global_load_b128 v[9:12], v29, s[0:1] offset:32
	;; [unrolled: 1-line block ×7, first 2 shown]
	v_mad_u32_u24 v40, v38, s5, v37
	s_and_b32 s7, s7, 0xffff
	v_cmp_eq_u32_e64 s0, 0, v39
	v_cmp_lt_u32_e64 s1, 1, v39
	v_cmp_lt_u32_e64 s2, 3, v39
	v_mad_u64_u32 v[37:38], null, v40, s7, v[35:36]
	v_cmp_gt_i32_e64 s7, 0, v41
	v_cmp_lt_u32_e64 s3, 7, v39
	v_or_b32_e32 v39, 31, v35
	v_lshrrev_b32_e32 v38, 3, v35
	v_cmp_gt_u32_e64 s5, 4, v35
	v_cndmask_b32_e64 v36, v41, v36, s7
	v_cmp_eq_u32_e64 s7, 0, v42
	v_cmp_eq_u32_e64 s9, v39, v35
	v_cmp_lt_u32_e64 s8, 1, v42
	v_lshrrev_b32_e32 v37, 5, v37
	v_lshlrev_b32_e32 v35, 2, v36
	v_and_b32_e32 v36, 12, v38
	s_mov_b32 s16, s13
	s_delay_alu instid0(VALU_DEP_1)
	v_add_nc_u32_e32 v38, -4, v36
	s_waitcnt vmcnt(7)
	v_xor_b32_e32 v2, 0x80000000, v2
	v_xor_b32_e32 v4, 0x80000000, v4
	s_waitcnt vmcnt(6)
	v_xor_b32_e32 v6, 0x80000000, v6
	v_xor_b32_e32 v8, 0x80000000, v8
	;; [unrolled: 3-line block ×8, first 2 shown]
	s_branch .LBB101_2
.LBB101_1:                              ;   in Loop: Header=BB101_2 Depth=1
	s_add_i32 s16, s16, 1
	s_delay_alu instid0(SALU_CYCLE_1)
	s_cmp_eq_u32 s16, 10
	s_cbranch_scc1 .LBB101_42
.LBB101_2:                              ; =>This Loop Header: Depth=1
                                        ;     Child Loop BB101_4 Depth 2
	s_mov_b64 s[14:15], 60
	s_mov_b32 s17, -4
	s_branch .LBB101_4
.LBB101_3:                              ;   in Loop: Header=BB101_4 Depth=2
	s_or_b32 exec_lo, exec_lo, s10
	s_waitcnt lgkmcnt(0)
	v_add_nc_u32_e32 v86, v87, v86
	s_add_i32 s17, s17, 4
	s_add_u32 s14, s14, -4
	s_addc_u32 s15, s15, -1
	s_cmp_lt_u32 s17, 60
	ds_bpermute_b32 v86, v35, v86
	s_waitcnt lgkmcnt(0)
	v_cndmask_b32_e32 v86, v86, v87, vcc_lo
	ds_store_b32 v34, v86 offset:16
	s_waitcnt lgkmcnt(0)
	s_barrier
	buffer_gl0_inv
	s_cbranch_scc0 .LBB101_1
.LBB101_4:                              ;   Parent Loop BB101_2 Depth=1
                                        ; =>  This Inner Loop Header: Depth=2
	v_lshlrev_b64 v[39:40], s14, v[1:2]
	ds_store_b32 v34, v33 offset:16
	s_waitcnt lgkmcnt(0)
	s_barrier
	buffer_gl0_inv
	v_bfe_u32 v39, v40, 28, 1
	v_lshrrev_b32_e32 v42, 28, v40
	v_and_b32_e32 v40, 0xf0000000, v40
	; wave barrier
	s_delay_alu instid0(VALU_DEP_3) | instskip(NEXT) | instid1(VALU_DEP_1)
	v_add_co_u32 v39, s10, v39, -1
	v_cndmask_b32_e64 v41, 0, 1, s10
	s_delay_alu instid0(VALU_DEP_4) | instskip(SKIP_2) | instid1(VALU_DEP_4)
	v_lshlrev_b32_e32 v43, 30, v42
	v_lshlrev_b32_e32 v44, 29, v42
	v_not_b32_e32 v45, v40
	v_cmp_ne_u32_e64 s10, 0, v41
	s_delay_alu instid0(VALU_DEP_4) | instskip(SKIP_2) | instid1(VALU_DEP_4)
	v_not_b32_e32 v41, v43
	v_cmp_gt_i32_e64 s11, 0, v43
	v_not_b32_e32 v43, v44
	v_xor_b32_e32 v39, s10, v39
	s_delay_alu instid0(VALU_DEP_4) | instskip(SKIP_1) | instid1(VALU_DEP_4)
	v_ashrrev_i32_e32 v41, 31, v41
	v_cmp_gt_i32_e64 s10, 0, v44
	v_ashrrev_i32_e32 v43, 31, v43
	s_delay_alu instid0(VALU_DEP_4) | instskip(NEXT) | instid1(VALU_DEP_4)
	v_and_b32_e32 v39, exec_lo, v39
	v_xor_b32_e32 v41, s11, v41
	v_cmp_gt_i32_e64 s11, 0, v40
	v_ashrrev_i32_e32 v40, 31, v45
	v_xor_b32_e32 v43, s10, v43
	s_delay_alu instid0(VALU_DEP_4) | instskip(NEXT) | instid1(VALU_DEP_3)
	v_and_b32_e32 v39, v39, v41
	v_xor_b32_e32 v40, s11, v40
	s_delay_alu instid0(VALU_DEP_2) | instskip(NEXT) | instid1(VALU_DEP_1)
	v_and_b32_e32 v39, v39, v43
	v_and_b32_e32 v41, v39, v40
	v_mad_u32_u24 v40, v42, 5, v37
	s_delay_alu instid0(VALU_DEP_2) | instskip(SKIP_1) | instid1(VALU_DEP_3)
	v_mbcnt_lo_u32_b32 v39, v41, 0
	v_cmp_ne_u32_e64 s11, 0, v41
	v_lshl_add_u32 v40, v40, 2, 16
	s_delay_alu instid0(VALU_DEP_3) | instskip(NEXT) | instid1(VALU_DEP_1)
	v_cmp_eq_u32_e64 s10, 0, v39
	s_and_b32 s11, s11, s10
	s_delay_alu instid0(SALU_CYCLE_1)
	s_and_saveexec_b32 s10, s11
	s_cbranch_execz .LBB101_6
; %bb.5:                                ;   in Loop: Header=BB101_4 Depth=2
	v_bcnt_u32_b32 v41, v41, 0
	ds_store_b32 v40, v41
.LBB101_6:                              ;   in Loop: Header=BB101_4 Depth=2
	s_or_b32 exec_lo, exec_lo, s10
	v_lshlrev_b64 v[41:42], s14, v[3:4]
	; wave barrier
	s_delay_alu instid0(VALU_DEP_1) | instskip(SKIP_2) | instid1(VALU_DEP_3)
	v_bfe_u32 v41, v42, 28, 1
	v_lshrrev_b32_e32 v43, 28, v42
	v_and_b32_e32 v42, 0xf0000000, v42
	v_add_co_u32 v41, s10, v41, -1
	s_delay_alu instid0(VALU_DEP_1) | instskip(NEXT) | instid1(VALU_DEP_4)
	v_cndmask_b32_e64 v44, 0, 1, s10
	v_lshlrev_b32_e32 v45, 30, v43
	v_lshlrev_b32_e32 v46, 29, v43
	v_not_b32_e32 v47, v42
	v_mul_u32_u24_e32 v43, 5, v43
	v_cmp_ne_u32_e64 s10, 0, v44
	v_not_b32_e32 v44, v45
	v_cmp_gt_i32_e64 s11, 0, v45
	v_not_b32_e32 v45, v46
	v_add_lshl_u32 v43, v37, v43, 2
	v_xor_b32_e32 v41, s10, v41
	v_ashrrev_i32_e32 v44, 31, v44
	v_cmp_gt_i32_e64 s10, 0, v46
	v_ashrrev_i32_e32 v45, 31, v45
	s_delay_alu instid0(VALU_DEP_4) | instskip(NEXT) | instid1(VALU_DEP_4)
	v_and_b32_e32 v41, exec_lo, v41
	v_xor_b32_e32 v44, s11, v44
	v_cmp_gt_i32_e64 s11, 0, v42
	v_ashrrev_i32_e32 v42, 31, v47
	v_xor_b32_e32 v45, s10, v45
	s_delay_alu instid0(VALU_DEP_4) | instskip(NEXT) | instid1(VALU_DEP_3)
	v_and_b32_e32 v41, v41, v44
	v_xor_b32_e32 v42, s11, v42
	s_delay_alu instid0(VALU_DEP_2) | instskip(SKIP_3) | instid1(VALU_DEP_1)
	v_and_b32_e32 v44, v41, v45
	ds_load_b32 v41, v43 offset:16
	v_add_nc_u32_e32 v43, 16, v43
	; wave barrier
	v_and_b32_e32 v44, v44, v42
	v_mbcnt_lo_u32_b32 v42, v44, 0
	v_cmp_ne_u32_e64 s11, 0, v44
	s_delay_alu instid0(VALU_DEP_2) | instskip(NEXT) | instid1(VALU_DEP_1)
	v_cmp_eq_u32_e64 s10, 0, v42
	s_and_b32 s11, s11, s10
	s_delay_alu instid0(SALU_CYCLE_1)
	s_and_saveexec_b32 s10, s11
	s_cbranch_execz .LBB101_8
; %bb.7:                                ;   in Loop: Header=BB101_4 Depth=2
	s_waitcnt lgkmcnt(0)
	v_bcnt_u32_b32 v44, v44, v41
	ds_store_b32 v43, v44
.LBB101_8:                              ;   in Loop: Header=BB101_4 Depth=2
	s_or_b32 exec_lo, exec_lo, s10
	v_lshlrev_b64 v[44:45], s14, v[5:6]
	; wave barrier
	s_delay_alu instid0(VALU_DEP_1) | instskip(SKIP_2) | instid1(VALU_DEP_3)
	v_bfe_u32 v44, v45, 28, 1
	v_lshrrev_b32_e32 v46, 28, v45
	v_and_b32_e32 v45, 0xf0000000, v45
	v_add_co_u32 v44, s10, v44, -1
	s_delay_alu instid0(VALU_DEP_1) | instskip(NEXT) | instid1(VALU_DEP_4)
	v_cndmask_b32_e64 v47, 0, 1, s10
	v_lshlrev_b32_e32 v48, 30, v46
	v_lshlrev_b32_e32 v49, 29, v46
	v_not_b32_e32 v50, v45
	v_mul_u32_u24_e32 v46, 5, v46
	v_cmp_ne_u32_e64 s10, 0, v47
	v_not_b32_e32 v47, v48
	v_cmp_gt_i32_e64 s11, 0, v48
	v_not_b32_e32 v48, v49
	v_add_lshl_u32 v46, v37, v46, 2
	v_xor_b32_e32 v44, s10, v44
	v_ashrrev_i32_e32 v47, 31, v47
	v_cmp_gt_i32_e64 s10, 0, v49
	v_ashrrev_i32_e32 v48, 31, v48
	s_delay_alu instid0(VALU_DEP_4) | instskip(NEXT) | instid1(VALU_DEP_4)
	v_and_b32_e32 v44, exec_lo, v44
	v_xor_b32_e32 v47, s11, v47
	v_cmp_gt_i32_e64 s11, 0, v45
	v_ashrrev_i32_e32 v45, 31, v50
	v_xor_b32_e32 v48, s10, v48
	s_delay_alu instid0(VALU_DEP_4) | instskip(NEXT) | instid1(VALU_DEP_3)
	v_and_b32_e32 v44, v44, v47
	v_xor_b32_e32 v45, s11, v45
	s_delay_alu instid0(VALU_DEP_2) | instskip(SKIP_3) | instid1(VALU_DEP_1)
	v_and_b32_e32 v47, v44, v48
	ds_load_b32 v44, v46 offset:16
	v_add_nc_u32_e32 v46, 16, v46
	; wave barrier
	v_and_b32_e32 v47, v47, v45
	v_mbcnt_lo_u32_b32 v45, v47, 0
	v_cmp_ne_u32_e64 s11, 0, v47
	s_delay_alu instid0(VALU_DEP_2) | instskip(NEXT) | instid1(VALU_DEP_1)
	v_cmp_eq_u32_e64 s10, 0, v45
	s_and_b32 s11, s11, s10
	s_delay_alu instid0(SALU_CYCLE_1)
	s_and_saveexec_b32 s10, s11
	s_cbranch_execz .LBB101_10
; %bb.9:                                ;   in Loop: Header=BB101_4 Depth=2
	s_waitcnt lgkmcnt(0)
	v_bcnt_u32_b32 v47, v47, v44
	ds_store_b32 v46, v47
.LBB101_10:                             ;   in Loop: Header=BB101_4 Depth=2
	s_or_b32 exec_lo, exec_lo, s10
	v_lshlrev_b64 v[47:48], s14, v[7:8]
	; wave barrier
	s_delay_alu instid0(VALU_DEP_1) | instskip(SKIP_2) | instid1(VALU_DEP_3)
	v_bfe_u32 v47, v48, 28, 1
	v_lshrrev_b32_e32 v49, 28, v48
	v_and_b32_e32 v48, 0xf0000000, v48
	v_add_co_u32 v47, s10, v47, -1
	s_delay_alu instid0(VALU_DEP_1) | instskip(NEXT) | instid1(VALU_DEP_4)
	v_cndmask_b32_e64 v50, 0, 1, s10
	v_lshlrev_b32_e32 v51, 30, v49
	v_lshlrev_b32_e32 v52, 29, v49
	v_not_b32_e32 v53, v48
	v_mul_u32_u24_e32 v49, 5, v49
	v_cmp_ne_u32_e64 s10, 0, v50
	v_not_b32_e32 v50, v51
	v_cmp_gt_i32_e64 s11, 0, v51
	v_not_b32_e32 v51, v52
	v_add_lshl_u32 v49, v37, v49, 2
	v_xor_b32_e32 v47, s10, v47
	v_ashrrev_i32_e32 v50, 31, v50
	v_cmp_gt_i32_e64 s10, 0, v52
	v_ashrrev_i32_e32 v51, 31, v51
	s_delay_alu instid0(VALU_DEP_4) | instskip(NEXT) | instid1(VALU_DEP_4)
	v_and_b32_e32 v47, exec_lo, v47
	v_xor_b32_e32 v50, s11, v50
	v_cmp_gt_i32_e64 s11, 0, v48
	v_ashrrev_i32_e32 v48, 31, v53
	v_xor_b32_e32 v51, s10, v51
	s_delay_alu instid0(VALU_DEP_4) | instskip(NEXT) | instid1(VALU_DEP_3)
	v_and_b32_e32 v47, v47, v50
	v_xor_b32_e32 v48, s11, v48
	s_delay_alu instid0(VALU_DEP_2) | instskip(SKIP_3) | instid1(VALU_DEP_1)
	v_and_b32_e32 v50, v47, v51
	ds_load_b32 v47, v49 offset:16
	v_add_nc_u32_e32 v49, 16, v49
	; wave barrier
	v_and_b32_e32 v50, v50, v48
	v_mbcnt_lo_u32_b32 v48, v50, 0
	v_cmp_ne_u32_e64 s11, 0, v50
	s_delay_alu instid0(VALU_DEP_2) | instskip(NEXT) | instid1(VALU_DEP_1)
	v_cmp_eq_u32_e64 s10, 0, v48
	s_and_b32 s11, s11, s10
	s_delay_alu instid0(SALU_CYCLE_1)
	s_and_saveexec_b32 s10, s11
	s_cbranch_execz .LBB101_12
; %bb.11:                               ;   in Loop: Header=BB101_4 Depth=2
	s_waitcnt lgkmcnt(0)
	v_bcnt_u32_b32 v50, v50, v47
	ds_store_b32 v49, v50
.LBB101_12:                             ;   in Loop: Header=BB101_4 Depth=2
	s_or_b32 exec_lo, exec_lo, s10
	v_lshlrev_b64 v[50:51], s14, v[9:10]
	; wave barrier
	s_delay_alu instid0(VALU_DEP_1) | instskip(SKIP_2) | instid1(VALU_DEP_3)
	v_bfe_u32 v50, v51, 28, 1
	v_lshrrev_b32_e32 v52, 28, v51
	v_and_b32_e32 v51, 0xf0000000, v51
	v_add_co_u32 v50, s10, v50, -1
	s_delay_alu instid0(VALU_DEP_1) | instskip(NEXT) | instid1(VALU_DEP_4)
	v_cndmask_b32_e64 v53, 0, 1, s10
	v_lshlrev_b32_e32 v54, 30, v52
	v_lshlrev_b32_e32 v55, 29, v52
	v_not_b32_e32 v56, v51
	v_mul_u32_u24_e32 v52, 5, v52
	v_cmp_ne_u32_e64 s10, 0, v53
	v_not_b32_e32 v53, v54
	v_cmp_gt_i32_e64 s11, 0, v54
	v_not_b32_e32 v54, v55
	v_add_lshl_u32 v52, v37, v52, 2
	v_xor_b32_e32 v50, s10, v50
	v_ashrrev_i32_e32 v53, 31, v53
	v_cmp_gt_i32_e64 s10, 0, v55
	v_ashrrev_i32_e32 v54, 31, v54
	s_delay_alu instid0(VALU_DEP_4) | instskip(NEXT) | instid1(VALU_DEP_4)
	v_and_b32_e32 v50, exec_lo, v50
	v_xor_b32_e32 v53, s11, v53
	v_cmp_gt_i32_e64 s11, 0, v51
	v_ashrrev_i32_e32 v51, 31, v56
	v_xor_b32_e32 v54, s10, v54
	s_delay_alu instid0(VALU_DEP_4) | instskip(NEXT) | instid1(VALU_DEP_3)
	v_and_b32_e32 v50, v50, v53
	v_xor_b32_e32 v51, s11, v51
	s_delay_alu instid0(VALU_DEP_2) | instskip(SKIP_3) | instid1(VALU_DEP_1)
	v_and_b32_e32 v53, v50, v54
	ds_load_b32 v50, v52 offset:16
	v_add_nc_u32_e32 v52, 16, v52
	; wave barrier
	v_and_b32_e32 v53, v53, v51
	v_mbcnt_lo_u32_b32 v51, v53, 0
	v_cmp_ne_u32_e64 s11, 0, v53
	s_delay_alu instid0(VALU_DEP_2) | instskip(NEXT) | instid1(VALU_DEP_1)
	v_cmp_eq_u32_e64 s10, 0, v51
	s_and_b32 s11, s11, s10
	s_delay_alu instid0(SALU_CYCLE_1)
	s_and_saveexec_b32 s10, s11
	s_cbranch_execz .LBB101_14
; %bb.13:                               ;   in Loop: Header=BB101_4 Depth=2
	s_waitcnt lgkmcnt(0)
	v_bcnt_u32_b32 v53, v53, v50
	ds_store_b32 v52, v53
.LBB101_14:                             ;   in Loop: Header=BB101_4 Depth=2
	;; [unrolled: 51-line block ×13, first 2 shown]
	s_or_b32 exec_lo, exec_lo, s10
	; wave barrier
	s_waitcnt lgkmcnt(0)
	s_barrier
	buffer_gl0_inv
	ds_load_b32 v86, v34 offset:16
	s_waitcnt lgkmcnt(0)
	v_mov_b32_dpp v87, v86 row_shr:1 row_mask:0xf bank_mask:0xf
	s_delay_alu instid0(VALU_DEP_1) | instskip(NEXT) | instid1(VALU_DEP_1)
	v_cndmask_b32_e64 v87, v87, 0, s0
	v_add_nc_u32_e32 v86, v87, v86
	s_delay_alu instid0(VALU_DEP_1) | instskip(NEXT) | instid1(VALU_DEP_1)
	v_mov_b32_dpp v87, v86 row_shr:2 row_mask:0xf bank_mask:0xf
	v_cndmask_b32_e64 v87, 0, v87, s1
	s_delay_alu instid0(VALU_DEP_1) | instskip(NEXT) | instid1(VALU_DEP_1)
	v_add_nc_u32_e32 v86, v86, v87
	v_mov_b32_dpp v87, v86 row_shr:4 row_mask:0xf bank_mask:0xf
	s_delay_alu instid0(VALU_DEP_1) | instskip(NEXT) | instid1(VALU_DEP_1)
	v_cndmask_b32_e64 v87, 0, v87, s2
	v_add_nc_u32_e32 v86, v86, v87
	s_delay_alu instid0(VALU_DEP_1) | instskip(NEXT) | instid1(VALU_DEP_1)
	v_mov_b32_dpp v87, v86 row_shr:8 row_mask:0xf bank_mask:0xf
	v_cndmask_b32_e64 v87, 0, v87, s3
	s_delay_alu instid0(VALU_DEP_1) | instskip(SKIP_3) | instid1(VALU_DEP_1)
	v_add_nc_u32_e32 v86, v86, v87
	ds_swizzle_b32 v87, v86 offset:swizzle(BROADCAST,32,15)
	s_waitcnt lgkmcnt(0)
	v_cndmask_b32_e64 v87, v87, 0, s4
	v_add_nc_u32_e32 v86, v86, v87
	s_and_saveexec_b32 s10, s9
	s_delay_alu instid0(SALU_CYCLE_1)
	s_xor_b32 s10, exec_lo, s10
	s_cbranch_execz .LBB101_38
; %bb.37:                               ;   in Loop: Header=BB101_4 Depth=2
	ds_store_b32 v36, v86
.LBB101_38:                             ;   in Loop: Header=BB101_4 Depth=2
	s_or_b32 exec_lo, exec_lo, s10
	s_waitcnt lgkmcnt(0)
	s_barrier
	buffer_gl0_inv
	s_and_saveexec_b32 s10, s5
	s_cbranch_execz .LBB101_40
; %bb.39:                               ;   in Loop: Header=BB101_4 Depth=2
	ds_load_b32 v87, v34
	s_waitcnt lgkmcnt(0)
	v_mov_b32_dpp v88, v87 row_shr:1 row_mask:0xf bank_mask:0xf
	s_delay_alu instid0(VALU_DEP_1) | instskip(NEXT) | instid1(VALU_DEP_1)
	v_cndmask_b32_e64 v88, v88, 0, s7
	v_add_nc_u32_e32 v87, v88, v87
	s_delay_alu instid0(VALU_DEP_1) | instskip(NEXT) | instid1(VALU_DEP_1)
	v_mov_b32_dpp v88, v87 row_shr:2 row_mask:0xf bank_mask:0xf
	v_cndmask_b32_e64 v88, 0, v88, s8
	s_delay_alu instid0(VALU_DEP_1)
	v_add_nc_u32_e32 v87, v87, v88
	ds_store_b32 v34, v87
.LBB101_40:                             ;   in Loop: Header=BB101_4 Depth=2
	s_or_b32 exec_lo, exec_lo, s10
	v_mov_b32_e32 v87, 0
	s_waitcnt lgkmcnt(0)
	s_barrier
	buffer_gl0_inv
	s_and_saveexec_b32 s10, s6
	s_cbranch_execz .LBB101_3
; %bb.41:                               ;   in Loop: Header=BB101_4 Depth=2
	ds_load_b32 v87, v38
	s_branch .LBB101_3
.LBB101_42:
	ds_load_b32 v1, v85
	ds_load_b32 v2, v82
	;; [unrolled: 1-line block ×16, first 2 shown]
	s_lshl_b64 s[0:1], s[12:13], 2
	v_lshlrev_b32_e32 v0, 2, v0
	s_add_u32 s0, s18, s0
	s_addc_u32 s1, s19, s1
	s_waitcnt lgkmcnt(15)
	v_add3_u32 v4, v84, v83, v1
	s_waitcnt lgkmcnt(14)
	v_add3_u32 v3, v81, v80, v2
	;; [unrolled: 2-line block ×14, first 2 shown]
	s_waitcnt lgkmcnt(1)
	v_add_nc_u32_e32 v13, v19, v39
	s_waitcnt lgkmcnt(0)
	v_add3_u32 v9, v51, v50, v20
	s_clause 0x3
	global_store_b128 v0, v[13:16], s[0:1]
	global_store_b128 v0, v[9:12], s[0:1] offset:16
	global_store_b128 v0, v[5:8], s[0:1] offset:32
	;; [unrolled: 1-line block ×3, first 2 shown]
	s_nop 0
	s_sendmsg sendmsg(MSG_DEALLOC_VGPRS)
	s_endpgm
	.section	.rodata,"a",@progbits
	.p2align	6, 0x0
	.amdhsa_kernel _Z11rank_kernelIxLj4ELb0EL18RadixRankAlgorithm2ELj128ELj16ELj10EEvPKT_Pi
		.amdhsa_group_segment_fixed_size 528
		.amdhsa_private_segment_fixed_size 0
		.amdhsa_kernarg_size 272
		.amdhsa_user_sgpr_count 15
		.amdhsa_user_sgpr_dispatch_ptr 0
		.amdhsa_user_sgpr_queue_ptr 0
		.amdhsa_user_sgpr_kernarg_segment_ptr 1
		.amdhsa_user_sgpr_dispatch_id 0
		.amdhsa_user_sgpr_private_segment_size 0
		.amdhsa_wavefront_size32 1
		.amdhsa_uses_dynamic_stack 0
		.amdhsa_enable_private_segment 0
		.amdhsa_system_sgpr_workgroup_id_x 1
		.amdhsa_system_sgpr_workgroup_id_y 0
		.amdhsa_system_sgpr_workgroup_id_z 0
		.amdhsa_system_sgpr_workgroup_info 0
		.amdhsa_system_vgpr_workitem_id 2
		.amdhsa_next_free_vgpr 90
		.amdhsa_next_free_sgpr 20
		.amdhsa_reserve_vcc 1
		.amdhsa_float_round_mode_32 0
		.amdhsa_float_round_mode_16_64 0
		.amdhsa_float_denorm_mode_32 3
		.amdhsa_float_denorm_mode_16_64 3
		.amdhsa_dx10_clamp 1
		.amdhsa_ieee_mode 1
		.amdhsa_fp16_overflow 0
		.amdhsa_workgroup_processor_mode 1
		.amdhsa_memory_ordered 1
		.amdhsa_forward_progress 0
		.amdhsa_shared_vgpr_count 0
		.amdhsa_exception_fp_ieee_invalid_op 0
		.amdhsa_exception_fp_denorm_src 0
		.amdhsa_exception_fp_ieee_div_zero 0
		.amdhsa_exception_fp_ieee_overflow 0
		.amdhsa_exception_fp_ieee_underflow 0
		.amdhsa_exception_fp_ieee_inexact 0
		.amdhsa_exception_int_div_zero 0
	.end_amdhsa_kernel
	.section	.text._Z11rank_kernelIxLj4ELb0EL18RadixRankAlgorithm2ELj128ELj16ELj10EEvPKT_Pi,"axG",@progbits,_Z11rank_kernelIxLj4ELb0EL18RadixRankAlgorithm2ELj128ELj16ELj10EEvPKT_Pi,comdat
.Lfunc_end101:
	.size	_Z11rank_kernelIxLj4ELb0EL18RadixRankAlgorithm2ELj128ELj16ELj10EEvPKT_Pi, .Lfunc_end101-_Z11rank_kernelIxLj4ELb0EL18RadixRankAlgorithm2ELj128ELj16ELj10EEvPKT_Pi
                                        ; -- End function
	.section	.AMDGPU.csdata,"",@progbits
; Kernel info:
; codeLenInByte = 5360
; NumSgprs: 22
; NumVgprs: 90
; ScratchSize: 0
; MemoryBound: 0
; FloatMode: 240
; IeeeMode: 1
; LDSByteSize: 528 bytes/workgroup (compile time only)
; SGPRBlocks: 2
; VGPRBlocks: 11
; NumSGPRsForWavesPerEU: 22
; NumVGPRsForWavesPerEU: 90
; Occupancy: 16
; WaveLimiterHint : 0
; COMPUTE_PGM_RSRC2:SCRATCH_EN: 0
; COMPUTE_PGM_RSRC2:USER_SGPR: 15
; COMPUTE_PGM_RSRC2:TRAP_HANDLER: 0
; COMPUTE_PGM_RSRC2:TGID_X_EN: 1
; COMPUTE_PGM_RSRC2:TGID_Y_EN: 0
; COMPUTE_PGM_RSRC2:TGID_Z_EN: 0
; COMPUTE_PGM_RSRC2:TIDIG_COMP_CNT: 2
	.section	.text._Z11rank_kernelIxLj4ELb0EL18RadixRankAlgorithm0ELj128ELj32ELj10EEvPKT_Pi,"axG",@progbits,_Z11rank_kernelIxLj4ELb0EL18RadixRankAlgorithm0ELj128ELj32ELj10EEvPKT_Pi,comdat
	.protected	_Z11rank_kernelIxLj4ELb0EL18RadixRankAlgorithm0ELj128ELj32ELj10EEvPKT_Pi ; -- Begin function _Z11rank_kernelIxLj4ELb0EL18RadixRankAlgorithm0ELj128ELj32ELj10EEvPKT_Pi
	.globl	_Z11rank_kernelIxLj4ELb0EL18RadixRankAlgorithm0ELj128ELj32ELj10EEvPKT_Pi
	.p2align	8
	.type	_Z11rank_kernelIxLj4ELb0EL18RadixRankAlgorithm0ELj128ELj32ELj10EEvPKT_Pi,@function
_Z11rank_kernelIxLj4ELb0EL18RadixRankAlgorithm0ELj128ELj32ELj10EEvPKT_Pi: ; @_Z11rank_kernelIxLj4ELb0EL18RadixRankAlgorithm0ELj128ELj32ELj10EEvPKT_Pi
; %bb.0:
	s_load_b128 s[16:19], s[0:1], 0x0
	s_mov_b32 s13, 0
	s_lshl_b32 s12, s15, 12
	v_dual_mov_b32 v66, 0 :: v_dual_lshlrev_b32 v61, 8, v0
	s_lshl_b64 s[0:1], s[12:13], 3
	v_mbcnt_lo_u32_b32 v68, -1, 0
	v_or_b32_e32 v71, 31, v0
	v_lshrrev_b32_e32 v73, 3, v0
	v_lshlrev_b32_e32 v65, 5, v0
	v_cmp_gt_u32_e32 vcc_lo, 4, v0
	v_add_nc_u32_e32 v72, -1, v68
	v_and_b32_e32 v69, 15, v68
	v_and_b32_e32 v70, 16, v68
	;; [unrolled: 1-line block ×3, first 2 shown]
	v_lshlrev_b32_e32 v67, 2, v0
	v_cmp_gt_i32_e64 s7, 0, v72
	v_cmp_eq_u32_e64 s2, 0, v69
	v_cmp_lt_u32_e64 s3, 1, v69
	v_cmp_lt_u32_e64 s4, 3, v69
	s_waitcnt lgkmcnt(0)
	s_add_u32 s0, s16, s0
	s_addc_u32 s1, s17, s1
	v_cmp_lt_u32_e64 s5, 7, v69
	s_clause 0xf
	global_load_b128 v[1:4], v61, s[0:1]
	global_load_b128 v[5:8], v61, s[0:1] offset:16
	global_load_b128 v[9:12], v61, s[0:1] offset:32
	global_load_b128 v[13:16], v61, s[0:1] offset:48
	global_load_b128 v[17:20], v61, s[0:1] offset:64
	global_load_b128 v[21:24], v61, s[0:1] offset:80
	global_load_b128 v[25:28], v61, s[0:1] offset:96
	global_load_b128 v[29:32], v61, s[0:1] offset:112
	global_load_b128 v[33:36], v61, s[0:1] offset:128
	global_load_b128 v[37:40], v61, s[0:1] offset:144
	global_load_b128 v[41:44], v61, s[0:1] offset:160
	global_load_b128 v[45:48], v61, s[0:1] offset:176
	global_load_b128 v[49:52], v61, s[0:1] offset:192
	global_load_b128 v[53:56], v61, s[0:1] offset:208
	global_load_b128 v[57:60], v61, s[0:1] offset:224
	global_load_b128 v[61:64], v61, s[0:1] offset:240
	v_cndmask_b32_e64 v69, v72, v68, s7
	v_cmp_lt_u32_e64 s0, 31, v0
	v_cmp_eq_u32_e64 s1, 0, v68
	v_cmp_eq_u32_e64 s6, 0, v70
	v_cmp_eq_u32_e64 s7, v71, v0
	v_and_b32_e32 v68, 12, v73
	v_cmp_eq_u32_e64 s8, 0, v74
	v_cmp_lt_u32_e64 s9, 1, v74
	v_lshlrev_b32_e32 v69, 2, v69
	v_or_b32_e32 v70, 0xffffff80, v0
	s_mov_b32 s11, s13
	s_waitcnt vmcnt(15)
	v_xor_b32_e32 v2, 0x80000000, v2
	v_xor_b32_e32 v4, 0x80000000, v4
	s_waitcnt vmcnt(14)
	v_xor_b32_e32 v6, 0x80000000, v6
	v_xor_b32_e32 v8, 0x80000000, v8
	s_waitcnt vmcnt(13)
	v_xor_b32_e32 v10, 0x80000000, v10
	v_xor_b32_e32 v12, 0x80000000, v12
	s_waitcnt vmcnt(12)
	v_xor_b32_e32 v14, 0x80000000, v14
	v_xor_b32_e32 v16, 0x80000000, v16
	s_waitcnt vmcnt(11)
	v_xor_b32_e32 v18, 0x80000000, v18
	v_xor_b32_e32 v20, 0x80000000, v20
	s_waitcnt vmcnt(10)
	v_xor_b32_e32 v22, 0x80000000, v22
	v_xor_b32_e32 v24, 0x80000000, v24
	s_waitcnt vmcnt(9)
	v_xor_b32_e32 v26, 0x80000000, v26
	v_xor_b32_e32 v28, 0x80000000, v28
	s_waitcnt vmcnt(8)
	v_xor_b32_e32 v30, 0x80000000, v30
	v_xor_b32_e32 v32, 0x80000000, v32
	s_waitcnt vmcnt(7)
	v_xor_b32_e32 v34, 0x80000000, v34
	v_xor_b32_e32 v36, 0x80000000, v36
	s_waitcnt vmcnt(6)
	v_xor_b32_e32 v38, 0x80000000, v38
	v_xor_b32_e32 v40, 0x80000000, v40
	s_waitcnt vmcnt(5)
	v_xor_b32_e32 v42, 0x80000000, v42
	v_xor_b32_e32 v44, 0x80000000, v44
	s_waitcnt vmcnt(4)
	v_xor_b32_e32 v46, 0x80000000, v46
	v_xor_b32_e32 v48, 0x80000000, v48
	s_waitcnt vmcnt(3)
	v_xor_b32_e32 v50, 0x80000000, v50
	v_xor_b32_e32 v52, 0x80000000, v52
	s_waitcnt vmcnt(2)
	v_xor_b32_e32 v54, 0x80000000, v54
	v_xor_b32_e32 v56, 0x80000000, v56
	s_waitcnt vmcnt(1)
	v_xor_b32_e32 v58, 0x80000000, v58
	v_xor_b32_e32 v60, 0x80000000, v60
	s_waitcnt vmcnt(0)
	v_xor_b32_e32 v62, 0x80000000, v62
	v_xor_b32_e32 v64, 0x80000000, v64
	s_branch .LBB102_2
.LBB102_1:                              ;   in Loop: Header=BB102_2 Depth=1
	s_add_i32 s11, s11, 1
	s_delay_alu instid0(SALU_CYCLE_1)
	s_cmp_eq_u32 s11, 10
	s_cbranch_scc1 .LBB102_12
.LBB102_2:                              ; =>This Loop Header: Depth=1
                                        ;     Child Loop BB102_4 Depth 2
                                        ;       Child Loop BB102_5 Depth 3
	s_mov_b32 s14, 0
	s_branch .LBB102_4
.LBB102_3:                              ;   in Loop: Header=BB102_4 Depth=2
	s_or_b32 exec_lo, exec_lo, s10
	s_waitcnt lgkmcnt(0)
	v_add_nc_u32_e32 v135, v136, v135
	ds_load_b32 v141, v66 offset:4108
	ds_load_2addr_b32 v[137:138], v65 offset1:1
	s_add_i32 s10, s14, 4
	s_cmp_lt_u32 s14, 60
	s_mov_b32 s14, s10
	ds_bpermute_b32 v135, v69, v135
	s_waitcnt lgkmcnt(0)
	v_cndmask_b32_e64 v142, v135, v136, s1
	ds_load_2addr_b32 v[135:136], v65 offset0:2 offset1:3
	ds_load_2addr_b32 v[139:140], v65 offset0:4 offset1:5
	v_lshl_add_u32 v141, v141, 16, v142
	ds_load_b32 v142, v65 offset:24
	v_add_nc_u32_e32 v137, v141, v137
	s_delay_alu instid0(VALU_DEP_1) | instskip(SKIP_1) | instid1(VALU_DEP_1)
	v_add_nc_u32_e32 v138, v138, v137
	s_waitcnt lgkmcnt(2)
	v_add_nc_u32_e32 v135, v135, v138
	s_delay_alu instid0(VALU_DEP_1) | instskip(SKIP_1) | instid1(VALU_DEP_1)
	v_add_nc_u32_e32 v136, v136, v135
	s_waitcnt lgkmcnt(1)
	;; [unrolled: 4-line block ×3, first 2 shown]
	v_add_nc_u32_e32 v142, v142, v140
	ds_store_2addr_b32 v65, v141, v137 offset1:1
	ds_store_2addr_b32 v65, v138, v135 offset0:2 offset1:3
	ds_store_2addr_b32 v65, v136, v139 offset0:4 offset1:5
	ds_store_2addr_b32 v65, v140, v142 offset0:6 offset1:7
	s_waitcnt lgkmcnt(0)
	s_barrier
	buffer_gl0_inv
	s_cbranch_scc0 .LBB102_1
.LBB102_4:                              ;   Parent Loop BB102_2 Depth=1
                                        ; =>  This Loop Header: Depth=2
                                        ;       Child Loop BB102_5 Depth 3
	v_dual_mov_b32 v71, v70 :: v_dual_mov_b32 v72, v67
	s_mov_b32 s15, 0
.LBB102_5:                              ;   Parent Loop BB102_2 Depth=1
                                        ;     Parent Loop BB102_4 Depth=2
                                        ; =>    This Inner Loop Header: Depth=3
	s_delay_alu instid0(VALU_DEP_1) | instskip(SKIP_3) | instid1(VALU_DEP_1)
	v_add_nc_u32_e32 v71, 0x80, v71
	ds_store_b32 v72, v66
	v_add_nc_u32_e32 v72, 0x200, v72
	v_cmp_lt_u32_e64 s10, 0x37f, v71
	s_or_b32 s15, s10, s15
	s_delay_alu instid0(SALU_CYCLE_1)
	s_and_not1_b32 exec_lo, exec_lo, s15
	s_cbranch_execnz .LBB102_5
; %bb.6:                                ;   in Loop: Header=BB102_4 Depth=2
	s_or_b32 exec_lo, exec_lo, s15
	s_sub_i32 s10, 60, s14
	s_delay_alu instid0(SALU_CYCLE_1)
	v_lshlrev_b64 v[71:72], s10, v[1:2]
	v_lshlrev_b64 v[73:74], s10, v[3:4]
	;; [unrolled: 1-line block ×6, first 2 shown]
	v_lshrrev_b32_e32 v71, 21, v72
	v_lshrrev_b32_e32 v72, 30, v72
	;; [unrolled: 1-line block ×5, first 2 shown]
	v_and_or_b32 v71, 0x380, v71, v0
	v_and_b32_e32 v72, 2, v72
	v_and_or_b32 v73, 0x380, v73, v0
	v_and_b32_e32 v74, 2, v74
	v_and_b32_e32 v76, 2, v76
	v_lshrrev_b32_e32 v78, 30, v79
	v_lshl_or_b32 v71, v71, 2, v72
	v_lshrrev_b32_e32 v80, 30, v81
	v_lshl_or_b32 v73, v73, 2, v74
	v_lshrrev_b32_e32 v74, 21, v77
	v_and_b32_e32 v78, 2, v78
	ds_load_u16 v72, v71
	v_and_b32_e32 v80, 2, v80
	v_lshrrev_b32_e32 v82, 30, v83
	v_and_or_b32 v74, 0x380, v74, v0
	v_lshlrev_b64 v[84:85], s10, v[13:14]
	v_lshlrev_b64 v[94:95], s10, v[25:26]
	;; [unrolled: 1-line block ×3, first 2 shown]
	v_and_b32_e32 v82, 2, v82
	v_lshl_or_b32 v74, v74, 2, v76
	v_lshrrev_b32_e32 v76, 21, v79
	v_lshrrev_b32_e32 v84, 30, v85
	v_lshlrev_b64 v[123:124], s10, v[47:48]
	v_lshlrev_b64 v[125:126], s10, v[49:50]
	;; [unrolled: 1-line block ×3, first 2 shown]
	v_and_or_b32 v76, 0x380, v76, v0
	v_and_b32_e32 v84, 2, v84
	v_lshlrev_b64 v[129:130], s10, v[53:54]
	s_delay_alu instid0(VALU_DEP_3)
	v_lshl_or_b32 v76, v76, 2, v78
	s_waitcnt lgkmcnt(0)
	v_add_nc_u16 v75, v72, 1
	v_lshrrev_b32_e32 v78, 21, v81
	ds_store_b16 v71, v75
	ds_load_u16 v75, v73
	v_and_or_b32 v78, 0x380, v78, v0
	s_delay_alu instid0(VALU_DEP_1) | instskip(SKIP_1) | instid1(VALU_DEP_1)
	v_lshl_or_b32 v78, v78, 2, v80
	v_lshrrev_b32_e32 v80, 21, v83
	v_and_or_b32 v80, 0x380, v80, v0
	s_delay_alu instid0(VALU_DEP_1) | instskip(SKIP_3) | instid1(VALU_DEP_2)
	v_lshl_or_b32 v80, v80, 2, v82
	v_lshrrev_b32_e32 v82, 21, v85
	s_waitcnt lgkmcnt(0)
	v_add_nc_u16 v77, v75, 1
	v_and_or_b32 v82, 0x380, v82, v0
	ds_store_b16 v73, v77
	ds_load_u16 v77, v74
	v_lshl_or_b32 v82, v82, 2, v84
	s_waitcnt lgkmcnt(0)
	v_add_nc_u16 v79, v77, 1
	ds_store_b16 v74, v79
	ds_load_u16 v79, v76
	s_waitcnt lgkmcnt(0)
	v_add_nc_u16 v81, v79, 1
	ds_store_b16 v76, v81
	ds_load_u16 v81, v78
	;; [unrolled: 4-line block ×4, first 2 shown]
	v_lshlrev_b64 v[84:85], s10, v[15:16]
	s_delay_alu instid0(VALU_DEP_1) | instskip(SKIP_1) | instid1(VALU_DEP_2)
	v_lshrrev_b32_e32 v84, 21, v85
	v_lshrrev_b32_e32 v85, 30, v85
	v_and_or_b32 v84, 0x380, v84, v0
	s_delay_alu instid0(VALU_DEP_2) | instskip(NEXT) | instid1(VALU_DEP_1)
	v_and_b32_e32 v85, 2, v85
	v_lshl_or_b32 v84, v84, 2, v85
	s_waitcnt lgkmcnt(0)
	v_add_nc_u16 v86, v87, 1
	ds_store_b16 v82, v86
	ds_load_u16 v91, v84
	v_lshlrev_b64 v[85:86], s10, v[17:18]
	s_delay_alu instid0(VALU_DEP_1) | instskip(SKIP_1) | instid1(VALU_DEP_2)
	v_lshrrev_b32_e32 v85, 21, v86
	v_lshrrev_b32_e32 v86, 30, v86
	v_and_or_b32 v85, 0x380, v85, v0
	s_delay_alu instid0(VALU_DEP_2) | instskip(NEXT) | instid1(VALU_DEP_1)
	v_and_b32_e32 v86, 2, v86
	v_lshl_or_b32 v85, v85, 2, v86
	s_waitcnt lgkmcnt(0)
	v_add_nc_u16 v88, v91, 1
	ds_store_b16 v84, v88
	ds_load_u16 v93, v85
	;; [unrolled: 12-line block ×4, first 2 shown]
	v_lshlrev_b64 v[89:90], s10, v[23:24]
	s_delay_alu instid0(VALU_DEP_1) | instskip(SKIP_1) | instid1(VALU_DEP_2)
	v_lshrrev_b32_e32 v89, 21, v90
	v_lshrrev_b32_e32 v90, 30, v90
	v_and_or_b32 v89, 0x380, v89, v0
	s_delay_alu instid0(VALU_DEP_2) | instskip(NEXT) | instid1(VALU_DEP_1)
	v_and_b32_e32 v90, 2, v90
	v_lshl_or_b32 v89, v89, 2, v90
	v_lshrrev_b32_e32 v90, 21, v95
	s_waitcnt lgkmcnt(0)
	v_add_nc_u16 v92, v99, 1
	s_delay_alu instid0(VALU_DEP_2) | instskip(SKIP_3) | instid1(VALU_DEP_1)
	v_and_or_b32 v90, 0x380, v90, v0
	ds_store_b16 v88, v92
	ds_load_u16 v101, v89
	v_lshrrev_b32_e32 v92, 30, v95
	v_and_b32_e32 v92, 2, v92
	s_delay_alu instid0(VALU_DEP_1)
	v_lshl_or_b32 v90, v90, 2, v92
	s_waitcnt lgkmcnt(0)
	v_add_nc_u16 v94, v101, 1
	ds_store_b16 v89, v94
	ds_load_u16 v103, v90
	v_lshlrev_b64 v[94:95], s10, v[27:28]
	s_delay_alu instid0(VALU_DEP_1) | instskip(SKIP_1) | instid1(VALU_DEP_2)
	v_lshrrev_b32_e32 v92, 21, v95
	v_lshrrev_b32_e32 v94, 30, v95
	v_and_or_b32 v92, 0x380, v92, v0
	s_delay_alu instid0(VALU_DEP_2) | instskip(NEXT) | instid1(VALU_DEP_1)
	v_and_b32_e32 v94, 2, v94
	v_lshl_or_b32 v92, v92, 2, v94
	s_waitcnt lgkmcnt(0)
	v_add_nc_u16 v95, v103, 1
	ds_store_b16 v90, v95
	ds_load_u16 v105, v92
	v_lshlrev_b64 v[94:95], s10, v[29:30]
	s_delay_alu instid0(VALU_DEP_1) | instskip(SKIP_1) | instid1(VALU_DEP_2)
	v_lshrrev_b32_e32 v94, 21, v95
	v_lshrrev_b32_e32 v95, 30, v95
	v_and_or_b32 v94, 0x380, v94, v0
	s_delay_alu instid0(VALU_DEP_2) | instskip(NEXT) | instid1(VALU_DEP_1)
	v_and_b32_e32 v95, 2, v95
	;; [unrolled: 12-line block ×3, first 2 shown]
	v_lshl_or_b32 v97, v95, 2, v97
	v_lshrrev_b32_e32 v95, 21, v110
	s_waitcnt lgkmcnt(0)
	v_add_nc_u16 v98, v106, 1
	s_delay_alu instid0(VALU_DEP_2) | instskip(SKIP_4) | instid1(VALU_DEP_2)
	v_and_or_b32 v95, 0x380, v95, v0
	ds_store_b16 v94, v98
	ds_load_u16 v108, v97
	v_lshrrev_b32_e32 v98, 30, v110
	v_lshlrev_b64 v[109:110], s10, v[35:36]
	v_and_b32_e32 v98, 2, v98
	s_delay_alu instid0(VALU_DEP_1) | instskip(NEXT) | instid1(VALU_DEP_3)
	v_lshl_or_b32 v95, v95, 2, v98
	v_lshrrev_b32_e32 v98, 21, v110
	s_delay_alu instid0(VALU_DEP_1)
	v_and_or_b32 v98, 0x380, v98, v0
	s_waitcnt lgkmcnt(0)
	v_add_nc_u16 v100, v108, 1
	ds_store_b16 v97, v100
	ds_load_u16 v111, v95
	v_lshrrev_b32_e32 v100, 30, v110
	v_lshlrev_b64 v[109:110], s10, v[37:38]
	s_delay_alu instid0(VALU_DEP_2) | instskip(NEXT) | instid1(VALU_DEP_1)
	v_and_b32_e32 v100, 2, v100
	v_lshl_or_b32 v98, v98, 2, v100
	s_delay_alu instid0(VALU_DEP_3) | instskip(NEXT) | instid1(VALU_DEP_1)
	v_lshrrev_b32_e32 v100, 21, v110
	v_and_or_b32 v100, 0x380, v100, v0
	s_waitcnt lgkmcnt(0)
	v_add_nc_u16 v102, v111, 1
	ds_store_b16 v95, v102
	ds_load_u16 v113, v98
	v_lshrrev_b32_e32 v102, 30, v110
	v_lshlrev_b64 v[109:110], s10, v[39:40]
	s_delay_alu instid0(VALU_DEP_2) | instskip(NEXT) | instid1(VALU_DEP_1)
	v_and_b32_e32 v102, 2, v102
	v_lshl_or_b32 v100, v100, 2, v102
	s_delay_alu instid0(VALU_DEP_3) | instskip(NEXT) | instid1(VALU_DEP_1)
	v_lshrrev_b32_e32 v102, 21, v110
	;; [unrolled: 12-line block ×3, first 2 shown]
	v_and_or_b32 v104, 0x380, v104, v0
	s_waitcnt lgkmcnt(0)
	v_add_nc_u16 v107, v115, 1
	ds_store_b16 v100, v107
	ds_load_u16 v117, v102
	v_lshrrev_b32_e32 v107, 30, v110
	s_delay_alu instid0(VALU_DEP_1) | instskip(NEXT) | instid1(VALU_DEP_1)
	v_and_b32_e32 v107, 2, v107
	v_lshl_or_b32 v104, v104, 2, v107
	s_waitcnt lgkmcnt(0)
	v_add_nc_u16 v109, v117, 1
	ds_store_b16 v102, v109
	ds_load_u16 v119, v104
	v_lshlrev_b64 v[109:110], s10, v[43:44]
	s_delay_alu instid0(VALU_DEP_1) | instskip(SKIP_1) | instid1(VALU_DEP_2)
	v_lshrrev_b32_e32 v107, 21, v110
	v_lshrrev_b32_e32 v109, 30, v110
	v_and_or_b32 v107, 0x380, v107, v0
	s_delay_alu instid0(VALU_DEP_2) | instskip(NEXT) | instid1(VALU_DEP_1)
	v_and_b32_e32 v109, 2, v109
	v_lshl_or_b32 v107, v107, 2, v109
	s_waitcnt lgkmcnt(0)
	v_add_nc_u16 v110, v119, 1
	ds_store_b16 v104, v110
	ds_load_u16 v121, v107
	v_lshlrev_b64 v[109:110], s10, v[45:46]
	s_delay_alu instid0(VALU_DEP_1) | instskip(SKIP_1) | instid1(VALU_DEP_2)
	v_lshrrev_b32_e32 v109, 21, v110
	v_lshrrev_b32_e32 v110, 30, v110
	v_and_or_b32 v109, 0x380, v109, v0
	s_delay_alu instid0(VALU_DEP_2) | instskip(NEXT) | instid1(VALU_DEP_1)
	v_and_b32_e32 v110, 2, v110
	v_lshl_or_b32 v109, v109, 2, v110
	v_lshrrev_b32_e32 v110, 21, v124
	s_waitcnt lgkmcnt(0)
	v_add_nc_u16 v112, v121, 1
	s_delay_alu instid0(VALU_DEP_2) | instskip(SKIP_3) | instid1(VALU_DEP_1)
	v_and_or_b32 v110, 0x380, v110, v0
	ds_store_b16 v107, v112
	ds_load_u16 v122, v109
	v_lshrrev_b32_e32 v112, 30, v124
	v_and_b32_e32 v112, 2, v112
	s_delay_alu instid0(VALU_DEP_1) | instskip(SKIP_1) | instid1(VALU_DEP_1)
	v_lshl_or_b32 v112, v110, 2, v112
	v_lshrrev_b32_e32 v110, 21, v126
	v_and_or_b32 v110, 0x380, v110, v0
	s_waitcnt lgkmcnt(0)
	v_add_nc_u16 v114, v122, 1
	ds_store_b16 v109, v114
	ds_load_u16 v124, v112
	v_lshrrev_b32_e32 v114, 30, v126
	s_delay_alu instid0(VALU_DEP_1) | instskip(NEXT) | instid1(VALU_DEP_1)
	v_and_b32_e32 v114, 2, v114
	v_lshl_or_b32 v110, v110, 2, v114
	v_lshrrev_b32_e32 v114, 21, v128
	s_delay_alu instid0(VALU_DEP_1)
	v_and_or_b32 v114, 0x380, v114, v0
	s_waitcnt lgkmcnt(0)
	v_add_nc_u16 v116, v124, 1
	ds_store_b16 v112, v116
	ds_load_u16 v126, v110
	v_lshrrev_b32_e32 v116, 30, v128
	s_delay_alu instid0(VALU_DEP_1) | instskip(NEXT) | instid1(VALU_DEP_1)
	v_and_b32_e32 v116, 2, v116
	v_lshl_or_b32 v114, v114, 2, v116
	v_lshrrev_b32_e32 v116, 21, v130
	s_delay_alu instid0(VALU_DEP_1)
	v_and_or_b32 v116, 0x380, v116, v0
	s_waitcnt lgkmcnt(0)
	v_add_nc_u16 v118, v126, 1
	ds_store_b16 v110, v118
	ds_load_u16 v128, v114
	v_lshrrev_b32_e32 v118, 30, v130
	v_lshlrev_b64 v[130:131], s10, v[55:56]
	s_delay_alu instid0(VALU_DEP_2) | instskip(NEXT) | instid1(VALU_DEP_1)
	v_and_b32_e32 v118, 2, v118
	v_lshl_or_b32 v116, v116, 2, v118
	s_delay_alu instid0(VALU_DEP_3) | instskip(NEXT) | instid1(VALU_DEP_1)
	v_lshrrev_b32_e32 v118, 21, v131
	v_and_or_b32 v118, 0x380, v118, v0
	s_waitcnt lgkmcnt(0)
	v_add_nc_u16 v120, v128, 1
	ds_store_b16 v114, v120
	ds_load_u16 v129, v116
	v_lshrrev_b32_e32 v120, 30, v131
	v_lshlrev_b64 v[131:132], s10, v[57:58]
	s_delay_alu instid0(VALU_DEP_2) | instskip(NEXT) | instid1(VALU_DEP_1)
	v_and_b32_e32 v120, 2, v120
	v_lshl_or_b32 v118, v118, 2, v120
	s_delay_alu instid0(VALU_DEP_3) | instskip(NEXT) | instid1(VALU_DEP_1)
	v_lshrrev_b32_e32 v120, 21, v132
	;; [unrolled: 12-line block ×4, first 2 shown]
	v_and_or_b32 v125, 0x380, v125, v0
	s_waitcnt lgkmcnt(0)
	v_add_nc_u16 v127, v131, 1
	ds_store_b16 v120, v127
	ds_load_u16 v132, v123
	v_lshrrev_b32_e32 v127, 30, v134
	v_lshlrev_b64 v[134:135], s10, v[63:64]
	s_delay_alu instid0(VALU_DEP_2) | instskip(NEXT) | instid1(VALU_DEP_2)
	v_and_b32_e32 v127, 2, v127
	v_lshrrev_b32_e32 v134, 30, v135
	s_delay_alu instid0(VALU_DEP_2) | instskip(SKIP_1) | instid1(VALU_DEP_3)
	v_lshl_or_b32 v125, v125, 2, v127
	v_lshrrev_b32_e32 v127, 21, v135
	v_and_b32_e32 v134, 2, v134
	s_delay_alu instid0(VALU_DEP_2) | instskip(SKIP_2) | instid1(VALU_DEP_2)
	v_and_or_b32 v127, 0x380, v127, v0
	s_waitcnt lgkmcnt(0)
	v_add_nc_u16 v133, v132, 1
	v_lshl_or_b32 v127, v127, 2, v134
	ds_store_b16 v123, v133
	ds_load_u16 v133, v125
	s_waitcnt lgkmcnt(0)
	v_add_nc_u16 v135, v133, 1
	ds_store_b16 v125, v135
	ds_load_u16 v134, v127
	s_waitcnt lgkmcnt(0)
	v_add_nc_u16 v135, v134, 1
	ds_store_b16 v127, v135
	s_waitcnt lgkmcnt(0)
	s_barrier
	buffer_gl0_inv
	ds_load_2addr_b32 v[135:136], v65 offset1:1
	ds_load_2addr_b32 v[137:138], v65 offset0:2 offset1:3
	ds_load_2addr_b32 v[139:140], v65 offset0:4 offset1:5
	;; [unrolled: 1-line block ×3, first 2 shown]
	s_waitcnt lgkmcnt(3)
	v_add_nc_u32_e32 v135, v136, v135
	s_waitcnt lgkmcnt(2)
	s_delay_alu instid0(VALU_DEP_1) | instskip(SKIP_1) | instid1(VALU_DEP_1)
	v_add3_u32 v135, v135, v137, v138
	s_waitcnt lgkmcnt(1)
	v_add3_u32 v135, v135, v139, v140
	s_waitcnt lgkmcnt(0)
	s_delay_alu instid0(VALU_DEP_1) | instskip(NEXT) | instid1(VALU_DEP_1)
	v_add3_u32 v135, v135, v141, v142
	v_mov_b32_dpp v136, v135 row_shr:1 row_mask:0xf bank_mask:0xf
	s_delay_alu instid0(VALU_DEP_1) | instskip(NEXT) | instid1(VALU_DEP_1)
	v_cndmask_b32_e64 v136, v136, 0, s2
	v_add_nc_u32_e32 v135, v136, v135
	s_delay_alu instid0(VALU_DEP_1) | instskip(NEXT) | instid1(VALU_DEP_1)
	v_mov_b32_dpp v136, v135 row_shr:2 row_mask:0xf bank_mask:0xf
	v_cndmask_b32_e64 v136, 0, v136, s3
	s_delay_alu instid0(VALU_DEP_1) | instskip(NEXT) | instid1(VALU_DEP_1)
	v_add_nc_u32_e32 v135, v135, v136
	v_mov_b32_dpp v136, v135 row_shr:4 row_mask:0xf bank_mask:0xf
	s_delay_alu instid0(VALU_DEP_1) | instskip(NEXT) | instid1(VALU_DEP_1)
	v_cndmask_b32_e64 v136, 0, v136, s4
	v_add_nc_u32_e32 v135, v135, v136
	s_delay_alu instid0(VALU_DEP_1) | instskip(NEXT) | instid1(VALU_DEP_1)
	v_mov_b32_dpp v136, v135 row_shr:8 row_mask:0xf bank_mask:0xf
	v_cndmask_b32_e64 v136, 0, v136, s5
	s_delay_alu instid0(VALU_DEP_1) | instskip(SKIP_3) | instid1(VALU_DEP_1)
	v_add_nc_u32_e32 v135, v135, v136
	ds_swizzle_b32 v136, v135 offset:swizzle(BROADCAST,32,15)
	s_waitcnt lgkmcnt(0)
	v_cndmask_b32_e64 v136, v136, 0, s6
	v_add_nc_u32_e32 v135, v135, v136
	s_and_saveexec_b32 s10, s7
	s_cbranch_execz .LBB102_8
; %bb.7:                                ;   in Loop: Header=BB102_4 Depth=2
	ds_store_b32 v68, v135 offset:4096
.LBB102_8:                              ;   in Loop: Header=BB102_4 Depth=2
	s_or_b32 exec_lo, exec_lo, s10
	s_waitcnt lgkmcnt(0)
	s_barrier
	buffer_gl0_inv
	s_and_saveexec_b32 s10, vcc_lo
	s_cbranch_execz .LBB102_10
; %bb.9:                                ;   in Loop: Header=BB102_4 Depth=2
	ds_load_b32 v136, v67 offset:4096
	s_waitcnt lgkmcnt(0)
	v_mov_b32_dpp v137, v136 row_shr:1 row_mask:0xf bank_mask:0xf
	s_delay_alu instid0(VALU_DEP_1) | instskip(NEXT) | instid1(VALU_DEP_1)
	v_cndmask_b32_e64 v137, v137, 0, s8
	v_add_nc_u32_e32 v136, v137, v136
	s_delay_alu instid0(VALU_DEP_1) | instskip(NEXT) | instid1(VALU_DEP_1)
	v_mov_b32_dpp v137, v136 row_shr:2 row_mask:0xf bank_mask:0xf
	v_cndmask_b32_e64 v137, 0, v137, s9
	s_delay_alu instid0(VALU_DEP_1)
	v_add_nc_u32_e32 v136, v136, v137
	ds_store_b32 v67, v136 offset:4096
.LBB102_10:                             ;   in Loop: Header=BB102_4 Depth=2
	s_or_b32 exec_lo, exec_lo, s10
	v_mov_b32_e32 v136, 0
	s_waitcnt lgkmcnt(0)
	s_barrier
	buffer_gl0_inv
	s_and_saveexec_b32 s10, s0
	s_cbranch_execz .LBB102_3
; %bb.11:                               ;   in Loop: Header=BB102_4 Depth=2
	ds_load_b32 v136, v68 offset:4092
	s_branch .LBB102_3
.LBB102_12:
	ds_load_u16 v32, v84
	ds_load_u16 v33, v82
	;; [unrolled: 1-line block ×32, first 2 shown]
	v_and_b32_e32 v0, 0xffff, v72
	v_and_b32_e32 v1, 0xffff, v75
	;; [unrolled: 1-line block ×32, first 2 shown]
	s_waitcnt lgkmcnt(24)
	v_add_nc_u32_e32 v0, v39, v0
	v_add_nc_u32_e32 v1, v38, v1
	;; [unrolled: 1-line block ×5, first 2 shown]
	s_lshl_b64 s[0:1], s[12:13], 2
	v_lshlrev_b32_e32 v32, 2, v65
	v_add_nc_u32_e32 v4, v35, v4
	v_add_nc_u32_e32 v5, v34, v5
	;; [unrolled: 1-line block ×3, first 2 shown]
	s_waitcnt lgkmcnt(16)
	v_add_nc_u32_e32 v8, v47, v8
	v_add_nc_u32_e32 v9, v46, v9
	;; [unrolled: 1-line block ×4, first 2 shown]
	s_add_u32 s0, s18, s0
	v_add_nc_u32_e32 v12, v43, v12
	v_add_nc_u32_e32 v13, v42, v13
	;; [unrolled: 1-line block ×4, first 2 shown]
	s_addc_u32 s1, s19, s1
	s_waitcnt lgkmcnt(8)
	v_add_nc_u32_e32 v16, v55, v16
	v_add_nc_u32_e32 v17, v54, v17
	v_add_nc_u32_e32 v18, v53, v18
	v_add_nc_u32_e32 v19, v52, v19
	v_add_nc_u32_e32 v20, v51, v20
	v_add_nc_u32_e32 v21, v50, v21
	v_add_nc_u32_e32 v22, v49, v22
	v_add_nc_u32_e32 v23, v48, v23
	s_waitcnt lgkmcnt(0)
	v_add_nc_u32_e32 v24, v63, v24
	v_add_nc_u32_e32 v25, v62, v25
	;; [unrolled: 1-line block ×8, first 2 shown]
	s_clause 0x7
	global_store_b128 v32, v[0:3], s[0:1]
	global_store_b128 v32, v[4:7], s[0:1] offset:16
	global_store_b128 v32, v[8:11], s[0:1] offset:32
	global_store_b128 v32, v[12:15], s[0:1] offset:48
	global_store_b128 v32, v[16:19], s[0:1] offset:64
	global_store_b128 v32, v[20:23], s[0:1] offset:80
	global_store_b128 v32, v[24:27], s[0:1] offset:96
	global_store_b128 v32, v[28:31], s[0:1] offset:112
	s_nop 0
	s_sendmsg sendmsg(MSG_DEALLOC_VGPRS)
	s_endpgm
	.section	.rodata,"a",@progbits
	.p2align	6, 0x0
	.amdhsa_kernel _Z11rank_kernelIxLj4ELb0EL18RadixRankAlgorithm0ELj128ELj32ELj10EEvPKT_Pi
		.amdhsa_group_segment_fixed_size 4112
		.amdhsa_private_segment_fixed_size 0
		.amdhsa_kernarg_size 16
		.amdhsa_user_sgpr_count 15
		.amdhsa_user_sgpr_dispatch_ptr 0
		.amdhsa_user_sgpr_queue_ptr 0
		.amdhsa_user_sgpr_kernarg_segment_ptr 1
		.amdhsa_user_sgpr_dispatch_id 0
		.amdhsa_user_sgpr_private_segment_size 0
		.amdhsa_wavefront_size32 1
		.amdhsa_uses_dynamic_stack 0
		.amdhsa_enable_private_segment 0
		.amdhsa_system_sgpr_workgroup_id_x 1
		.amdhsa_system_sgpr_workgroup_id_y 0
		.amdhsa_system_sgpr_workgroup_id_z 0
		.amdhsa_system_sgpr_workgroup_info 0
		.amdhsa_system_vgpr_workitem_id 0
		.amdhsa_next_free_vgpr 143
		.amdhsa_next_free_sgpr 20
		.amdhsa_reserve_vcc 1
		.amdhsa_float_round_mode_32 0
		.amdhsa_float_round_mode_16_64 0
		.amdhsa_float_denorm_mode_32 3
		.amdhsa_float_denorm_mode_16_64 3
		.amdhsa_dx10_clamp 1
		.amdhsa_ieee_mode 1
		.amdhsa_fp16_overflow 0
		.amdhsa_workgroup_processor_mode 1
		.amdhsa_memory_ordered 1
		.amdhsa_forward_progress 0
		.amdhsa_shared_vgpr_count 0
		.amdhsa_exception_fp_ieee_invalid_op 0
		.amdhsa_exception_fp_denorm_src 0
		.amdhsa_exception_fp_ieee_div_zero 0
		.amdhsa_exception_fp_ieee_overflow 0
		.amdhsa_exception_fp_ieee_underflow 0
		.amdhsa_exception_fp_ieee_inexact 0
		.amdhsa_exception_int_div_zero 0
	.end_amdhsa_kernel
	.section	.text._Z11rank_kernelIxLj4ELb0EL18RadixRankAlgorithm0ELj128ELj32ELj10EEvPKT_Pi,"axG",@progbits,_Z11rank_kernelIxLj4ELb0EL18RadixRankAlgorithm0ELj128ELj32ELj10EEvPKT_Pi,comdat
.Lfunc_end102:
	.size	_Z11rank_kernelIxLj4ELb0EL18RadixRankAlgorithm0ELj128ELj32ELj10EEvPKT_Pi, .Lfunc_end102-_Z11rank_kernelIxLj4ELb0EL18RadixRankAlgorithm0ELj128ELj32ELj10EEvPKT_Pi
                                        ; -- End function
	.section	.AMDGPU.csdata,"",@progbits
; Kernel info:
; codeLenInByte = 4480
; NumSgprs: 22
; NumVgprs: 143
; ScratchSize: 0
; MemoryBound: 1
; FloatMode: 240
; IeeeMode: 1
; LDSByteSize: 4112 bytes/workgroup (compile time only)
; SGPRBlocks: 2
; VGPRBlocks: 17
; NumSGPRsForWavesPerEU: 22
; NumVGPRsForWavesPerEU: 143
; Occupancy: 10
; WaveLimiterHint : 0
; COMPUTE_PGM_RSRC2:SCRATCH_EN: 0
; COMPUTE_PGM_RSRC2:USER_SGPR: 15
; COMPUTE_PGM_RSRC2:TRAP_HANDLER: 0
; COMPUTE_PGM_RSRC2:TGID_X_EN: 1
; COMPUTE_PGM_RSRC2:TGID_Y_EN: 0
; COMPUTE_PGM_RSRC2:TGID_Z_EN: 0
; COMPUTE_PGM_RSRC2:TIDIG_COMP_CNT: 0
	.section	.text._Z11rank_kernelIxLj4ELb0EL18RadixRankAlgorithm1ELj128ELj32ELj10EEvPKT_Pi,"axG",@progbits,_Z11rank_kernelIxLj4ELb0EL18RadixRankAlgorithm1ELj128ELj32ELj10EEvPKT_Pi,comdat
	.protected	_Z11rank_kernelIxLj4ELb0EL18RadixRankAlgorithm1ELj128ELj32ELj10EEvPKT_Pi ; -- Begin function _Z11rank_kernelIxLj4ELb0EL18RadixRankAlgorithm1ELj128ELj32ELj10EEvPKT_Pi
	.globl	_Z11rank_kernelIxLj4ELb0EL18RadixRankAlgorithm1ELj128ELj32ELj10EEvPKT_Pi
	.p2align	8
	.type	_Z11rank_kernelIxLj4ELb0EL18RadixRankAlgorithm1ELj128ELj32ELj10EEvPKT_Pi,@function
_Z11rank_kernelIxLj4ELb0EL18RadixRankAlgorithm1ELj128ELj32ELj10EEvPKT_Pi: ; @_Z11rank_kernelIxLj4ELb0EL18RadixRankAlgorithm1ELj128ELj32ELj10EEvPKT_Pi
; %bb.0:
	s_load_b128 s[16:19], s[0:1], 0x0
	s_mov_b32 s13, 0
	s_lshl_b32 s12, s15, 12
	v_dual_mov_b32 v74, 0 :: v_dual_lshlrev_b32 v61, 8, v0
	s_lshl_b64 s[0:1], s[12:13], 3
	v_mbcnt_lo_u32_b32 v65, -1, 0
	v_or_b32_e32 v68, 31, v0
	v_lshrrev_b32_e32 v70, 3, v0
	v_lshlrev_b32_e32 v73, 5, v0
	v_cmp_gt_u32_e32 vcc_lo, 4, v0
	v_add_nc_u32_e32 v69, -1, v65
	v_and_b32_e32 v66, 15, v65
	v_and_b32_e32 v67, 16, v65
	;; [unrolled: 1-line block ×3, first 2 shown]
	v_lshlrev_b32_e32 v75, 2, v0
	v_cmp_gt_i32_e64 s7, 0, v69
	v_cmp_eq_u32_e64 s2, 0, v66
	v_cmp_lt_u32_e64 s3, 1, v66
	v_cmp_lt_u32_e64 s4, 3, v66
	s_waitcnt lgkmcnt(0)
	s_add_u32 s0, s16, s0
	s_addc_u32 s1, s17, s1
	v_cmp_lt_u32_e64 s5, 7, v66
	s_clause 0xf
	global_load_b128 v[1:4], v61, s[0:1]
	global_load_b128 v[5:8], v61, s[0:1] offset:16
	global_load_b128 v[9:12], v61, s[0:1] offset:32
	;; [unrolled: 1-line block ×15, first 2 shown]
	v_cmp_eq_u32_e64 s1, 0, v65
	v_cndmask_b32_e64 v65, v69, v65, s7
	v_cmp_lt_u32_e64 s0, 31, v0
	v_cmp_eq_u32_e64 s6, 0, v67
	v_cmp_eq_u32_e64 s7, v68, v0
	v_and_b32_e32 v76, 12, v70
	v_cmp_eq_u32_e64 s8, 0, v71
	v_cmp_lt_u32_e64 s9, 1, v71
	v_lshlrev_b32_e32 v77, 2, v65
	v_or_b32_e32 v78, 0xffffff80, v0
	s_mov_b32 s11, s13
	s_waitcnt vmcnt(15)
	v_xor_b32_e32 v2, 0x80000000, v2
	v_xor_b32_e32 v4, 0x80000000, v4
	s_waitcnt vmcnt(14)
	v_xor_b32_e32 v6, 0x80000000, v6
	v_xor_b32_e32 v8, 0x80000000, v8
	;; [unrolled: 3-line block ×16, first 2 shown]
	s_branch .LBB103_2
.LBB103_1:                              ;   in Loop: Header=BB103_2 Depth=1
	s_add_i32 s11, s11, 1
	s_delay_alu instid0(SALU_CYCLE_1)
	s_cmp_eq_u32 s11, 10
	s_cbranch_scc1 .LBB103_12
.LBB103_2:                              ; =>This Loop Header: Depth=1
                                        ;     Child Loop BB103_4 Depth 2
                                        ;       Child Loop BB103_5 Depth 3
	s_mov_b32 s14, 0
	s_branch .LBB103_4
.LBB103_3:                              ;   in Loop: Header=BB103_4 Depth=2
	s_or_b32 exec_lo, exec_lo, s10
	s_waitcnt lgkmcnt(0)
	v_add_nc_u32_e32 v66, v143, v66
	ds_load_b32 v144, v74 offset:4108
	s_add_i32 s10, s14, 4
	s_cmp_lt_u32 s14, 60
	s_mov_b32 s14, s10
	ds_bpermute_b32 v66, v77, v66
	s_waitcnt lgkmcnt(0)
	v_cndmask_b32_e64 v66, v66, v143, s1
	s_delay_alu instid0(VALU_DEP_1) | instskip(NEXT) | instid1(VALU_DEP_1)
	v_lshl_add_u32 v66, v144, 16, v66
	v_add_nc_u32_e32 v67, v66, v67
	s_delay_alu instid0(VALU_DEP_1) | instskip(NEXT) | instid1(VALU_DEP_1)
	v_add_nc_u32_e32 v68, v67, v68
	v_add_nc_u32_e32 v69, v68, v69
	s_delay_alu instid0(VALU_DEP_1) | instskip(NEXT) | instid1(VALU_DEP_1)
	v_add_nc_u32_e32 v70, v69, v70
	v_add_nc_u32_e32 v71, v70, v71
	s_delay_alu instid0(VALU_DEP_1) | instskip(NEXT) | instid1(VALU_DEP_1)
	v_add_nc_u32_e32 v72, v71, v72
	v_add_nc_u32_e32 v65, v72, v65
	ds_store_2addr_b32 v73, v66, v67 offset1:1
	ds_store_2addr_b32 v73, v68, v69 offset0:2 offset1:3
	ds_store_2addr_b32 v73, v70, v71 offset0:4 offset1:5
	;; [unrolled: 1-line block ×3, first 2 shown]
	s_waitcnt lgkmcnt(0)
	s_barrier
	buffer_gl0_inv
	s_cbranch_scc0 .LBB103_1
.LBB103_4:                              ;   Parent Loop BB103_2 Depth=1
                                        ; =>  This Loop Header: Depth=2
                                        ;       Child Loop BB103_5 Depth 3
	v_dual_mov_b32 v65, v78 :: v_dual_mov_b32 v66, v75
	s_mov_b32 s15, 0
.LBB103_5:                              ;   Parent Loop BB103_2 Depth=1
                                        ;     Parent Loop BB103_4 Depth=2
                                        ; =>    This Inner Loop Header: Depth=3
	s_delay_alu instid0(VALU_DEP_1) | instskip(SKIP_3) | instid1(VALU_DEP_1)
	v_add_nc_u32_e32 v65, 0x80, v65
	ds_store_b32 v66, v74
	v_add_nc_u32_e32 v66, 0x200, v66
	v_cmp_lt_u32_e64 s10, 0x37f, v65
	s_or_b32 s15, s10, s15
	s_delay_alu instid0(SALU_CYCLE_1)
	s_and_not1_b32 exec_lo, exec_lo, s15
	s_cbranch_execnz .LBB103_5
; %bb.6:                                ;   in Loop: Header=BB103_4 Depth=2
	s_or_b32 exec_lo, exec_lo, s15
	s_sub_i32 s10, 60, s14
	s_delay_alu instid0(SALU_CYCLE_1) | instskip(NEXT) | instid1(VALU_DEP_1)
	v_lshlrev_b64 v[65:66], s10, v[1:2]
	v_lshrrev_b32_e32 v65, 21, v66
	v_lshrrev_b32_e32 v66, 30, v66
	s_delay_alu instid0(VALU_DEP_2) | instskip(NEXT) | instid1(VALU_DEP_2)
	v_and_or_b32 v65, 0x380, v65, v0
	v_and_b32_e32 v66, 2, v66
	s_delay_alu instid0(VALU_DEP_1) | instskip(SKIP_4) | instid1(VALU_DEP_2)
	v_lshl_or_b32 v79, v65, 2, v66
	v_lshlrev_b64 v[65:66], s10, v[3:4]
	ds_load_u16 v81, v79
	v_lshrrev_b32_e32 v65, 21, v66
	v_lshrrev_b32_e32 v66, 30, v66
	v_and_or_b32 v65, 0x380, v65, v0
	s_delay_alu instid0(VALU_DEP_2) | instskip(NEXT) | instid1(VALU_DEP_1)
	v_and_b32_e32 v66, 2, v66
	v_lshl_or_b32 v80, v65, 2, v66
	v_lshlrev_b64 v[65:66], s10, v[5:6]
	s_delay_alu instid0(VALU_DEP_1) | instskip(SKIP_3) | instid1(VALU_DEP_3)
	v_lshrrev_b32_e32 v65, 21, v66
	s_waitcnt lgkmcnt(0)
	v_add_nc_u16 v67, v81, 1
	v_lshrrev_b32_e32 v66, 30, v66
	v_and_or_b32 v65, 0x380, v65, v0
	ds_store_b16 v79, v67
	ds_load_u16 v82, v80
	v_and_b32_e32 v66, 2, v66
	s_delay_alu instid0(VALU_DEP_1) | instskip(SKIP_1) | instid1(VALU_DEP_1)
	v_lshl_or_b32 v83, v65, 2, v66
	v_lshlrev_b64 v[65:66], s10, v[7:8]
	v_lshrrev_b32_e32 v65, 21, v66
	v_lshrrev_b32_e32 v66, 30, v66
	s_delay_alu instid0(VALU_DEP_2) | instskip(NEXT) | instid1(VALU_DEP_2)
	v_and_or_b32 v65, 0x380, v65, v0
	v_and_b32_e32 v66, 2, v66
	s_waitcnt lgkmcnt(0)
	v_add_nc_u16 v67, v82, 1
	s_delay_alu instid0(VALU_DEP_2) | instskip(SKIP_3) | instid1(VALU_DEP_1)
	v_lshl_or_b32 v84, v65, 2, v66
	ds_store_b16 v80, v67
	ds_load_u16 v85, v83
	v_lshlrev_b64 v[65:66], s10, v[9:10]
	v_lshrrev_b32_e32 v65, 21, v66
	v_lshrrev_b32_e32 v66, 30, v66
	s_delay_alu instid0(VALU_DEP_2) | instskip(NEXT) | instid1(VALU_DEP_2)
	v_and_or_b32 v65, 0x380, v65, v0
	v_and_b32_e32 v66, 2, v66
	s_delay_alu instid0(VALU_DEP_1) | instskip(SKIP_3) | instid1(VALU_DEP_2)
	v_lshl_or_b32 v86, v65, 2, v66
	v_lshlrev_b64 v[65:66], s10, v[11:12]
	s_waitcnt lgkmcnt(0)
	v_add_nc_u16 v67, v85, 1
	v_lshrrev_b32_e32 v65, 21, v66
	ds_store_b16 v83, v67
	ds_load_u16 v88, v84
	v_lshrrev_b32_e32 v66, 30, v66
	v_and_or_b32 v65, 0x380, v65, v0
	s_delay_alu instid0(VALU_DEP_2) | instskip(NEXT) | instid1(VALU_DEP_1)
	v_and_b32_e32 v66, 2, v66
	v_lshl_or_b32 v87, v65, 2, v66
	v_lshlrev_b64 v[65:66], s10, v[13:14]
	s_delay_alu instid0(VALU_DEP_1) | instskip(SKIP_3) | instid1(VALU_DEP_3)
	v_lshrrev_b32_e32 v65, 21, v66
	v_lshrrev_b32_e32 v66, 30, v66
	s_waitcnt lgkmcnt(0)
	v_add_nc_u16 v67, v88, 1
	v_and_or_b32 v65, 0x380, v65, v0
	s_delay_alu instid0(VALU_DEP_3) | instskip(SKIP_4) | instid1(VALU_DEP_1)
	v_and_b32_e32 v66, 2, v66
	ds_store_b16 v84, v67
	ds_load_u16 v89, v86
	v_lshl_or_b32 v90, v65, 2, v66
	v_lshlrev_b64 v[65:66], s10, v[15:16]
	v_lshrrev_b32_e32 v65, 21, v66
	v_lshrrev_b32_e32 v66, 30, v66
	s_delay_alu instid0(VALU_DEP_2) | instskip(NEXT) | instid1(VALU_DEP_2)
	v_and_or_b32 v65, 0x380, v65, v0
	v_and_b32_e32 v66, 2, v66
	s_waitcnt lgkmcnt(0)
	v_add_nc_u16 v67, v89, 1
	s_delay_alu instid0(VALU_DEP_2)
	v_lshl_or_b32 v92, v65, 2, v66
	v_lshlrev_b64 v[65:66], s10, v[17:18]
	ds_store_b16 v86, v67
	ds_load_u16 v91, v87
	v_lshrrev_b32_e32 v65, 21, v66
	v_lshrrev_b32_e32 v66, 30, v66
	s_delay_alu instid0(VALU_DEP_2) | instskip(NEXT) | instid1(VALU_DEP_2)
	v_and_or_b32 v65, 0x380, v65, v0
	v_and_b32_e32 v66, 2, v66
	s_delay_alu instid0(VALU_DEP_1) | instskip(SKIP_1) | instid1(VALU_DEP_1)
	v_lshl_or_b32 v93, v65, 2, v66
	v_lshlrev_b64 v[65:66], s10, v[19:20]
	v_lshrrev_b32_e32 v65, 21, v66
	s_waitcnt lgkmcnt(0)
	v_add_nc_u16 v67, v91, 1
	v_lshrrev_b32_e32 v66, 30, v66
	s_delay_alu instid0(VALU_DEP_3) | instskip(SKIP_3) | instid1(VALU_DEP_1)
	v_and_or_b32 v65, 0x380, v65, v0
	ds_store_b16 v87, v67
	ds_load_u16 v97, v90
	v_and_b32_e32 v66, 2, v66
	v_lshl_or_b32 v94, v65, 2, v66
	v_lshlrev_b64 v[65:66], s10, v[21:22]
	s_delay_alu instid0(VALU_DEP_1) | instskip(SKIP_1) | instid1(VALU_DEP_2)
	v_lshrrev_b32_e32 v65, 21, v66
	v_lshrrev_b32_e32 v66, 30, v66
	v_and_or_b32 v65, 0x380, v65, v0
	s_delay_alu instid0(VALU_DEP_2) | instskip(SKIP_2) | instid1(VALU_DEP_2)
	v_and_b32_e32 v66, 2, v66
	s_waitcnt lgkmcnt(0)
	v_add_nc_u16 v67, v97, 1
	v_lshl_or_b32 v95, v65, 2, v66
	ds_store_b16 v90, v67
	ds_load_u16 v100, v92
	v_lshlrev_b64 v[65:66], s10, v[23:24]
	s_delay_alu instid0(VALU_DEP_1) | instskip(SKIP_1) | instid1(VALU_DEP_2)
	v_lshrrev_b32_e32 v65, 21, v66
	v_lshrrev_b32_e32 v66, 30, v66
	v_and_or_b32 v65, 0x380, v65, v0
	s_delay_alu instid0(VALU_DEP_2) | instskip(NEXT) | instid1(VALU_DEP_1)
	v_and_b32_e32 v66, 2, v66
	v_lshl_or_b32 v96, v65, 2, v66
	v_lshlrev_b64 v[65:66], s10, v[25:26]
	s_waitcnt lgkmcnt(0)
	v_add_nc_u16 v67, v100, 1
	ds_store_b16 v92, v67
	ds_load_u16 v103, v93
	v_lshrrev_b32_e32 v65, 21, v66
	v_lshrrev_b32_e32 v66, 30, v66
	s_delay_alu instid0(VALU_DEP_2) | instskip(NEXT) | instid1(VALU_DEP_2)
	v_and_or_b32 v65, 0x380, v65, v0
	v_and_b32_e32 v66, 2, v66
	s_delay_alu instid0(VALU_DEP_1) | instskip(SKIP_1) | instid1(VALU_DEP_1)
	v_lshl_or_b32 v98, v65, 2, v66
	v_lshlrev_b64 v[65:66], s10, v[27:28]
	v_lshrrev_b32_e32 v65, 21, v66
	s_waitcnt lgkmcnt(0)
	v_add_nc_u16 v67, v103, 1
	v_lshrrev_b32_e32 v66, 30, v66
	s_delay_alu instid0(VALU_DEP_3) | instskip(SKIP_3) | instid1(VALU_DEP_1)
	v_and_or_b32 v65, 0x380, v65, v0
	ds_store_b16 v93, v67
	ds_load_u16 v105, v94
	v_and_b32_e32 v66, 2, v66
	v_lshl_or_b32 v99, v65, 2, v66
	v_lshlrev_b64 v[65:66], s10, v[29:30]
	s_delay_alu instid0(VALU_DEP_1) | instskip(SKIP_1) | instid1(VALU_DEP_2)
	v_lshrrev_b32_e32 v65, 21, v66
	v_lshrrev_b32_e32 v66, 30, v66
	v_and_or_b32 v65, 0x380, v65, v0
	s_delay_alu instid0(VALU_DEP_2) | instskip(SKIP_2) | instid1(VALU_DEP_2)
	v_and_b32_e32 v66, 2, v66
	s_waitcnt lgkmcnt(0)
	v_add_nc_u16 v67, v105, 1
	v_lshl_or_b32 v101, v65, 2, v66
	ds_store_b16 v94, v67
	ds_load_u16 v107, v95
	v_lshlrev_b64 v[65:66], s10, v[31:32]
	s_delay_alu instid0(VALU_DEP_1) | instskip(SKIP_1) | instid1(VALU_DEP_2)
	v_lshrrev_b32_e32 v65, 21, v66
	v_lshrrev_b32_e32 v66, 30, v66
	v_and_or_b32 v65, 0x380, v65, v0
	s_delay_alu instid0(VALU_DEP_2) | instskip(NEXT) | instid1(VALU_DEP_1)
	v_and_b32_e32 v66, 2, v66
	v_lshl_or_b32 v104, v65, 2, v66
	v_lshlrev_b64 v[65:66], s10, v[33:34]
	s_waitcnt lgkmcnt(0)
	v_add_nc_u16 v67, v107, 1
	;; [unrolled: 43-line block ×5, first 2 shown]
	ds_store_b16 v110, v67
	ds_load_u16 v127, v112
	v_lshrrev_b32_e32 v65, 21, v66
	v_lshrrev_b32_e32 v66, 30, v66
	s_delay_alu instid0(VALU_DEP_2) | instskip(NEXT) | instid1(VALU_DEP_2)
	v_and_or_b32 v65, 0x380, v65, v0
	v_and_b32_e32 v66, 2, v66
	s_delay_alu instid0(VALU_DEP_1) | instskip(SKIP_1) | instid1(VALU_DEP_1)
	v_lshl_or_b32 v128, v65, 2, v66
	v_lshlrev_b64 v[65:66], s10, v[59:60]
	v_lshrrev_b32_e32 v65, 21, v66
	s_waitcnt lgkmcnt(0)
	v_add_nc_u16 v67, v127, 1
	v_lshrrev_b32_e32 v66, 30, v66
	s_delay_alu instid0(VALU_DEP_3) | instskip(SKIP_3) | instid1(VALU_DEP_1)
	v_and_or_b32 v65, 0x380, v65, v0
	ds_store_b16 v112, v67
	ds_load_u16 v129, v115
	v_and_b32_e32 v66, 2, v66
	v_lshl_or_b32 v131, v65, 2, v66
	v_lshlrev_b64 v[65:66], s10, v[61:62]
	s_delay_alu instid0(VALU_DEP_1) | instskip(SKIP_1) | instid1(VALU_DEP_2)
	v_lshrrev_b32_e32 v65, 21, v66
	v_lshrrev_b32_e32 v66, 30, v66
	v_and_or_b32 v65, 0x380, v65, v0
	s_delay_alu instid0(VALU_DEP_2) | instskip(SKIP_2) | instid1(VALU_DEP_2)
	v_and_b32_e32 v66, 2, v66
	s_waitcnt lgkmcnt(0)
	v_add_nc_u16 v67, v129, 1
	v_lshl_or_b32 v133, v65, 2, v66
	ds_store_b16 v115, v67
	ds_load_u16 v130, v117
	v_lshlrev_b64 v[65:66], s10, v[63:64]
	s_delay_alu instid0(VALU_DEP_1) | instskip(SKIP_1) | instid1(VALU_DEP_2)
	v_lshrrev_b32_e32 v65, 21, v66
	v_lshrrev_b32_e32 v66, 30, v66
	v_and_or_b32 v65, 0x380, v65, v0
	s_delay_alu instid0(VALU_DEP_2) | instskip(NEXT) | instid1(VALU_DEP_1)
	v_and_b32_e32 v66, 2, v66
	v_lshl_or_b32 v135, v65, 2, v66
	s_waitcnt lgkmcnt(0)
	v_add_nc_u16 v67, v130, 1
	ds_store_b16 v117, v67
	ds_load_u16 v132, v120
	s_waitcnt lgkmcnt(0)
	v_add_nc_u16 v67, v132, 1
	ds_store_b16 v120, v67
	ds_load_u16 v134, v118
	;; [unrolled: 4-line block ×9, first 2 shown]
	s_waitcnt lgkmcnt(0)
	v_add_nc_u16 v65, v142, 1
	ds_store_b16 v135, v65
	s_waitcnt lgkmcnt(0)
	s_barrier
	buffer_gl0_inv
	ds_load_2addr_b32 v[67:68], v73 offset1:1
	ds_load_2addr_b32 v[69:70], v73 offset0:2 offset1:3
	ds_load_2addr_b32 v[71:72], v73 offset0:4 offset1:5
	;; [unrolled: 1-line block ×3, first 2 shown]
	s_waitcnt lgkmcnt(3)
	v_add_nc_u32_e32 v143, v68, v67
	s_waitcnt lgkmcnt(2)
	s_delay_alu instid0(VALU_DEP_1) | instskip(SKIP_1) | instid1(VALU_DEP_1)
	v_add3_u32 v143, v143, v69, v70
	s_waitcnt lgkmcnt(1)
	v_add3_u32 v143, v143, v71, v72
	s_waitcnt lgkmcnt(0)
	s_delay_alu instid0(VALU_DEP_1) | instskip(NEXT) | instid1(VALU_DEP_1)
	v_add3_u32 v66, v143, v65, v66
	v_mov_b32_dpp v143, v66 row_shr:1 row_mask:0xf bank_mask:0xf
	s_delay_alu instid0(VALU_DEP_1) | instskip(NEXT) | instid1(VALU_DEP_1)
	v_cndmask_b32_e64 v143, v143, 0, s2
	v_add_nc_u32_e32 v66, v143, v66
	s_delay_alu instid0(VALU_DEP_1) | instskip(NEXT) | instid1(VALU_DEP_1)
	v_mov_b32_dpp v143, v66 row_shr:2 row_mask:0xf bank_mask:0xf
	v_cndmask_b32_e64 v143, 0, v143, s3
	s_delay_alu instid0(VALU_DEP_1) | instskip(NEXT) | instid1(VALU_DEP_1)
	v_add_nc_u32_e32 v66, v66, v143
	v_mov_b32_dpp v143, v66 row_shr:4 row_mask:0xf bank_mask:0xf
	s_delay_alu instid0(VALU_DEP_1) | instskip(NEXT) | instid1(VALU_DEP_1)
	v_cndmask_b32_e64 v143, 0, v143, s4
	v_add_nc_u32_e32 v66, v66, v143
	s_delay_alu instid0(VALU_DEP_1) | instskip(NEXT) | instid1(VALU_DEP_1)
	v_mov_b32_dpp v143, v66 row_shr:8 row_mask:0xf bank_mask:0xf
	v_cndmask_b32_e64 v143, 0, v143, s5
	s_delay_alu instid0(VALU_DEP_1) | instskip(SKIP_3) | instid1(VALU_DEP_1)
	v_add_nc_u32_e32 v66, v66, v143
	ds_swizzle_b32 v143, v66 offset:swizzle(BROADCAST,32,15)
	s_waitcnt lgkmcnt(0)
	v_cndmask_b32_e64 v143, v143, 0, s6
	v_add_nc_u32_e32 v66, v66, v143
	s_and_saveexec_b32 s10, s7
	s_cbranch_execz .LBB103_8
; %bb.7:                                ;   in Loop: Header=BB103_4 Depth=2
	ds_store_b32 v76, v66 offset:4096
.LBB103_8:                              ;   in Loop: Header=BB103_4 Depth=2
	s_or_b32 exec_lo, exec_lo, s10
	s_waitcnt lgkmcnt(0)
	s_barrier
	buffer_gl0_inv
	s_and_saveexec_b32 s10, vcc_lo
	s_cbranch_execz .LBB103_10
; %bb.9:                                ;   in Loop: Header=BB103_4 Depth=2
	ds_load_b32 v143, v75 offset:4096
	s_waitcnt lgkmcnt(0)
	v_mov_b32_dpp v144, v143 row_shr:1 row_mask:0xf bank_mask:0xf
	s_delay_alu instid0(VALU_DEP_1) | instskip(NEXT) | instid1(VALU_DEP_1)
	v_cndmask_b32_e64 v144, v144, 0, s8
	v_add_nc_u32_e32 v143, v144, v143
	s_delay_alu instid0(VALU_DEP_1) | instskip(NEXT) | instid1(VALU_DEP_1)
	v_mov_b32_dpp v144, v143 row_shr:2 row_mask:0xf bank_mask:0xf
	v_cndmask_b32_e64 v144, 0, v144, s9
	s_delay_alu instid0(VALU_DEP_1)
	v_add_nc_u32_e32 v143, v143, v144
	ds_store_b32 v75, v143 offset:4096
.LBB103_10:                             ;   in Loop: Header=BB103_4 Depth=2
	s_or_b32 exec_lo, exec_lo, s10
	v_mov_b32_e32 v143, 0
	s_waitcnt lgkmcnt(0)
	s_barrier
	buffer_gl0_inv
	s_and_saveexec_b32 s10, s0
	s_cbranch_execz .LBB103_3
; %bb.11:                               ;   in Loop: Header=BB103_4 Depth=2
	ds_load_b32 v143, v76 offset:4092
	s_branch .LBB103_3
.LBB103_12:
	ds_load_u16 v32, v92
	ds_load_u16 v33, v90
	;; [unrolled: 1-line block ×32, first 2 shown]
	v_and_b32_e32 v0, 0xffff, v81
	v_and_b32_e32 v1, 0xffff, v82
	;; [unrolled: 1-line block ×32, first 2 shown]
	s_waitcnt lgkmcnt(24)
	v_add_nc_u32_e32 v0, v39, v0
	v_add_nc_u32_e32 v1, v38, v1
	;; [unrolled: 1-line block ×5, first 2 shown]
	s_lshl_b64 s[0:1], s[12:13], 2
	v_lshlrev_b32_e32 v32, 2, v73
	v_add_nc_u32_e32 v4, v35, v4
	v_add_nc_u32_e32 v5, v34, v5
	;; [unrolled: 1-line block ×3, first 2 shown]
	s_waitcnt lgkmcnt(16)
	v_add_nc_u32_e32 v8, v47, v8
	v_add_nc_u32_e32 v9, v46, v9
	;; [unrolled: 1-line block ×4, first 2 shown]
	s_add_u32 s0, s18, s0
	v_add_nc_u32_e32 v12, v43, v12
	v_add_nc_u32_e32 v13, v42, v13
	;; [unrolled: 1-line block ×4, first 2 shown]
	s_addc_u32 s1, s19, s1
	s_waitcnt lgkmcnt(8)
	v_add_nc_u32_e32 v16, v55, v16
	v_add_nc_u32_e32 v17, v54, v17
	;; [unrolled: 1-line block ×8, first 2 shown]
	s_waitcnt lgkmcnt(0)
	v_add_nc_u32_e32 v24, v63, v24
	v_add_nc_u32_e32 v25, v62, v25
	;; [unrolled: 1-line block ×8, first 2 shown]
	s_clause 0x7
	global_store_b128 v32, v[0:3], s[0:1]
	global_store_b128 v32, v[4:7], s[0:1] offset:16
	global_store_b128 v32, v[8:11], s[0:1] offset:32
	;; [unrolled: 1-line block ×7, first 2 shown]
	s_nop 0
	s_sendmsg sendmsg(MSG_DEALLOC_VGPRS)
	s_endpgm
	.section	.rodata,"a",@progbits
	.p2align	6, 0x0
	.amdhsa_kernel _Z11rank_kernelIxLj4ELb0EL18RadixRankAlgorithm1ELj128ELj32ELj10EEvPKT_Pi
		.amdhsa_group_segment_fixed_size 4112
		.amdhsa_private_segment_fixed_size 0
		.amdhsa_kernarg_size 16
		.amdhsa_user_sgpr_count 15
		.amdhsa_user_sgpr_dispatch_ptr 0
		.amdhsa_user_sgpr_queue_ptr 0
		.amdhsa_user_sgpr_kernarg_segment_ptr 1
		.amdhsa_user_sgpr_dispatch_id 0
		.amdhsa_user_sgpr_private_segment_size 0
		.amdhsa_wavefront_size32 1
		.amdhsa_uses_dynamic_stack 0
		.amdhsa_enable_private_segment 0
		.amdhsa_system_sgpr_workgroup_id_x 1
		.amdhsa_system_sgpr_workgroup_id_y 0
		.amdhsa_system_sgpr_workgroup_id_z 0
		.amdhsa_system_sgpr_workgroup_info 0
		.amdhsa_system_vgpr_workitem_id 0
		.amdhsa_next_free_vgpr 145
		.amdhsa_next_free_sgpr 20
		.amdhsa_reserve_vcc 1
		.amdhsa_float_round_mode_32 0
		.amdhsa_float_round_mode_16_64 0
		.amdhsa_float_denorm_mode_32 3
		.amdhsa_float_denorm_mode_16_64 3
		.amdhsa_dx10_clamp 1
		.amdhsa_ieee_mode 1
		.amdhsa_fp16_overflow 0
		.amdhsa_workgroup_processor_mode 1
		.amdhsa_memory_ordered 1
		.amdhsa_forward_progress 0
		.amdhsa_shared_vgpr_count 0
		.amdhsa_exception_fp_ieee_invalid_op 0
		.amdhsa_exception_fp_denorm_src 0
		.amdhsa_exception_fp_ieee_div_zero 0
		.amdhsa_exception_fp_ieee_overflow 0
		.amdhsa_exception_fp_ieee_underflow 0
		.amdhsa_exception_fp_ieee_inexact 0
		.amdhsa_exception_int_div_zero 0
	.end_amdhsa_kernel
	.section	.text._Z11rank_kernelIxLj4ELb0EL18RadixRankAlgorithm1ELj128ELj32ELj10EEvPKT_Pi,"axG",@progbits,_Z11rank_kernelIxLj4ELb0EL18RadixRankAlgorithm1ELj128ELj32ELj10EEvPKT_Pi,comdat
.Lfunc_end103:
	.size	_Z11rank_kernelIxLj4ELb0EL18RadixRankAlgorithm1ELj128ELj32ELj10EEvPKT_Pi, .Lfunc_end103-_Z11rank_kernelIxLj4ELb0EL18RadixRankAlgorithm1ELj128ELj32ELj10EEvPKT_Pi
                                        ; -- End function
	.section	.AMDGPU.csdata,"",@progbits
; Kernel info:
; codeLenInByte = 4456
; NumSgprs: 22
; NumVgprs: 145
; ScratchSize: 0
; MemoryBound: 1
; FloatMode: 240
; IeeeMode: 1
; LDSByteSize: 4112 bytes/workgroup (compile time only)
; SGPRBlocks: 2
; VGPRBlocks: 18
; NumSGPRsForWavesPerEU: 22
; NumVGPRsForWavesPerEU: 145
; Occupancy: 9
; WaveLimiterHint : 0
; COMPUTE_PGM_RSRC2:SCRATCH_EN: 0
; COMPUTE_PGM_RSRC2:USER_SGPR: 15
; COMPUTE_PGM_RSRC2:TRAP_HANDLER: 0
; COMPUTE_PGM_RSRC2:TGID_X_EN: 1
; COMPUTE_PGM_RSRC2:TGID_Y_EN: 0
; COMPUTE_PGM_RSRC2:TGID_Z_EN: 0
; COMPUTE_PGM_RSRC2:TIDIG_COMP_CNT: 0
	.section	.text._Z11rank_kernelIxLj4ELb0EL18RadixRankAlgorithm2ELj128ELj32ELj10EEvPKT_Pi,"axG",@progbits,_Z11rank_kernelIxLj4ELb0EL18RadixRankAlgorithm2ELj128ELj32ELj10EEvPKT_Pi,comdat
	.protected	_Z11rank_kernelIxLj4ELb0EL18RadixRankAlgorithm2ELj128ELj32ELj10EEvPKT_Pi ; -- Begin function _Z11rank_kernelIxLj4ELb0EL18RadixRankAlgorithm2ELj128ELj32ELj10EEvPKT_Pi
	.globl	_Z11rank_kernelIxLj4ELb0EL18RadixRankAlgorithm2ELj128ELj32ELj10EEvPKT_Pi
	.p2align	8
	.type	_Z11rank_kernelIxLj4ELb0EL18RadixRankAlgorithm2ELj128ELj32ELj10EEvPKT_Pi,@function
_Z11rank_kernelIxLj4ELb0EL18RadixRankAlgorithm2ELj128ELj32ELj10EEvPKT_Pi: ; @_Z11rank_kernelIxLj4ELb0EL18RadixRankAlgorithm2ELj128ELj32ELj10EEvPKT_Pi
; %bb.0:
	s_clause 0x1
	s_load_b128 s[16:19], s[0:1], 0x0
	s_load_b32 s7, s[0:1], 0x1c
	v_and_b32_e32 v67, 0x3ff, v0
	s_mov_b32 s13, 0
	s_lshl_b32 s12, s15, 12
	v_mbcnt_lo_u32_b32 v68, -1, 0
	s_lshl_b64 s[2:3], s[12:13], 3
	v_lshlrev_b32_e32 v61, 8, v67
	v_mov_b32_e32 v65, 0
	v_bfe_u32 v69, v0, 10, 10
	v_and_b32_e32 v72, 16, v68
	v_bfe_u32 v70, v0, 20, 10
	v_add_nc_u32_e32 v73, -1, v68
	v_and_b32_e32 v71, 15, v68
	v_cmp_eq_u32_e32 vcc_lo, 0, v68
	v_cmp_eq_u32_e64 s4, 0, v72
	v_and_b32_e32 v74, 3, v68
	v_lshlrev_b32_e32 v0, 5, v67
	v_lshlrev_b32_e32 v66, 2, v67
	v_cmp_lt_u32_e64 s6, 31, v67
	s_waitcnt lgkmcnt(0)
	s_add_u32 s0, s16, s2
	s_addc_u32 s1, s17, s3
	s_lshr_b32 s5, s7, 16
	s_clause 0xf
	global_load_b128 v[1:4], v61, s[0:1]
	global_load_b128 v[5:8], v61, s[0:1] offset:16
	global_load_b128 v[9:12], v61, s[0:1] offset:32
	global_load_b128 v[13:16], v61, s[0:1] offset:48
	global_load_b128 v[17:20], v61, s[0:1] offset:64
	global_load_b128 v[21:24], v61, s[0:1] offset:80
	global_load_b128 v[25:28], v61, s[0:1] offset:96
	global_load_b128 v[29:32], v61, s[0:1] offset:112
	global_load_b128 v[33:36], v61, s[0:1] offset:128
	global_load_b128 v[37:40], v61, s[0:1] offset:144
	global_load_b128 v[41:44], v61, s[0:1] offset:160
	global_load_b128 v[45:48], v61, s[0:1] offset:176
	global_load_b128 v[49:52], v61, s[0:1] offset:192
	global_load_b128 v[53:56], v61, s[0:1] offset:208
	global_load_b128 v[57:60], v61, s[0:1] offset:224
	global_load_b128 v[61:64], v61, s[0:1] offset:240
	v_mad_u32_u24 v72, v70, s5, v69
	s_and_b32 s7, s7, 0xffff
	v_cmp_eq_u32_e64 s0, 0, v71
	v_cmp_lt_u32_e64 s1, 1, v71
	v_cmp_lt_u32_e64 s2, 3, v71
	v_mad_u64_u32 v[69:70], null, v72, s7, v[67:68]
	v_cmp_gt_i32_e64 s7, 0, v73
	v_cmp_lt_u32_e64 s3, 7, v71
	v_or_b32_e32 v71, 31, v67
	v_lshrrev_b32_e32 v70, 3, v67
	v_cmp_gt_u32_e64 s5, 4, v67
	v_cndmask_b32_e64 v68, v73, v68, s7
	v_cmp_eq_u32_e64 s7, 0, v74
	v_cmp_eq_u32_e64 s9, v71, v67
	v_cmp_lt_u32_e64 s8, 1, v74
	v_lshrrev_b32_e32 v69, 5, v69
	v_lshlrev_b32_e32 v67, 2, v68
	v_and_b32_e32 v68, 12, v70
	s_mov_b32 s16, s13
	s_delay_alu instid0(VALU_DEP_1)
	v_add_nc_u32_e32 v70, -4, v68
	s_waitcnt vmcnt(15)
	v_xor_b32_e32 v2, 0x80000000, v2
	v_xor_b32_e32 v4, 0x80000000, v4
	s_waitcnt vmcnt(14)
	v_xor_b32_e32 v6, 0x80000000, v6
	v_xor_b32_e32 v8, 0x80000000, v8
	;; [unrolled: 3-line block ×16, first 2 shown]
	s_branch .LBB104_2
.LBB104_1:                              ;   in Loop: Header=BB104_2 Depth=1
	s_add_i32 s16, s16, 1
	s_delay_alu instid0(SALU_CYCLE_1)
	s_cmp_eq_u32 s16, 10
	s_cbranch_scc1 .LBB104_74
.LBB104_2:                              ; =>This Loop Header: Depth=1
                                        ;     Child Loop BB104_4 Depth 2
	s_mov_b64 s[14:15], 60
	s_mov_b32 s17, -4
	s_branch .LBB104_4
.LBB104_3:                              ;   in Loop: Header=BB104_4 Depth=2
	s_or_b32 exec_lo, exec_lo, s10
	s_waitcnt lgkmcnt(0)
	v_add_nc_u32_e32 v166, v167, v166
	s_add_i32 s17, s17, 4
	s_add_u32 s14, s14, -4
	s_addc_u32 s15, s15, -1
	s_cmp_lt_u32 s17, 60
	ds_bpermute_b32 v166, v67, v166
	s_waitcnt lgkmcnt(0)
	v_cndmask_b32_e32 v166, v166, v167, vcc_lo
	ds_store_b32 v66, v166 offset:16
	s_waitcnt lgkmcnt(0)
	s_barrier
	buffer_gl0_inv
	s_cbranch_scc0 .LBB104_1
.LBB104_4:                              ;   Parent Loop BB104_2 Depth=1
                                        ; =>  This Inner Loop Header: Depth=2
	v_lshlrev_b64 v[71:72], s14, v[1:2]
	ds_store_b32 v66, v65 offset:16
	s_waitcnt lgkmcnt(0)
	s_barrier
	buffer_gl0_inv
	v_bfe_u32 v71, v72, 28, 1
	v_lshrrev_b32_e32 v74, 28, v72
	v_and_b32_e32 v72, 0xf0000000, v72
	; wave barrier
	s_delay_alu instid0(VALU_DEP_3) | instskip(NEXT) | instid1(VALU_DEP_1)
	v_add_co_u32 v71, s10, v71, -1
	v_cndmask_b32_e64 v73, 0, 1, s10
	s_delay_alu instid0(VALU_DEP_4) | instskip(SKIP_2) | instid1(VALU_DEP_4)
	v_lshlrev_b32_e32 v75, 30, v74
	v_lshlrev_b32_e32 v76, 29, v74
	v_not_b32_e32 v77, v72
	v_cmp_ne_u32_e64 s10, 0, v73
	s_delay_alu instid0(VALU_DEP_4) | instskip(SKIP_2) | instid1(VALU_DEP_4)
	v_not_b32_e32 v73, v75
	v_cmp_gt_i32_e64 s11, 0, v75
	v_not_b32_e32 v75, v76
	v_xor_b32_e32 v71, s10, v71
	s_delay_alu instid0(VALU_DEP_4) | instskip(SKIP_1) | instid1(VALU_DEP_4)
	v_ashrrev_i32_e32 v73, 31, v73
	v_cmp_gt_i32_e64 s10, 0, v76
	v_ashrrev_i32_e32 v75, 31, v75
	s_delay_alu instid0(VALU_DEP_4) | instskip(NEXT) | instid1(VALU_DEP_4)
	v_and_b32_e32 v71, exec_lo, v71
	v_xor_b32_e32 v73, s11, v73
	v_cmp_gt_i32_e64 s11, 0, v72
	v_ashrrev_i32_e32 v72, 31, v77
	v_xor_b32_e32 v75, s10, v75
	s_delay_alu instid0(VALU_DEP_4) | instskip(NEXT) | instid1(VALU_DEP_3)
	v_and_b32_e32 v71, v71, v73
	v_xor_b32_e32 v72, s11, v72
	s_delay_alu instid0(VALU_DEP_2) | instskip(NEXT) | instid1(VALU_DEP_1)
	v_and_b32_e32 v71, v71, v75
	v_and_b32_e32 v73, v71, v72
	v_mad_u32_u24 v72, v74, 5, v69
	s_delay_alu instid0(VALU_DEP_2) | instskip(SKIP_1) | instid1(VALU_DEP_3)
	v_mbcnt_lo_u32_b32 v71, v73, 0
	v_cmp_ne_u32_e64 s11, 0, v73
	v_lshl_add_u32 v72, v72, 2, 16
	s_delay_alu instid0(VALU_DEP_3) | instskip(NEXT) | instid1(VALU_DEP_1)
	v_cmp_eq_u32_e64 s10, 0, v71
	s_and_b32 s11, s10, s11
	s_delay_alu instid0(SALU_CYCLE_1)
	s_and_saveexec_b32 s10, s11
	s_cbranch_execz .LBB104_6
; %bb.5:                                ;   in Loop: Header=BB104_4 Depth=2
	v_bcnt_u32_b32 v73, v73, 0
	ds_store_b32 v72, v73
.LBB104_6:                              ;   in Loop: Header=BB104_4 Depth=2
	s_or_b32 exec_lo, exec_lo, s10
	v_lshlrev_b64 v[73:74], s14, v[3:4]
	; wave barrier
	s_delay_alu instid0(VALU_DEP_1) | instskip(SKIP_2) | instid1(VALU_DEP_3)
	v_bfe_u32 v73, v74, 28, 1
	v_lshrrev_b32_e32 v75, 28, v74
	v_and_b32_e32 v74, 0xf0000000, v74
	v_add_co_u32 v73, s10, v73, -1
	s_delay_alu instid0(VALU_DEP_1) | instskip(NEXT) | instid1(VALU_DEP_4)
	v_cndmask_b32_e64 v76, 0, 1, s10
	v_lshlrev_b32_e32 v77, 30, v75
	v_lshlrev_b32_e32 v78, 29, v75
	v_not_b32_e32 v79, v74
	v_mul_u32_u24_e32 v75, 5, v75
	v_cmp_ne_u32_e64 s10, 0, v76
	v_not_b32_e32 v76, v77
	v_cmp_gt_i32_e64 s11, 0, v77
	v_not_b32_e32 v77, v78
	v_add_lshl_u32 v75, v75, v69, 2
	v_xor_b32_e32 v73, s10, v73
	v_ashrrev_i32_e32 v76, 31, v76
	v_cmp_gt_i32_e64 s10, 0, v78
	v_ashrrev_i32_e32 v77, 31, v77
	s_delay_alu instid0(VALU_DEP_4) | instskip(NEXT) | instid1(VALU_DEP_4)
	v_and_b32_e32 v73, exec_lo, v73
	v_xor_b32_e32 v76, s11, v76
	v_cmp_gt_i32_e64 s11, 0, v74
	v_ashrrev_i32_e32 v74, 31, v79
	v_xor_b32_e32 v77, s10, v77
	s_delay_alu instid0(VALU_DEP_4) | instskip(NEXT) | instid1(VALU_DEP_3)
	v_and_b32_e32 v73, v73, v76
	v_xor_b32_e32 v74, s11, v74
	s_delay_alu instid0(VALU_DEP_2) | instskip(SKIP_3) | instid1(VALU_DEP_1)
	v_and_b32_e32 v76, v73, v77
	ds_load_b32 v73, v75 offset:16
	v_add_nc_u32_e32 v75, 16, v75
	; wave barrier
	v_and_b32_e32 v76, v76, v74
	v_mbcnt_lo_u32_b32 v74, v76, 0
	v_cmp_ne_u32_e64 s11, 0, v76
	s_delay_alu instid0(VALU_DEP_2) | instskip(NEXT) | instid1(VALU_DEP_1)
	v_cmp_eq_u32_e64 s10, 0, v74
	s_and_b32 s11, s11, s10
	s_delay_alu instid0(SALU_CYCLE_1)
	s_and_saveexec_b32 s10, s11
	s_cbranch_execz .LBB104_8
; %bb.7:                                ;   in Loop: Header=BB104_4 Depth=2
	s_waitcnt lgkmcnt(0)
	v_bcnt_u32_b32 v76, v76, v73
	ds_store_b32 v75, v76
.LBB104_8:                              ;   in Loop: Header=BB104_4 Depth=2
	s_or_b32 exec_lo, exec_lo, s10
	v_lshlrev_b64 v[76:77], s14, v[5:6]
	; wave barrier
	s_delay_alu instid0(VALU_DEP_1) | instskip(SKIP_2) | instid1(VALU_DEP_3)
	v_bfe_u32 v76, v77, 28, 1
	v_lshrrev_b32_e32 v78, 28, v77
	v_and_b32_e32 v77, 0xf0000000, v77
	v_add_co_u32 v76, s10, v76, -1
	s_delay_alu instid0(VALU_DEP_1) | instskip(NEXT) | instid1(VALU_DEP_4)
	v_cndmask_b32_e64 v79, 0, 1, s10
	v_lshlrev_b32_e32 v80, 30, v78
	v_lshlrev_b32_e32 v81, 29, v78
	v_not_b32_e32 v82, v77
	v_mul_u32_u24_e32 v78, 5, v78
	v_cmp_ne_u32_e64 s10, 0, v79
	v_not_b32_e32 v79, v80
	v_cmp_gt_i32_e64 s11, 0, v80
	v_not_b32_e32 v80, v81
	v_add_lshl_u32 v78, v78, v69, 2
	v_xor_b32_e32 v76, s10, v76
	v_ashrrev_i32_e32 v79, 31, v79
	v_cmp_gt_i32_e64 s10, 0, v81
	v_ashrrev_i32_e32 v80, 31, v80
	s_delay_alu instid0(VALU_DEP_4) | instskip(NEXT) | instid1(VALU_DEP_4)
	v_and_b32_e32 v76, exec_lo, v76
	v_xor_b32_e32 v79, s11, v79
	v_cmp_gt_i32_e64 s11, 0, v77
	v_ashrrev_i32_e32 v77, 31, v82
	v_xor_b32_e32 v80, s10, v80
	s_delay_alu instid0(VALU_DEP_4) | instskip(NEXT) | instid1(VALU_DEP_3)
	v_and_b32_e32 v76, v76, v79
	v_xor_b32_e32 v77, s11, v77
	s_delay_alu instid0(VALU_DEP_2) | instskip(SKIP_3) | instid1(VALU_DEP_1)
	v_and_b32_e32 v79, v76, v80
	ds_load_b32 v76, v78 offset:16
	v_add_nc_u32_e32 v78, 16, v78
	; wave barrier
	v_and_b32_e32 v79, v79, v77
	v_mbcnt_lo_u32_b32 v77, v79, 0
	v_cmp_ne_u32_e64 s11, 0, v79
	s_delay_alu instid0(VALU_DEP_2) | instskip(NEXT) | instid1(VALU_DEP_1)
	v_cmp_eq_u32_e64 s10, 0, v77
	s_and_b32 s11, s11, s10
	s_delay_alu instid0(SALU_CYCLE_1)
	s_and_saveexec_b32 s10, s11
	s_cbranch_execz .LBB104_10
; %bb.9:                                ;   in Loop: Header=BB104_4 Depth=2
	s_waitcnt lgkmcnt(0)
	v_bcnt_u32_b32 v79, v79, v76
	ds_store_b32 v78, v79
.LBB104_10:                             ;   in Loop: Header=BB104_4 Depth=2
	s_or_b32 exec_lo, exec_lo, s10
	v_lshlrev_b64 v[79:80], s14, v[7:8]
	; wave barrier
	s_delay_alu instid0(VALU_DEP_1) | instskip(SKIP_2) | instid1(VALU_DEP_3)
	v_bfe_u32 v79, v80, 28, 1
	v_lshrrev_b32_e32 v81, 28, v80
	v_and_b32_e32 v80, 0xf0000000, v80
	v_add_co_u32 v79, s10, v79, -1
	s_delay_alu instid0(VALU_DEP_1) | instskip(NEXT) | instid1(VALU_DEP_4)
	v_cndmask_b32_e64 v82, 0, 1, s10
	v_lshlrev_b32_e32 v83, 30, v81
	v_lshlrev_b32_e32 v84, 29, v81
	v_not_b32_e32 v85, v80
	v_mul_u32_u24_e32 v81, 5, v81
	v_cmp_ne_u32_e64 s10, 0, v82
	v_not_b32_e32 v82, v83
	v_cmp_gt_i32_e64 s11, 0, v83
	v_not_b32_e32 v83, v84
	v_add_lshl_u32 v81, v81, v69, 2
	v_xor_b32_e32 v79, s10, v79
	v_ashrrev_i32_e32 v82, 31, v82
	v_cmp_gt_i32_e64 s10, 0, v84
	v_ashrrev_i32_e32 v83, 31, v83
	s_delay_alu instid0(VALU_DEP_4) | instskip(NEXT) | instid1(VALU_DEP_4)
	v_and_b32_e32 v79, exec_lo, v79
	v_xor_b32_e32 v82, s11, v82
	v_cmp_gt_i32_e64 s11, 0, v80
	v_ashrrev_i32_e32 v80, 31, v85
	v_xor_b32_e32 v83, s10, v83
	s_delay_alu instid0(VALU_DEP_4) | instskip(NEXT) | instid1(VALU_DEP_3)
	v_and_b32_e32 v79, v79, v82
	v_xor_b32_e32 v80, s11, v80
	s_delay_alu instid0(VALU_DEP_2) | instskip(SKIP_3) | instid1(VALU_DEP_1)
	v_and_b32_e32 v82, v79, v83
	ds_load_b32 v79, v81 offset:16
	v_add_nc_u32_e32 v81, 16, v81
	; wave barrier
	v_and_b32_e32 v82, v82, v80
	v_mbcnt_lo_u32_b32 v80, v82, 0
	v_cmp_ne_u32_e64 s11, 0, v82
	s_delay_alu instid0(VALU_DEP_2) | instskip(NEXT) | instid1(VALU_DEP_1)
	v_cmp_eq_u32_e64 s10, 0, v80
	s_and_b32 s11, s11, s10
	s_delay_alu instid0(SALU_CYCLE_1)
	s_and_saveexec_b32 s10, s11
	s_cbranch_execz .LBB104_12
; %bb.11:                               ;   in Loop: Header=BB104_4 Depth=2
	s_waitcnt lgkmcnt(0)
	v_bcnt_u32_b32 v82, v82, v79
	ds_store_b32 v81, v82
.LBB104_12:                             ;   in Loop: Header=BB104_4 Depth=2
	s_or_b32 exec_lo, exec_lo, s10
	v_lshlrev_b64 v[82:83], s14, v[9:10]
	; wave barrier
	s_delay_alu instid0(VALU_DEP_1) | instskip(SKIP_2) | instid1(VALU_DEP_3)
	v_bfe_u32 v82, v83, 28, 1
	v_lshrrev_b32_e32 v84, 28, v83
	v_and_b32_e32 v83, 0xf0000000, v83
	v_add_co_u32 v82, s10, v82, -1
	s_delay_alu instid0(VALU_DEP_1) | instskip(NEXT) | instid1(VALU_DEP_4)
	v_cndmask_b32_e64 v85, 0, 1, s10
	v_lshlrev_b32_e32 v86, 30, v84
	v_lshlrev_b32_e32 v87, 29, v84
	v_not_b32_e32 v88, v83
	v_mul_u32_u24_e32 v84, 5, v84
	v_cmp_ne_u32_e64 s10, 0, v85
	v_not_b32_e32 v85, v86
	v_cmp_gt_i32_e64 s11, 0, v86
	v_not_b32_e32 v86, v87
	v_add_lshl_u32 v84, v84, v69, 2
	v_xor_b32_e32 v82, s10, v82
	v_ashrrev_i32_e32 v85, 31, v85
	v_cmp_gt_i32_e64 s10, 0, v87
	v_ashrrev_i32_e32 v86, 31, v86
	s_delay_alu instid0(VALU_DEP_4) | instskip(NEXT) | instid1(VALU_DEP_4)
	v_and_b32_e32 v82, exec_lo, v82
	v_xor_b32_e32 v85, s11, v85
	v_cmp_gt_i32_e64 s11, 0, v83
	v_ashrrev_i32_e32 v83, 31, v88
	v_xor_b32_e32 v86, s10, v86
	s_delay_alu instid0(VALU_DEP_4) | instskip(NEXT) | instid1(VALU_DEP_3)
	v_and_b32_e32 v82, v82, v85
	v_xor_b32_e32 v83, s11, v83
	s_delay_alu instid0(VALU_DEP_2) | instskip(SKIP_3) | instid1(VALU_DEP_1)
	v_and_b32_e32 v85, v82, v86
	ds_load_b32 v82, v84 offset:16
	v_add_nc_u32_e32 v84, 16, v84
	; wave barrier
	v_and_b32_e32 v85, v85, v83
	v_mbcnt_lo_u32_b32 v83, v85, 0
	v_cmp_ne_u32_e64 s11, 0, v85
	s_delay_alu instid0(VALU_DEP_2) | instskip(NEXT) | instid1(VALU_DEP_1)
	v_cmp_eq_u32_e64 s10, 0, v83
	s_and_b32 s11, s11, s10
	s_delay_alu instid0(SALU_CYCLE_1)
	s_and_saveexec_b32 s10, s11
	s_cbranch_execz .LBB104_14
; %bb.13:                               ;   in Loop: Header=BB104_4 Depth=2
	s_waitcnt lgkmcnt(0)
	v_bcnt_u32_b32 v85, v85, v82
	ds_store_b32 v84, v85
.LBB104_14:                             ;   in Loop: Header=BB104_4 Depth=2
	;; [unrolled: 51-line block ×29, first 2 shown]
	s_or_b32 exec_lo, exec_lo, s10
	; wave barrier
	s_waitcnt lgkmcnt(0)
	s_barrier
	buffer_gl0_inv
	ds_load_b32 v166, v66 offset:16
	s_waitcnt lgkmcnt(0)
	v_mov_b32_dpp v167, v166 row_shr:1 row_mask:0xf bank_mask:0xf
	s_delay_alu instid0(VALU_DEP_1) | instskip(NEXT) | instid1(VALU_DEP_1)
	v_cndmask_b32_e64 v167, v167, 0, s0
	v_add_nc_u32_e32 v166, v167, v166
	s_delay_alu instid0(VALU_DEP_1) | instskip(NEXT) | instid1(VALU_DEP_1)
	v_mov_b32_dpp v167, v166 row_shr:2 row_mask:0xf bank_mask:0xf
	v_cndmask_b32_e64 v167, 0, v167, s1
	s_delay_alu instid0(VALU_DEP_1) | instskip(NEXT) | instid1(VALU_DEP_1)
	v_add_nc_u32_e32 v166, v166, v167
	v_mov_b32_dpp v167, v166 row_shr:4 row_mask:0xf bank_mask:0xf
	s_delay_alu instid0(VALU_DEP_1) | instskip(NEXT) | instid1(VALU_DEP_1)
	v_cndmask_b32_e64 v167, 0, v167, s2
	v_add_nc_u32_e32 v166, v166, v167
	s_delay_alu instid0(VALU_DEP_1) | instskip(NEXT) | instid1(VALU_DEP_1)
	v_mov_b32_dpp v167, v166 row_shr:8 row_mask:0xf bank_mask:0xf
	v_cndmask_b32_e64 v167, 0, v167, s3
	s_delay_alu instid0(VALU_DEP_1) | instskip(SKIP_3) | instid1(VALU_DEP_1)
	v_add_nc_u32_e32 v166, v166, v167
	ds_swizzle_b32 v167, v166 offset:swizzle(BROADCAST,32,15)
	s_waitcnt lgkmcnt(0)
	v_cndmask_b32_e64 v167, v167, 0, s4
	v_add_nc_u32_e32 v166, v166, v167
	s_and_saveexec_b32 s10, s9
	s_delay_alu instid0(SALU_CYCLE_1)
	s_xor_b32 s10, exec_lo, s10
	s_cbranch_execz .LBB104_70
; %bb.69:                               ;   in Loop: Header=BB104_4 Depth=2
	ds_store_b32 v68, v166
.LBB104_70:                             ;   in Loop: Header=BB104_4 Depth=2
	s_or_b32 exec_lo, exec_lo, s10
	s_waitcnt lgkmcnt(0)
	s_barrier
	buffer_gl0_inv
	s_and_saveexec_b32 s10, s5
	s_cbranch_execz .LBB104_72
; %bb.71:                               ;   in Loop: Header=BB104_4 Depth=2
	ds_load_b32 v167, v66
	s_waitcnt lgkmcnt(0)
	v_mov_b32_dpp v168, v167 row_shr:1 row_mask:0xf bank_mask:0xf
	s_delay_alu instid0(VALU_DEP_1) | instskip(NEXT) | instid1(VALU_DEP_1)
	v_cndmask_b32_e64 v168, v168, 0, s7
	v_add_nc_u32_e32 v167, v168, v167
	s_delay_alu instid0(VALU_DEP_1) | instskip(NEXT) | instid1(VALU_DEP_1)
	v_mov_b32_dpp v168, v167 row_shr:2 row_mask:0xf bank_mask:0xf
	v_cndmask_b32_e64 v168, 0, v168, s8
	s_delay_alu instid0(VALU_DEP_1)
	v_add_nc_u32_e32 v167, v167, v168
	ds_store_b32 v66, v167
.LBB104_72:                             ;   in Loop: Header=BB104_4 Depth=2
	s_or_b32 exec_lo, exec_lo, s10
	v_mov_b32_e32 v167, 0
	s_waitcnt lgkmcnt(0)
	s_barrier
	buffer_gl0_inv
	s_and_saveexec_b32 s10, s6
	s_cbranch_execz .LBB104_3
; %bb.73:                               ;   in Loop: Header=BB104_4 Depth=2
	ds_load_b32 v167, v70
	s_branch .LBB104_3
.LBB104_74:
	ds_load_b32 v1, v75
	ds_load_b32 v3, v78
	;; [unrolled: 1-line block ×32, first 2 shown]
	s_lshl_b64 s[0:1], s[12:13], 2
	v_lshlrev_b32_e32 v0, 2, v0
	s_add_u32 s0, s18, s0
	s_waitcnt lgkmcnt(31)
	v_add3_u32 v2, v74, v73, v1
	s_waitcnt lgkmcnt(30)
	v_add3_u32 v3, v77, v76, v3
	;; [unrolled: 2-line block ×3, first 2 shown]
	s_waitcnt lgkmcnt(28)
	v_add_nc_u32_e32 v1, v5, v71
	s_waitcnt lgkmcnt(27)
	v_add3_u32 v8, v92, v91, v8
	s_waitcnt lgkmcnt(26)
	v_add3_u32 v7, v89, v88, v7
	s_waitcnt lgkmcnt(25)
	v_add3_u32 v6, v86, v85, v6
	s_waitcnt lgkmcnt(24)
	v_add3_u32 v5, v83, v82, v9
	s_waitcnt lgkmcnt(23)
	v_add3_u32 v16, v116, v115, v16
	s_waitcnt lgkmcnt(22)
	v_add3_u32 v15, v113, v112, v15
	s_waitcnt lgkmcnt(21)
	v_add3_u32 v14, v110, v109, v14
	s_waitcnt lgkmcnt(20)
	v_add3_u32 v13, v107, v106, v13
	s_waitcnt lgkmcnt(19)
	v_add3_u32 v12, v104, v103, v12
	s_waitcnt lgkmcnt(18)
	v_add3_u32 v11, v101, v100, v11
	s_waitcnt lgkmcnt(17)
	v_add3_u32 v10, v98, v97, v10
	s_waitcnt lgkmcnt(16)
	v_add3_u32 v9, v95, v94, v17
	s_addc_u32 s1, s19, s1
	s_waitcnt lgkmcnt(8)
	v_add3_u32 v17, v119, v118, v25
	v_add3_u32 v18, v122, v121, v18
	v_add3_u32 v19, v125, v124, v19
	v_add3_u32 v20, v128, v127, v20
	v_add3_u32 v21, v131, v130, v21
	v_add3_u32 v22, v134, v133, v22
	v_add3_u32 v23, v137, v136, v23
	v_add3_u32 v24, v140, v139, v24
	s_waitcnt lgkmcnt(0)
	v_add3_u32 v25, v143, v142, v33
	v_add3_u32 v26, v146, v145, v26
	;; [unrolled: 1-line block ×8, first 2 shown]
	s_clause 0x7
	global_store_b128 v0, v[1:4], s[0:1]
	global_store_b128 v0, v[5:8], s[0:1] offset:16
	global_store_b128 v0, v[9:12], s[0:1] offset:32
	;; [unrolled: 1-line block ×7, first 2 shown]
	s_nop 0
	s_sendmsg sendmsg(MSG_DEALLOC_VGPRS)
	s_endpgm
	.section	.rodata,"a",@progbits
	.p2align	6, 0x0
	.amdhsa_kernel _Z11rank_kernelIxLj4ELb0EL18RadixRankAlgorithm2ELj128ELj32ELj10EEvPKT_Pi
		.amdhsa_group_segment_fixed_size 528
		.amdhsa_private_segment_fixed_size 0
		.amdhsa_kernarg_size 272
		.amdhsa_user_sgpr_count 15
		.amdhsa_user_sgpr_dispatch_ptr 0
		.amdhsa_user_sgpr_queue_ptr 0
		.amdhsa_user_sgpr_kernarg_segment_ptr 1
		.amdhsa_user_sgpr_dispatch_id 0
		.amdhsa_user_sgpr_private_segment_size 0
		.amdhsa_wavefront_size32 1
		.amdhsa_uses_dynamic_stack 0
		.amdhsa_enable_private_segment 0
		.amdhsa_system_sgpr_workgroup_id_x 1
		.amdhsa_system_sgpr_workgroup_id_y 0
		.amdhsa_system_sgpr_workgroup_id_z 0
		.amdhsa_system_sgpr_workgroup_info 0
		.amdhsa_system_vgpr_workitem_id 2
		.amdhsa_next_free_vgpr 170
		.amdhsa_next_free_sgpr 20
		.amdhsa_reserve_vcc 1
		.amdhsa_float_round_mode_32 0
		.amdhsa_float_round_mode_16_64 0
		.amdhsa_float_denorm_mode_32 3
		.amdhsa_float_denorm_mode_16_64 3
		.amdhsa_dx10_clamp 1
		.amdhsa_ieee_mode 1
		.amdhsa_fp16_overflow 0
		.amdhsa_workgroup_processor_mode 1
		.amdhsa_memory_ordered 1
		.amdhsa_forward_progress 0
		.amdhsa_shared_vgpr_count 0
		.amdhsa_exception_fp_ieee_invalid_op 0
		.amdhsa_exception_fp_denorm_src 0
		.amdhsa_exception_fp_ieee_div_zero 0
		.amdhsa_exception_fp_ieee_overflow 0
		.amdhsa_exception_fp_ieee_underflow 0
		.amdhsa_exception_fp_ieee_inexact 0
		.amdhsa_exception_int_div_zero 0
	.end_amdhsa_kernel
	.section	.text._Z11rank_kernelIxLj4ELb0EL18RadixRankAlgorithm2ELj128ELj32ELj10EEvPKT_Pi,"axG",@progbits,_Z11rank_kernelIxLj4ELb0EL18RadixRankAlgorithm2ELj128ELj32ELj10EEvPKT_Pi,comdat
.Lfunc_end104:
	.size	_Z11rank_kernelIxLj4ELb0EL18RadixRankAlgorithm2ELj128ELj32ELj10EEvPKT_Pi, .Lfunc_end104-_Z11rank_kernelIxLj4ELb0EL18RadixRankAlgorithm2ELj128ELj32ELj10EEvPKT_Pi
                                        ; -- End function
	.section	.AMDGPU.csdata,"",@progbits
; Kernel info:
; codeLenInByte = 9912
; NumSgprs: 22
; NumVgprs: 170
; ScratchSize: 0
; MemoryBound: 0
; FloatMode: 240
; IeeeMode: 1
; LDSByteSize: 528 bytes/workgroup (compile time only)
; SGPRBlocks: 2
; VGPRBlocks: 21
; NumSGPRsForWavesPerEU: 22
; NumVGPRsForWavesPerEU: 170
; Occupancy: 8
; WaveLimiterHint : 0
; COMPUTE_PGM_RSRC2:SCRATCH_EN: 0
; COMPUTE_PGM_RSRC2:USER_SGPR: 15
; COMPUTE_PGM_RSRC2:TRAP_HANDLER: 0
; COMPUTE_PGM_RSRC2:TGID_X_EN: 1
; COMPUTE_PGM_RSRC2:TGID_Y_EN: 0
; COMPUTE_PGM_RSRC2:TGID_Z_EN: 0
; COMPUTE_PGM_RSRC2:TIDIG_COMP_CNT: 2
	.section	.text._Z11rank_kernelIxLj4ELb0EL18RadixRankAlgorithm0ELj256ELj1ELj10EEvPKT_Pi,"axG",@progbits,_Z11rank_kernelIxLj4ELb0EL18RadixRankAlgorithm0ELj256ELj1ELj10EEvPKT_Pi,comdat
	.protected	_Z11rank_kernelIxLj4ELb0EL18RadixRankAlgorithm0ELj256ELj1ELj10EEvPKT_Pi ; -- Begin function _Z11rank_kernelIxLj4ELb0EL18RadixRankAlgorithm0ELj256ELj1ELj10EEvPKT_Pi
	.globl	_Z11rank_kernelIxLj4ELb0EL18RadixRankAlgorithm0ELj256ELj1ELj10EEvPKT_Pi
	.p2align	8
	.type	_Z11rank_kernelIxLj4ELb0EL18RadixRankAlgorithm0ELj256ELj1ELj10EEvPKT_Pi,@function
_Z11rank_kernelIxLj4ELb0EL18RadixRankAlgorithm0ELj256ELj1ELj10EEvPKT_Pi: ; @_Z11rank_kernelIxLj4ELb0EL18RadixRankAlgorithm0ELj256ELj1ELj10EEvPKT_Pi
; %bb.0:
	s_load_b128 s[16:19], s[0:1], 0x0
	s_mov_b32 s13, 0
	s_lshl_b32 s12, s15, 8
	v_lshlrev_b32_e32 v1, 3, v0
	s_lshl_b64 s[0:1], s[12:13], 3
	v_mbcnt_lo_u32_b32 v6, -1, 0
	v_or_b32_e32 v9, 31, v0
	v_lshrrev_b32_e32 v11, 3, v0
	v_dual_mov_b32 v3, 0 :: v_dual_lshlrev_b32 v4, 5, v0
	s_delay_alu instid0(VALU_DEP_4)
	v_add_nc_u32_e32 v10, -1, v6
	v_and_b32_e32 v7, 15, v6
	v_and_b32_e32 v8, 16, v6
	;; [unrolled: 1-line block ×3, first 2 shown]
	v_cmp_gt_u32_e32 vcc_lo, 8, v0
	v_cmp_gt_i32_e64 s8, 0, v10
	v_cmp_eq_u32_e64 s2, 0, v7
	v_cmp_lt_u32_e64 s3, 1, v7
	v_cmp_lt_u32_e64 s4, 3, v7
	;; [unrolled: 1-line block ×3, first 2 shown]
	s_waitcnt lgkmcnt(0)
	s_add_u32 s0, s16, s0
	s_addc_u32 s1, s17, s1
	v_cndmask_b32_e64 v7, v10, v6, s8
	global_load_b64 v[1:2], v1, s[0:1]
	v_cmp_lt_u32_e64 s0, 31, v0
	v_cmp_eq_u32_e64 s1, 0, v6
	v_lshlrev_b32_e32 v5, 2, v0
	v_cmp_eq_u32_e64 s6, 0, v8
	v_cmp_eq_u32_e64 s7, v9, v0
	v_and_b32_e32 v6, 28, v11
	v_cmp_eq_u32_e64 s8, 0, v12
	v_cmp_lt_u32_e64 s9, 1, v12
	v_cmp_lt_u32_e64 s10, 3, v12
	v_lshlrev_b32_e32 v7, 2, v7
	v_or_b32_e32 v8, 0xffffff00, v0
	s_mov_b32 s14, s13
	s_waitcnt vmcnt(0)
	v_xor_b32_e32 v2, 0x80000000, v2
	s_branch .LBB105_2
.LBB105_1:                              ;   in Loop: Header=BB105_2 Depth=1
	s_add_i32 s14, s14, 1
	s_delay_alu instid0(SALU_CYCLE_1)
	s_cmp_eq_u32 s14, 10
	s_cbranch_scc1 .LBB105_12
.LBB105_2:                              ; =>This Loop Header: Depth=1
                                        ;     Child Loop BB105_4 Depth 2
                                        ;       Child Loop BB105_5 Depth 3
	s_mov_b32 s15, 0
	s_branch .LBB105_4
.LBB105_3:                              ;   in Loop: Header=BB105_4 Depth=2
	s_or_b32 exec_lo, exec_lo, s11
	s_waitcnt lgkmcnt(0)
	v_add_nc_u32_e32 v11, v12, v11
	ds_load_b32 v15, v3 offset:8220
	ds_load_2addr_b32 v[13:14], v4 offset1:1
	s_add_i32 s11, s15, 4
	s_cmp_lt_u32 s15, 60
	s_mov_b32 s15, s11
	ds_bpermute_b32 v11, v7, v11
	s_waitcnt lgkmcnt(0)
	v_cndmask_b32_e64 v16, v11, v12, s1
	ds_load_2addr_b32 v[11:12], v4 offset0:2 offset1:3
	v_lshl_add_u32 v17, v15, 16, v16
	ds_load_2addr_b32 v[15:16], v4 offset0:4 offset1:5
	ds_load_b32 v18, v4 offset:24
	v_add_nc_u32_e32 v13, v17, v13
	s_delay_alu instid0(VALU_DEP_1) | instskip(SKIP_1) | instid1(VALU_DEP_1)
	v_add_nc_u32_e32 v14, v14, v13
	s_waitcnt lgkmcnt(2)
	v_add_nc_u32_e32 v11, v11, v14
	s_delay_alu instid0(VALU_DEP_1) | instskip(SKIP_1) | instid1(VALU_DEP_1)
	v_add_nc_u32_e32 v12, v12, v11
	s_waitcnt lgkmcnt(1)
	;; [unrolled: 4-line block ×3, first 2 shown]
	v_add_nc_u32_e32 v18, v18, v16
	ds_store_2addr_b32 v4, v17, v13 offset1:1
	ds_store_2addr_b32 v4, v14, v11 offset0:2 offset1:3
	ds_store_2addr_b32 v4, v12, v15 offset0:4 offset1:5
	;; [unrolled: 1-line block ×3, first 2 shown]
	s_waitcnt lgkmcnt(0)
	s_barrier
	buffer_gl0_inv
	s_cbranch_scc0 .LBB105_1
.LBB105_4:                              ;   Parent Loop BB105_2 Depth=1
                                        ; =>  This Loop Header: Depth=2
                                        ;       Child Loop BB105_5 Depth 3
	v_dual_mov_b32 v9, v8 :: v_dual_mov_b32 v10, v5
	s_mov_b32 s16, 0
.LBB105_5:                              ;   Parent Loop BB105_2 Depth=1
                                        ;     Parent Loop BB105_4 Depth=2
                                        ; =>    This Inner Loop Header: Depth=3
	s_delay_alu instid0(VALU_DEP_1) | instskip(SKIP_3) | instid1(VALU_DEP_1)
	v_add_nc_u32_e32 v9, 0x100, v9
	ds_store_b32 v10, v3
	v_add_nc_u32_e32 v10, 0x400, v10
	v_cmp_lt_u32_e64 s11, 0x6ff, v9
	s_or_b32 s16, s11, s16
	s_delay_alu instid0(SALU_CYCLE_1)
	s_and_not1_b32 exec_lo, exec_lo, s16
	s_cbranch_execnz .LBB105_5
; %bb.6:                                ;   in Loop: Header=BB105_4 Depth=2
	s_or_b32 exec_lo, exec_lo, s16
	s_sub_i32 s11, 60, s15
	s_delay_alu instid0(SALU_CYCLE_1) | instskip(NEXT) | instid1(VALU_DEP_1)
	v_lshlrev_b64 v[9:10], s11, v[1:2]
	v_lshrrev_b32_e32 v9, 20, v10
	v_lshrrev_b32_e32 v10, 30, v10
	s_delay_alu instid0(VALU_DEP_2) | instskip(NEXT) | instid1(VALU_DEP_2)
	v_and_or_b32 v9, 0x700, v9, v0
	v_and_b32_e32 v10, 2, v10
	s_delay_alu instid0(VALU_DEP_1)
	v_lshl_or_b32 v9, v9, 2, v10
	ds_load_u16 v10, v9
	s_waitcnt lgkmcnt(0)
	v_add_nc_u16 v11, v10, 1
	ds_store_b16 v9, v11
	s_waitcnt lgkmcnt(0)
	s_barrier
	buffer_gl0_inv
	ds_load_2addr_b32 v[11:12], v4 offset1:1
	ds_load_2addr_b32 v[13:14], v4 offset0:2 offset1:3
	ds_load_2addr_b32 v[15:16], v4 offset0:4 offset1:5
	ds_load_2addr_b32 v[17:18], v4 offset0:6 offset1:7
	s_waitcnt lgkmcnt(3)
	v_add_nc_u32_e32 v11, v12, v11
	s_waitcnt lgkmcnt(2)
	s_delay_alu instid0(VALU_DEP_1) | instskip(SKIP_1) | instid1(VALU_DEP_1)
	v_add3_u32 v11, v11, v13, v14
	s_waitcnt lgkmcnt(1)
	v_add3_u32 v11, v11, v15, v16
	s_waitcnt lgkmcnt(0)
	s_delay_alu instid0(VALU_DEP_1) | instskip(NEXT) | instid1(VALU_DEP_1)
	v_add3_u32 v11, v11, v17, v18
	v_mov_b32_dpp v12, v11 row_shr:1 row_mask:0xf bank_mask:0xf
	s_delay_alu instid0(VALU_DEP_1) | instskip(NEXT) | instid1(VALU_DEP_1)
	v_cndmask_b32_e64 v12, v12, 0, s2
	v_add_nc_u32_e32 v11, v12, v11
	s_delay_alu instid0(VALU_DEP_1) | instskip(NEXT) | instid1(VALU_DEP_1)
	v_mov_b32_dpp v12, v11 row_shr:2 row_mask:0xf bank_mask:0xf
	v_cndmask_b32_e64 v12, 0, v12, s3
	s_delay_alu instid0(VALU_DEP_1) | instskip(NEXT) | instid1(VALU_DEP_1)
	v_add_nc_u32_e32 v11, v11, v12
	v_mov_b32_dpp v12, v11 row_shr:4 row_mask:0xf bank_mask:0xf
	s_delay_alu instid0(VALU_DEP_1) | instskip(NEXT) | instid1(VALU_DEP_1)
	v_cndmask_b32_e64 v12, 0, v12, s4
	v_add_nc_u32_e32 v11, v11, v12
	s_delay_alu instid0(VALU_DEP_1) | instskip(NEXT) | instid1(VALU_DEP_1)
	v_mov_b32_dpp v12, v11 row_shr:8 row_mask:0xf bank_mask:0xf
	v_cndmask_b32_e64 v12, 0, v12, s5
	s_delay_alu instid0(VALU_DEP_1) | instskip(SKIP_3) | instid1(VALU_DEP_1)
	v_add_nc_u32_e32 v11, v11, v12
	ds_swizzle_b32 v12, v11 offset:swizzle(BROADCAST,32,15)
	s_waitcnt lgkmcnt(0)
	v_cndmask_b32_e64 v12, v12, 0, s6
	v_add_nc_u32_e32 v11, v11, v12
	s_and_saveexec_b32 s11, s7
	s_cbranch_execz .LBB105_8
; %bb.7:                                ;   in Loop: Header=BB105_4 Depth=2
	ds_store_b32 v6, v11 offset:8192
.LBB105_8:                              ;   in Loop: Header=BB105_4 Depth=2
	s_or_b32 exec_lo, exec_lo, s11
	s_waitcnt lgkmcnt(0)
	s_barrier
	buffer_gl0_inv
	s_and_saveexec_b32 s11, vcc_lo
	s_cbranch_execz .LBB105_10
; %bb.9:                                ;   in Loop: Header=BB105_4 Depth=2
	ds_load_b32 v12, v5 offset:8192
	s_waitcnt lgkmcnt(0)
	v_mov_b32_dpp v13, v12 row_shr:1 row_mask:0xf bank_mask:0xf
	s_delay_alu instid0(VALU_DEP_1) | instskip(NEXT) | instid1(VALU_DEP_1)
	v_cndmask_b32_e64 v13, v13, 0, s8
	v_add_nc_u32_e32 v12, v13, v12
	s_delay_alu instid0(VALU_DEP_1) | instskip(NEXT) | instid1(VALU_DEP_1)
	v_mov_b32_dpp v13, v12 row_shr:2 row_mask:0xf bank_mask:0xf
	v_cndmask_b32_e64 v13, 0, v13, s9
	s_delay_alu instid0(VALU_DEP_1) | instskip(NEXT) | instid1(VALU_DEP_1)
	v_add_nc_u32_e32 v12, v12, v13
	v_mov_b32_dpp v13, v12 row_shr:4 row_mask:0xf bank_mask:0xf
	s_delay_alu instid0(VALU_DEP_1) | instskip(NEXT) | instid1(VALU_DEP_1)
	v_cndmask_b32_e64 v13, 0, v13, s10
	v_add_nc_u32_e32 v12, v12, v13
	ds_store_b32 v5, v12 offset:8192
.LBB105_10:                             ;   in Loop: Header=BB105_4 Depth=2
	s_or_b32 exec_lo, exec_lo, s11
	v_mov_b32_e32 v12, 0
	s_waitcnt lgkmcnt(0)
	s_barrier
	buffer_gl0_inv
	s_and_saveexec_b32 s11, s0
	s_cbranch_execz .LBB105_3
; %bb.11:                               ;   in Loop: Header=BB105_4 Depth=2
	ds_load_b32 v12, v6 offset:8188
	s_branch .LBB105_3
.LBB105_12:
	ds_load_u16 v1, v9
	v_and_b32_e32 v2, 0xffff, v10
	s_lshl_b64 s[0:1], s[12:13], 2
	v_lshlrev_b32_e32 v0, 2, v0
	s_add_u32 s0, s18, s0
	s_addc_u32 s1, s19, s1
	s_waitcnt lgkmcnt(0)
	v_add_nc_u32_e32 v1, v1, v2
	global_store_b32 v0, v1, s[0:1]
	s_nop 0
	s_sendmsg sendmsg(MSG_DEALLOC_VGPRS)
	s_endpgm
	.section	.rodata,"a",@progbits
	.p2align	6, 0x0
	.amdhsa_kernel _Z11rank_kernelIxLj4ELb0EL18RadixRankAlgorithm0ELj256ELj1ELj10EEvPKT_Pi
		.amdhsa_group_segment_fixed_size 8224
		.amdhsa_private_segment_fixed_size 0
		.amdhsa_kernarg_size 16
		.amdhsa_user_sgpr_count 15
		.amdhsa_user_sgpr_dispatch_ptr 0
		.amdhsa_user_sgpr_queue_ptr 0
		.amdhsa_user_sgpr_kernarg_segment_ptr 1
		.amdhsa_user_sgpr_dispatch_id 0
		.amdhsa_user_sgpr_private_segment_size 0
		.amdhsa_wavefront_size32 1
		.amdhsa_uses_dynamic_stack 0
		.amdhsa_enable_private_segment 0
		.amdhsa_system_sgpr_workgroup_id_x 1
		.amdhsa_system_sgpr_workgroup_id_y 0
		.amdhsa_system_sgpr_workgroup_id_z 0
		.amdhsa_system_sgpr_workgroup_info 0
		.amdhsa_system_vgpr_workitem_id 0
		.amdhsa_next_free_vgpr 19
		.amdhsa_next_free_sgpr 20
		.amdhsa_reserve_vcc 1
		.amdhsa_float_round_mode_32 0
		.amdhsa_float_round_mode_16_64 0
		.amdhsa_float_denorm_mode_32 3
		.amdhsa_float_denorm_mode_16_64 3
		.amdhsa_dx10_clamp 1
		.amdhsa_ieee_mode 1
		.amdhsa_fp16_overflow 0
		.amdhsa_workgroup_processor_mode 1
		.amdhsa_memory_ordered 1
		.amdhsa_forward_progress 0
		.amdhsa_shared_vgpr_count 0
		.amdhsa_exception_fp_ieee_invalid_op 0
		.amdhsa_exception_fp_denorm_src 0
		.amdhsa_exception_fp_ieee_div_zero 0
		.amdhsa_exception_fp_ieee_overflow 0
		.amdhsa_exception_fp_ieee_underflow 0
		.amdhsa_exception_fp_ieee_inexact 0
		.amdhsa_exception_int_div_zero 0
	.end_amdhsa_kernel
	.section	.text._Z11rank_kernelIxLj4ELb0EL18RadixRankAlgorithm0ELj256ELj1ELj10EEvPKT_Pi,"axG",@progbits,_Z11rank_kernelIxLj4ELb0EL18RadixRankAlgorithm0ELj256ELj1ELj10EEvPKT_Pi,comdat
.Lfunc_end105:
	.size	_Z11rank_kernelIxLj4ELb0EL18RadixRankAlgorithm0ELj256ELj1ELj10EEvPKT_Pi, .Lfunc_end105-_Z11rank_kernelIxLj4ELb0EL18RadixRankAlgorithm0ELj256ELj1ELj10EEvPKT_Pi
                                        ; -- End function
	.section	.AMDGPU.csdata,"",@progbits
; Kernel info:
; codeLenInByte = 1084
; NumSgprs: 22
; NumVgprs: 19
; ScratchSize: 0
; MemoryBound: 0
; FloatMode: 240
; IeeeMode: 1
; LDSByteSize: 8224 bytes/workgroup (compile time only)
; SGPRBlocks: 2
; VGPRBlocks: 2
; NumSGPRsForWavesPerEU: 22
; NumVGPRsForWavesPerEU: 19
; Occupancy: 16
; WaveLimiterHint : 0
; COMPUTE_PGM_RSRC2:SCRATCH_EN: 0
; COMPUTE_PGM_RSRC2:USER_SGPR: 15
; COMPUTE_PGM_RSRC2:TRAP_HANDLER: 0
; COMPUTE_PGM_RSRC2:TGID_X_EN: 1
; COMPUTE_PGM_RSRC2:TGID_Y_EN: 0
; COMPUTE_PGM_RSRC2:TGID_Z_EN: 0
; COMPUTE_PGM_RSRC2:TIDIG_COMP_CNT: 0
	.section	.text._Z11rank_kernelIxLj4ELb0EL18RadixRankAlgorithm1ELj256ELj1ELj10EEvPKT_Pi,"axG",@progbits,_Z11rank_kernelIxLj4ELb0EL18RadixRankAlgorithm1ELj256ELj1ELj10EEvPKT_Pi,comdat
	.protected	_Z11rank_kernelIxLj4ELb0EL18RadixRankAlgorithm1ELj256ELj1ELj10EEvPKT_Pi ; -- Begin function _Z11rank_kernelIxLj4ELb0EL18RadixRankAlgorithm1ELj256ELj1ELj10EEvPKT_Pi
	.globl	_Z11rank_kernelIxLj4ELb0EL18RadixRankAlgorithm1ELj256ELj1ELj10EEvPKT_Pi
	.p2align	8
	.type	_Z11rank_kernelIxLj4ELb0EL18RadixRankAlgorithm1ELj256ELj1ELj10EEvPKT_Pi,@function
_Z11rank_kernelIxLj4ELb0EL18RadixRankAlgorithm1ELj256ELj1ELj10EEvPKT_Pi: ; @_Z11rank_kernelIxLj4ELb0EL18RadixRankAlgorithm1ELj256ELj1ELj10EEvPKT_Pi
; %bb.0:
	s_load_b128 s[16:19], s[0:1], 0x0
	s_mov_b32 s13, 0
	s_lshl_b32 s12, s15, 8
	v_lshlrev_b32_e32 v1, 3, v0
	s_lshl_b64 s[0:1], s[12:13], 3
	v_mbcnt_lo_u32_b32 v3, -1, 0
	v_or_b32_e32 v6, 31, v0
	v_lshrrev_b32_e32 v8, 3, v0
	v_dual_mov_b32 v11, 0 :: v_dual_lshlrev_b32 v12, 5, v0
	s_delay_alu instid0(VALU_DEP_4)
	v_add_nc_u32_e32 v7, -1, v3
	v_and_b32_e32 v4, 15, v3
	v_and_b32_e32 v5, 16, v3
	;; [unrolled: 1-line block ×3, first 2 shown]
	v_cmp_gt_u32_e32 vcc_lo, 8, v0
	v_cmp_gt_i32_e64 s8, 0, v7
	v_lshlrev_b32_e32 v13, 2, v0
	v_cmp_eq_u32_e64 s2, 0, v4
	v_cmp_lt_u32_e64 s3, 1, v4
	v_cmp_lt_u32_e64 s4, 3, v4
	s_waitcnt lgkmcnt(0)
	s_add_u32 s0, s16, s0
	s_addc_u32 s1, s17, s1
	v_cmp_lt_u32_e64 s5, 7, v4
	global_load_b64 v[1:2], v1, s[0:1]
	v_cmp_eq_u32_e64 s1, 0, v3
	v_cndmask_b32_e64 v3, v7, v3, s8
	v_cmp_lt_u32_e64 s0, 31, v0
	v_cmp_eq_u32_e64 s6, 0, v5
	v_cmp_eq_u32_e64 s7, v6, v0
	v_and_b32_e32 v14, 28, v8
	v_cmp_eq_u32_e64 s8, 0, v9
	v_cmp_lt_u32_e64 s9, 1, v9
	v_cmp_lt_u32_e64 s10, 3, v9
	v_lshlrev_b32_e32 v15, 2, v3
	v_or_b32_e32 v16, 0xffffff00, v0
	s_mov_b32 s14, s13
	s_waitcnt vmcnt(0)
	v_xor_b32_e32 v2, 0x80000000, v2
	s_branch .LBB106_2
.LBB106_1:                              ;   in Loop: Header=BB106_2 Depth=1
	s_add_i32 s14, s14, 1
	s_delay_alu instid0(SALU_CYCLE_1)
	s_cmp_eq_u32 s14, 10
	s_cbranch_scc1 .LBB106_12
.LBB106_2:                              ; =>This Loop Header: Depth=1
                                        ;     Child Loop BB106_4 Depth 2
                                        ;       Child Loop BB106_5 Depth 3
	s_mov_b32 s15, 0
	s_branch .LBB106_4
.LBB106_3:                              ;   in Loop: Header=BB106_4 Depth=2
	s_or_b32 exec_lo, exec_lo, s11
	s_waitcnt lgkmcnt(0)
	v_add_nc_u32_e32 v4, v19, v4
	ds_load_b32 v20, v11 offset:8220
	s_add_i32 s11, s15, 4
	s_cmp_lt_u32 s15, 60
	s_mov_b32 s15, s11
	ds_bpermute_b32 v4, v15, v4
	s_waitcnt lgkmcnt(0)
	v_cndmask_b32_e64 v4, v4, v19, s1
	s_delay_alu instid0(VALU_DEP_1) | instskip(NEXT) | instid1(VALU_DEP_1)
	v_lshl_add_u32 v4, v20, 16, v4
	v_add_nc_u32_e32 v9, v4, v9
	s_delay_alu instid0(VALU_DEP_1) | instskip(NEXT) | instid1(VALU_DEP_1)
	v_add_nc_u32_e32 v10, v9, v10
	v_add_nc_u32_e32 v7, v10, v7
	s_delay_alu instid0(VALU_DEP_1) | instskip(NEXT) | instid1(VALU_DEP_1)
	v_add_nc_u32_e32 v8, v7, v8
	;; [unrolled: 3-line block ×3, first 2 shown]
	v_add_nc_u32_e32 v3, v6, v3
	ds_store_2addr_b32 v12, v4, v9 offset1:1
	ds_store_2addr_b32 v12, v10, v7 offset0:2 offset1:3
	ds_store_2addr_b32 v12, v8, v5 offset0:4 offset1:5
	;; [unrolled: 1-line block ×3, first 2 shown]
	s_waitcnt lgkmcnt(0)
	s_barrier
	buffer_gl0_inv
	s_cbranch_scc0 .LBB106_1
.LBB106_4:                              ;   Parent Loop BB106_2 Depth=1
                                        ; =>  This Loop Header: Depth=2
                                        ;       Child Loop BB106_5 Depth 3
	v_dual_mov_b32 v3, v16 :: v_dual_mov_b32 v4, v13
	s_mov_b32 s16, 0
.LBB106_5:                              ;   Parent Loop BB106_2 Depth=1
                                        ;     Parent Loop BB106_4 Depth=2
                                        ; =>    This Inner Loop Header: Depth=3
	s_delay_alu instid0(VALU_DEP_1) | instskip(SKIP_3) | instid1(VALU_DEP_1)
	v_add_nc_u32_e32 v3, 0x100, v3
	ds_store_b32 v4, v11
	v_add_nc_u32_e32 v4, 0x400, v4
	v_cmp_lt_u32_e64 s11, 0x6ff, v3
	s_or_b32 s16, s11, s16
	s_delay_alu instid0(SALU_CYCLE_1)
	s_and_not1_b32 exec_lo, exec_lo, s16
	s_cbranch_execnz .LBB106_5
; %bb.6:                                ;   in Loop: Header=BB106_4 Depth=2
	s_or_b32 exec_lo, exec_lo, s16
	s_sub_i32 s11, 60, s15
	s_delay_alu instid0(SALU_CYCLE_1) | instskip(NEXT) | instid1(VALU_DEP_1)
	v_lshlrev_b64 v[3:4], s11, v[1:2]
	v_lshrrev_b32_e32 v3, 20, v4
	v_lshrrev_b32_e32 v4, 30, v4
	s_delay_alu instid0(VALU_DEP_2) | instskip(NEXT) | instid1(VALU_DEP_2)
	v_and_or_b32 v3, 0x700, v3, v0
	v_and_b32_e32 v4, 2, v4
	s_delay_alu instid0(VALU_DEP_1)
	v_lshl_or_b32 v17, v3, 2, v4
	ds_load_u16 v18, v17
	s_waitcnt lgkmcnt(0)
	v_add_nc_u16 v3, v18, 1
	ds_store_b16 v17, v3
	s_waitcnt lgkmcnt(0)
	s_barrier
	buffer_gl0_inv
	ds_load_2addr_b32 v[9:10], v12 offset1:1
	ds_load_2addr_b32 v[7:8], v12 offset0:2 offset1:3
	ds_load_2addr_b32 v[5:6], v12 offset0:4 offset1:5
	;; [unrolled: 1-line block ×3, first 2 shown]
	s_waitcnt lgkmcnt(3)
	v_add_nc_u32_e32 v19, v10, v9
	s_waitcnt lgkmcnt(2)
	s_delay_alu instid0(VALU_DEP_1) | instskip(SKIP_1) | instid1(VALU_DEP_1)
	v_add3_u32 v19, v19, v7, v8
	s_waitcnt lgkmcnt(1)
	v_add3_u32 v19, v19, v5, v6
	s_waitcnt lgkmcnt(0)
	s_delay_alu instid0(VALU_DEP_1) | instskip(NEXT) | instid1(VALU_DEP_1)
	v_add3_u32 v4, v19, v3, v4
	v_mov_b32_dpp v19, v4 row_shr:1 row_mask:0xf bank_mask:0xf
	s_delay_alu instid0(VALU_DEP_1) | instskip(NEXT) | instid1(VALU_DEP_1)
	v_cndmask_b32_e64 v19, v19, 0, s2
	v_add_nc_u32_e32 v4, v19, v4
	s_delay_alu instid0(VALU_DEP_1) | instskip(NEXT) | instid1(VALU_DEP_1)
	v_mov_b32_dpp v19, v4 row_shr:2 row_mask:0xf bank_mask:0xf
	v_cndmask_b32_e64 v19, 0, v19, s3
	s_delay_alu instid0(VALU_DEP_1) | instskip(NEXT) | instid1(VALU_DEP_1)
	v_add_nc_u32_e32 v4, v4, v19
	v_mov_b32_dpp v19, v4 row_shr:4 row_mask:0xf bank_mask:0xf
	s_delay_alu instid0(VALU_DEP_1) | instskip(NEXT) | instid1(VALU_DEP_1)
	v_cndmask_b32_e64 v19, 0, v19, s4
	v_add_nc_u32_e32 v4, v4, v19
	s_delay_alu instid0(VALU_DEP_1) | instskip(NEXT) | instid1(VALU_DEP_1)
	v_mov_b32_dpp v19, v4 row_shr:8 row_mask:0xf bank_mask:0xf
	v_cndmask_b32_e64 v19, 0, v19, s5
	s_delay_alu instid0(VALU_DEP_1) | instskip(SKIP_3) | instid1(VALU_DEP_1)
	v_add_nc_u32_e32 v4, v4, v19
	ds_swizzle_b32 v19, v4 offset:swizzle(BROADCAST,32,15)
	s_waitcnt lgkmcnt(0)
	v_cndmask_b32_e64 v19, v19, 0, s6
	v_add_nc_u32_e32 v4, v4, v19
	s_and_saveexec_b32 s11, s7
	s_cbranch_execz .LBB106_8
; %bb.7:                                ;   in Loop: Header=BB106_4 Depth=2
	ds_store_b32 v14, v4 offset:8192
.LBB106_8:                              ;   in Loop: Header=BB106_4 Depth=2
	s_or_b32 exec_lo, exec_lo, s11
	s_waitcnt lgkmcnt(0)
	s_barrier
	buffer_gl0_inv
	s_and_saveexec_b32 s11, vcc_lo
	s_cbranch_execz .LBB106_10
; %bb.9:                                ;   in Loop: Header=BB106_4 Depth=2
	ds_load_b32 v19, v13 offset:8192
	s_waitcnt lgkmcnt(0)
	v_mov_b32_dpp v20, v19 row_shr:1 row_mask:0xf bank_mask:0xf
	s_delay_alu instid0(VALU_DEP_1) | instskip(NEXT) | instid1(VALU_DEP_1)
	v_cndmask_b32_e64 v20, v20, 0, s8
	v_add_nc_u32_e32 v19, v20, v19
	s_delay_alu instid0(VALU_DEP_1) | instskip(NEXT) | instid1(VALU_DEP_1)
	v_mov_b32_dpp v20, v19 row_shr:2 row_mask:0xf bank_mask:0xf
	v_cndmask_b32_e64 v20, 0, v20, s9
	s_delay_alu instid0(VALU_DEP_1) | instskip(NEXT) | instid1(VALU_DEP_1)
	v_add_nc_u32_e32 v19, v19, v20
	v_mov_b32_dpp v20, v19 row_shr:4 row_mask:0xf bank_mask:0xf
	s_delay_alu instid0(VALU_DEP_1) | instskip(NEXT) | instid1(VALU_DEP_1)
	v_cndmask_b32_e64 v20, 0, v20, s10
	v_add_nc_u32_e32 v19, v19, v20
	ds_store_b32 v13, v19 offset:8192
.LBB106_10:                             ;   in Loop: Header=BB106_4 Depth=2
	s_or_b32 exec_lo, exec_lo, s11
	v_mov_b32_e32 v19, 0
	s_waitcnt lgkmcnt(0)
	s_barrier
	buffer_gl0_inv
	s_and_saveexec_b32 s11, s0
	s_cbranch_execz .LBB106_3
; %bb.11:                               ;   in Loop: Header=BB106_4 Depth=2
	ds_load_b32 v19, v14 offset:8188
	s_branch .LBB106_3
.LBB106_12:
	ds_load_u16 v1, v17
	v_and_b32_e32 v2, 0xffff, v18
	s_lshl_b64 s[0:1], s[12:13], 2
	v_lshlrev_b32_e32 v0, 2, v0
	s_add_u32 s0, s18, s0
	s_addc_u32 s1, s19, s1
	s_waitcnt lgkmcnt(0)
	v_add_nc_u32_e32 v1, v1, v2
	global_store_b32 v0, v1, s[0:1]
	s_nop 0
	s_sendmsg sendmsg(MSG_DEALLOC_VGPRS)
	s_endpgm
	.section	.rodata,"a",@progbits
	.p2align	6, 0x0
	.amdhsa_kernel _Z11rank_kernelIxLj4ELb0EL18RadixRankAlgorithm1ELj256ELj1ELj10EEvPKT_Pi
		.amdhsa_group_segment_fixed_size 8224
		.amdhsa_private_segment_fixed_size 0
		.amdhsa_kernarg_size 16
		.amdhsa_user_sgpr_count 15
		.amdhsa_user_sgpr_dispatch_ptr 0
		.amdhsa_user_sgpr_queue_ptr 0
		.amdhsa_user_sgpr_kernarg_segment_ptr 1
		.amdhsa_user_sgpr_dispatch_id 0
		.amdhsa_user_sgpr_private_segment_size 0
		.amdhsa_wavefront_size32 1
		.amdhsa_uses_dynamic_stack 0
		.amdhsa_enable_private_segment 0
		.amdhsa_system_sgpr_workgroup_id_x 1
		.amdhsa_system_sgpr_workgroup_id_y 0
		.amdhsa_system_sgpr_workgroup_id_z 0
		.amdhsa_system_sgpr_workgroup_info 0
		.amdhsa_system_vgpr_workitem_id 0
		.amdhsa_next_free_vgpr 21
		.amdhsa_next_free_sgpr 20
		.amdhsa_reserve_vcc 1
		.amdhsa_float_round_mode_32 0
		.amdhsa_float_round_mode_16_64 0
		.amdhsa_float_denorm_mode_32 3
		.amdhsa_float_denorm_mode_16_64 3
		.amdhsa_dx10_clamp 1
		.amdhsa_ieee_mode 1
		.amdhsa_fp16_overflow 0
		.amdhsa_workgroup_processor_mode 1
		.amdhsa_memory_ordered 1
		.amdhsa_forward_progress 0
		.amdhsa_shared_vgpr_count 0
		.amdhsa_exception_fp_ieee_invalid_op 0
		.amdhsa_exception_fp_denorm_src 0
		.amdhsa_exception_fp_ieee_div_zero 0
		.amdhsa_exception_fp_ieee_overflow 0
		.amdhsa_exception_fp_ieee_underflow 0
		.amdhsa_exception_fp_ieee_inexact 0
		.amdhsa_exception_int_div_zero 0
	.end_amdhsa_kernel
	.section	.text._Z11rank_kernelIxLj4ELb0EL18RadixRankAlgorithm1ELj256ELj1ELj10EEvPKT_Pi,"axG",@progbits,_Z11rank_kernelIxLj4ELb0EL18RadixRankAlgorithm1ELj256ELj1ELj10EEvPKT_Pi,comdat
.Lfunc_end106:
	.size	_Z11rank_kernelIxLj4ELb0EL18RadixRankAlgorithm1ELj256ELj1ELj10EEvPKT_Pi, .Lfunc_end106-_Z11rank_kernelIxLj4ELb0EL18RadixRankAlgorithm1ELj256ELj1ELj10EEvPKT_Pi
                                        ; -- End function
	.section	.AMDGPU.csdata,"",@progbits
; Kernel info:
; codeLenInByte = 1044
; NumSgprs: 22
; NumVgprs: 21
; ScratchSize: 0
; MemoryBound: 0
; FloatMode: 240
; IeeeMode: 1
; LDSByteSize: 8224 bytes/workgroup (compile time only)
; SGPRBlocks: 2
; VGPRBlocks: 2
; NumSGPRsForWavesPerEU: 22
; NumVGPRsForWavesPerEU: 21
; Occupancy: 16
; WaveLimiterHint : 0
; COMPUTE_PGM_RSRC2:SCRATCH_EN: 0
; COMPUTE_PGM_RSRC2:USER_SGPR: 15
; COMPUTE_PGM_RSRC2:TRAP_HANDLER: 0
; COMPUTE_PGM_RSRC2:TGID_X_EN: 1
; COMPUTE_PGM_RSRC2:TGID_Y_EN: 0
; COMPUTE_PGM_RSRC2:TGID_Z_EN: 0
; COMPUTE_PGM_RSRC2:TIDIG_COMP_CNT: 0
	.section	.text._Z11rank_kernelIxLj4ELb0EL18RadixRankAlgorithm2ELj256ELj1ELj10EEvPKT_Pi,"axG",@progbits,_Z11rank_kernelIxLj4ELb0EL18RadixRankAlgorithm2ELj256ELj1ELj10EEvPKT_Pi,comdat
	.protected	_Z11rank_kernelIxLj4ELb0EL18RadixRankAlgorithm2ELj256ELj1ELj10EEvPKT_Pi ; -- Begin function _Z11rank_kernelIxLj4ELb0EL18RadixRankAlgorithm2ELj256ELj1ELj10EEvPKT_Pi
	.globl	_Z11rank_kernelIxLj4ELb0EL18RadixRankAlgorithm2ELj256ELj1ELj10EEvPKT_Pi
	.p2align	8
	.type	_Z11rank_kernelIxLj4ELb0EL18RadixRankAlgorithm2ELj256ELj1ELj10EEvPKT_Pi,@function
_Z11rank_kernelIxLj4ELb0EL18RadixRankAlgorithm2ELj256ELj1ELj10EEvPKT_Pi: ; @_Z11rank_kernelIxLj4ELb0EL18RadixRankAlgorithm2ELj256ELj1ELj10EEvPKT_Pi
; %bb.0:
	s_clause 0x1
	s_load_b128 s[16:19], s[0:1], 0x0
	s_load_b32 s7, s[0:1], 0x1c
	v_dual_mov_b32 v4, 0 :: v_dual_and_b32 v1, 0x3ff, v0
	s_mov_b32 s21, 0
	s_lshl_b32 s20, s15, 8
	v_mbcnt_lo_u32_b32 v5, -1, 0
	s_lshl_b64 s[2:3], s[20:21], 3
	v_lshlrev_b32_e32 v2, 3, v1
	v_bfe_u32 v6, v0, 10, 10
	v_bfe_u32 v7, v0, 20, 10
	v_and_b32_e32 v8, 15, v5
	v_add_nc_u32_e32 v10, -1, v5
	v_and_b32_e32 v9, 16, v5
	v_lshrrev_b32_e32 v12, 3, v1
	v_cmp_eq_u32_e32 vcc_lo, 0, v5
	v_and_b32_e32 v11, 7, v5
	v_lshlrev_b32_e32 v0, 2, v1
	v_cmp_eq_u32_e64 s4, 0, v9
	v_or_b32_e32 v9, 31, v1
	s_waitcnt lgkmcnt(0)
	s_add_u32 s0, s16, s2
	s_addc_u32 s1, s17, s3
	s_lshr_b32 s6, s7, 16
	global_load_b64 v[2:3], v2, s[0:1]
	v_mad_u32_u24 v6, v7, s6, v6
	s_and_b32 s7, s7, 0xffff
	v_cmp_eq_u32_e64 s0, 0, v8
	v_cmp_lt_u32_e64 s1, 1, v8
	v_cmp_lt_u32_e64 s2, 3, v8
	;; [unrolled: 1-line block ×3, first 2 shown]
	v_cmp_gt_u32_e64 s5, 8, v1
	v_cmp_lt_u32_e64 s6, 31, v1
	v_cmp_lt_u32_e64 s8, 1, v11
	;; [unrolled: 1-line block ×3, first 2 shown]
	v_cmp_eq_u32_e64 s10, v9, v1
	s_mov_b32 s13, s21
	s_waitcnt vmcnt(0)
	v_mad_u64_u32 v[7:8], null, v6, s7, v[1:2]
	v_cmp_gt_i32_e64 s7, 0, v10
	v_xor_b32_e32 v3, 0x80000000, v3
	s_delay_alu instid0(VALU_DEP_2) | instskip(SKIP_3) | instid1(VALU_DEP_4)
	v_cndmask_b32_e64 v6, v10, v5, s7
	v_and_b32_e32 v5, 28, v12
	v_cmp_eq_u32_e64 s7, 0, v11
	v_lshrrev_b32_e32 v7, 5, v7
	v_lshlrev_b32_e32 v6, 2, v6
	s_delay_alu instid0(VALU_DEP_4)
	v_add_nc_u32_e32 v8, -4, v5
	s_branch .LBB107_2
.LBB107_1:                              ;   in Loop: Header=BB107_2 Depth=1
	s_add_i32 s13, s13, 1
	s_delay_alu instid0(SALU_CYCLE_1)
	s_cmp_eq_u32 s13, 10
	s_cbranch_scc1 .LBB107_12
.LBB107_2:                              ; =>This Loop Header: Depth=1
                                        ;     Child Loop BB107_4 Depth 2
	s_mov_b64 s[14:15], 60
	s_mov_b32 s16, -4
	s_branch .LBB107_4
.LBB107_3:                              ;   in Loop: Header=BB107_4 Depth=2
	s_or_b32 exec_lo, exec_lo, s11
	s_waitcnt lgkmcnt(0)
	v_add_nc_u32_e32 v11, v12, v11
	s_add_i32 s16, s16, 4
	s_add_u32 s14, s14, -4
	s_addc_u32 s15, s15, -1
	s_cmp_lt_u32 s16, 60
	ds_bpermute_b32 v11, v6, v11
	s_waitcnt lgkmcnt(0)
	v_cndmask_b32_e32 v11, v11, v12, vcc_lo
	ds_store_b32 v0, v11 offset:32
	s_waitcnt lgkmcnt(0)
	s_barrier
	buffer_gl0_inv
	s_cbranch_scc0 .LBB107_1
.LBB107_4:                              ;   Parent Loop BB107_2 Depth=1
                                        ; =>  This Inner Loop Header: Depth=2
	v_lshlrev_b64 v[9:10], s14, v[2:3]
	ds_store_b32 v0, v4 offset:32
	s_waitcnt lgkmcnt(0)
	s_barrier
	buffer_gl0_inv
	v_bfe_u32 v9, v10, 28, 1
	v_lshrrev_b32_e32 v12, 28, v10
	v_and_b32_e32 v10, 0xf0000000, v10
	; wave barrier
	s_delay_alu instid0(VALU_DEP_3) | instskip(NEXT) | instid1(VALU_DEP_1)
	v_add_co_u32 v9, s11, v9, -1
	v_cndmask_b32_e64 v11, 0, 1, s11
	s_delay_alu instid0(VALU_DEP_4) | instskip(SKIP_2) | instid1(VALU_DEP_4)
	v_lshlrev_b32_e32 v13, 30, v12
	v_lshlrev_b32_e32 v14, 29, v12
	v_not_b32_e32 v15, v10
	v_cmp_ne_u32_e64 s11, 0, v11
	s_delay_alu instid0(VALU_DEP_4) | instskip(SKIP_2) | instid1(VALU_DEP_4)
	v_not_b32_e32 v11, v13
	v_cmp_gt_i32_e64 s12, 0, v13
	v_not_b32_e32 v13, v14
	v_xor_b32_e32 v9, s11, v9
	s_delay_alu instid0(VALU_DEP_4) | instskip(SKIP_1) | instid1(VALU_DEP_4)
	v_ashrrev_i32_e32 v11, 31, v11
	v_cmp_gt_i32_e64 s11, 0, v14
	v_ashrrev_i32_e32 v13, 31, v13
	s_delay_alu instid0(VALU_DEP_4) | instskip(NEXT) | instid1(VALU_DEP_4)
	v_and_b32_e32 v9, exec_lo, v9
	v_xor_b32_e32 v11, s12, v11
	v_cmp_gt_i32_e64 s12, 0, v10
	v_ashrrev_i32_e32 v10, 31, v15
	v_xor_b32_e32 v13, s11, v13
	s_delay_alu instid0(VALU_DEP_4) | instskip(NEXT) | instid1(VALU_DEP_3)
	v_and_b32_e32 v9, v9, v11
	v_xor_b32_e32 v10, s12, v10
	s_delay_alu instid0(VALU_DEP_2) | instskip(NEXT) | instid1(VALU_DEP_1)
	v_and_b32_e32 v9, v9, v13
	v_and_b32_e32 v11, v9, v10
	v_mad_u32_u24 v10, v12, 9, v7
	s_delay_alu instid0(VALU_DEP_2) | instskip(SKIP_1) | instid1(VALU_DEP_3)
	v_mbcnt_lo_u32_b32 v9, v11, 0
	v_cmp_ne_u32_e64 s12, 0, v11
	v_lshl_add_u32 v10, v10, 2, 32
	s_delay_alu instid0(VALU_DEP_3) | instskip(NEXT) | instid1(VALU_DEP_1)
	v_cmp_eq_u32_e64 s11, 0, v9
	s_and_b32 s12, s12, s11
	s_delay_alu instid0(SALU_CYCLE_1)
	s_and_saveexec_b32 s11, s12
	s_cbranch_execz .LBB107_6
; %bb.5:                                ;   in Loop: Header=BB107_4 Depth=2
	v_bcnt_u32_b32 v11, v11, 0
	ds_store_b32 v10, v11
.LBB107_6:                              ;   in Loop: Header=BB107_4 Depth=2
	s_or_b32 exec_lo, exec_lo, s11
	; wave barrier
	s_waitcnt lgkmcnt(0)
	s_barrier
	buffer_gl0_inv
	ds_load_b32 v11, v0 offset:32
	s_waitcnt lgkmcnt(0)
	v_mov_b32_dpp v12, v11 row_shr:1 row_mask:0xf bank_mask:0xf
	s_delay_alu instid0(VALU_DEP_1) | instskip(NEXT) | instid1(VALU_DEP_1)
	v_cndmask_b32_e64 v12, v12, 0, s0
	v_add_nc_u32_e32 v11, v12, v11
	s_delay_alu instid0(VALU_DEP_1) | instskip(NEXT) | instid1(VALU_DEP_1)
	v_mov_b32_dpp v12, v11 row_shr:2 row_mask:0xf bank_mask:0xf
	v_cndmask_b32_e64 v12, 0, v12, s1
	s_delay_alu instid0(VALU_DEP_1) | instskip(NEXT) | instid1(VALU_DEP_1)
	v_add_nc_u32_e32 v11, v11, v12
	v_mov_b32_dpp v12, v11 row_shr:4 row_mask:0xf bank_mask:0xf
	s_delay_alu instid0(VALU_DEP_1) | instskip(NEXT) | instid1(VALU_DEP_1)
	v_cndmask_b32_e64 v12, 0, v12, s2
	v_add_nc_u32_e32 v11, v11, v12
	s_delay_alu instid0(VALU_DEP_1) | instskip(NEXT) | instid1(VALU_DEP_1)
	v_mov_b32_dpp v12, v11 row_shr:8 row_mask:0xf bank_mask:0xf
	v_cndmask_b32_e64 v12, 0, v12, s3
	s_delay_alu instid0(VALU_DEP_1) | instskip(SKIP_3) | instid1(VALU_DEP_1)
	v_add_nc_u32_e32 v11, v11, v12
	ds_swizzle_b32 v12, v11 offset:swizzle(BROADCAST,32,15)
	s_waitcnt lgkmcnt(0)
	v_cndmask_b32_e64 v12, v12, 0, s4
	v_add_nc_u32_e32 v11, v11, v12
	s_and_saveexec_b32 s11, s10
	s_cbranch_execz .LBB107_8
; %bb.7:                                ;   in Loop: Header=BB107_4 Depth=2
	ds_store_b32 v5, v11
.LBB107_8:                              ;   in Loop: Header=BB107_4 Depth=2
	s_or_b32 exec_lo, exec_lo, s11
	s_waitcnt lgkmcnt(0)
	s_barrier
	buffer_gl0_inv
	s_and_saveexec_b32 s11, s5
	s_cbranch_execz .LBB107_10
; %bb.9:                                ;   in Loop: Header=BB107_4 Depth=2
	ds_load_b32 v12, v0
	s_waitcnt lgkmcnt(0)
	v_mov_b32_dpp v13, v12 row_shr:1 row_mask:0xf bank_mask:0xf
	s_delay_alu instid0(VALU_DEP_1) | instskip(NEXT) | instid1(VALU_DEP_1)
	v_cndmask_b32_e64 v13, v13, 0, s7
	v_add_nc_u32_e32 v12, v13, v12
	s_delay_alu instid0(VALU_DEP_1) | instskip(NEXT) | instid1(VALU_DEP_1)
	v_mov_b32_dpp v13, v12 row_shr:2 row_mask:0xf bank_mask:0xf
	v_cndmask_b32_e64 v13, 0, v13, s8
	s_delay_alu instid0(VALU_DEP_1) | instskip(NEXT) | instid1(VALU_DEP_1)
	v_add_nc_u32_e32 v12, v12, v13
	v_mov_b32_dpp v13, v12 row_shr:4 row_mask:0xf bank_mask:0xf
	s_delay_alu instid0(VALU_DEP_1) | instskip(NEXT) | instid1(VALU_DEP_1)
	v_cndmask_b32_e64 v13, 0, v13, s9
	v_add_nc_u32_e32 v12, v12, v13
	ds_store_b32 v0, v12
.LBB107_10:                             ;   in Loop: Header=BB107_4 Depth=2
	s_or_b32 exec_lo, exec_lo, s11
	v_mov_b32_e32 v12, 0
	s_waitcnt lgkmcnt(0)
	s_barrier
	buffer_gl0_inv
	s_and_saveexec_b32 s11, s6
	s_cbranch_execz .LBB107_3
; %bb.11:                               ;   in Loop: Header=BB107_4 Depth=2
	ds_load_b32 v12, v8
	s_branch .LBB107_3
.LBB107_12:
	ds_load_b32 v0, v10
	s_lshl_b64 s[0:1], s[20:21], 2
	v_lshlrev_b32_e32 v1, 2, v1
	s_add_u32 s0, s18, s0
	s_addc_u32 s1, s19, s1
	s_waitcnt lgkmcnt(0)
	v_add_nc_u32_e32 v0, v0, v9
	global_store_b32 v1, v0, s[0:1]
	s_nop 0
	s_sendmsg sendmsg(MSG_DEALLOC_VGPRS)
	s_endpgm
	.section	.rodata,"a",@progbits
	.p2align	6, 0x0
	.amdhsa_kernel _Z11rank_kernelIxLj4ELb0EL18RadixRankAlgorithm2ELj256ELj1ELj10EEvPKT_Pi
		.amdhsa_group_segment_fixed_size 1056
		.amdhsa_private_segment_fixed_size 0
		.amdhsa_kernarg_size 272
		.amdhsa_user_sgpr_count 15
		.amdhsa_user_sgpr_dispatch_ptr 0
		.amdhsa_user_sgpr_queue_ptr 0
		.amdhsa_user_sgpr_kernarg_segment_ptr 1
		.amdhsa_user_sgpr_dispatch_id 0
		.amdhsa_user_sgpr_private_segment_size 0
		.amdhsa_wavefront_size32 1
		.amdhsa_uses_dynamic_stack 0
		.amdhsa_enable_private_segment 0
		.amdhsa_system_sgpr_workgroup_id_x 1
		.amdhsa_system_sgpr_workgroup_id_y 0
		.amdhsa_system_sgpr_workgroup_id_z 0
		.amdhsa_system_sgpr_workgroup_info 0
		.amdhsa_system_vgpr_workitem_id 2
		.amdhsa_next_free_vgpr 16
		.amdhsa_next_free_sgpr 22
		.amdhsa_reserve_vcc 1
		.amdhsa_float_round_mode_32 0
		.amdhsa_float_round_mode_16_64 0
		.amdhsa_float_denorm_mode_32 3
		.amdhsa_float_denorm_mode_16_64 3
		.amdhsa_dx10_clamp 1
		.amdhsa_ieee_mode 1
		.amdhsa_fp16_overflow 0
		.amdhsa_workgroup_processor_mode 1
		.amdhsa_memory_ordered 1
		.amdhsa_forward_progress 0
		.amdhsa_shared_vgpr_count 0
		.amdhsa_exception_fp_ieee_invalid_op 0
		.amdhsa_exception_fp_denorm_src 0
		.amdhsa_exception_fp_ieee_div_zero 0
		.amdhsa_exception_fp_ieee_overflow 0
		.amdhsa_exception_fp_ieee_underflow 0
		.amdhsa_exception_fp_ieee_inexact 0
		.amdhsa_exception_int_div_zero 0
	.end_amdhsa_kernel
	.section	.text._Z11rank_kernelIxLj4ELb0EL18RadixRankAlgorithm2ELj256ELj1ELj10EEvPKT_Pi,"axG",@progbits,_Z11rank_kernelIxLj4ELb0EL18RadixRankAlgorithm2ELj256ELj1ELj10EEvPKT_Pi,comdat
.Lfunc_end107:
	.size	_Z11rank_kernelIxLj4ELb0EL18RadixRankAlgorithm2ELj256ELj1ELj10EEvPKT_Pi, .Lfunc_end107-_Z11rank_kernelIxLj4ELb0EL18RadixRankAlgorithm2ELj256ELj1ELj10EEvPKT_Pi
                                        ; -- End function
	.section	.AMDGPU.csdata,"",@progbits
; Kernel info:
; codeLenInByte = 1068
; NumSgprs: 24
; NumVgprs: 16
; ScratchSize: 0
; MemoryBound: 0
; FloatMode: 240
; IeeeMode: 1
; LDSByteSize: 1056 bytes/workgroup (compile time only)
; SGPRBlocks: 2
; VGPRBlocks: 1
; NumSGPRsForWavesPerEU: 24
; NumVGPRsForWavesPerEU: 16
; Occupancy: 16
; WaveLimiterHint : 0
; COMPUTE_PGM_RSRC2:SCRATCH_EN: 0
; COMPUTE_PGM_RSRC2:USER_SGPR: 15
; COMPUTE_PGM_RSRC2:TRAP_HANDLER: 0
; COMPUTE_PGM_RSRC2:TGID_X_EN: 1
; COMPUTE_PGM_RSRC2:TGID_Y_EN: 0
; COMPUTE_PGM_RSRC2:TGID_Z_EN: 0
; COMPUTE_PGM_RSRC2:TIDIG_COMP_CNT: 2
	.section	.text._Z11rank_kernelIxLj4ELb0EL18RadixRankAlgorithm0ELj256ELj4ELj10EEvPKT_Pi,"axG",@progbits,_Z11rank_kernelIxLj4ELb0EL18RadixRankAlgorithm0ELj256ELj4ELj10EEvPKT_Pi,comdat
	.protected	_Z11rank_kernelIxLj4ELb0EL18RadixRankAlgorithm0ELj256ELj4ELj10EEvPKT_Pi ; -- Begin function _Z11rank_kernelIxLj4ELb0EL18RadixRankAlgorithm0ELj256ELj4ELj10EEvPKT_Pi
	.globl	_Z11rank_kernelIxLj4ELb0EL18RadixRankAlgorithm0ELj256ELj4ELj10EEvPKT_Pi
	.p2align	8
	.type	_Z11rank_kernelIxLj4ELb0EL18RadixRankAlgorithm0ELj256ELj4ELj10EEvPKT_Pi,@function
_Z11rank_kernelIxLj4ELb0EL18RadixRankAlgorithm0ELj256ELj4ELj10EEvPKT_Pi: ; @_Z11rank_kernelIxLj4ELb0EL18RadixRankAlgorithm0ELj256ELj4ELj10EEvPKT_Pi
; %bb.0:
	s_load_b128 s[16:19], s[0:1], 0x0
	s_mov_b32 s13, 0
	s_lshl_b32 s12, s15, 10
	v_dual_mov_b32 v11, 0 :: v_dual_lshlrev_b32 v10, 5, v0
	s_lshl_b64 s[0:1], s[12:13], 3
	v_mbcnt_lo_u32_b32 v12, -1, 0
	v_or_b32_e32 v15, 31, v0
	v_lshrrev_b32_e32 v17, 3, v0
	v_lshlrev_b32_e32 v9, 2, v0
	v_cmp_gt_u32_e32 vcc_lo, 8, v0
	v_add_nc_u32_e32 v16, -1, v12
	v_and_b32_e32 v13, 15, v12
	v_and_b32_e32 v14, 16, v12
	;; [unrolled: 1-line block ×3, first 2 shown]
	v_cmp_eq_u32_e64 s7, v15, v0
	v_cmp_gt_i32_e64 s8, 0, v16
	v_cmp_eq_u32_e64 s2, 0, v13
	v_cmp_lt_u32_e64 s3, 1, v13
	v_cmp_lt_u32_e64 s4, 3, v13
	s_waitcnt lgkmcnt(0)
	s_add_u32 s0, s16, s0
	s_addc_u32 s1, s17, s1
	v_cmp_lt_u32_e64 s5, 7, v13
	s_clause 0x1
	global_load_b128 v[1:4], v10, s[0:1]
	global_load_b128 v[5:8], v10, s[0:1] offset:16
	v_cndmask_b32_e64 v13, v16, v12, s8
	v_cmp_lt_u32_e64 s0, 31, v0
	v_cmp_eq_u32_e64 s1, 0, v12
	v_cmp_eq_u32_e64 s6, 0, v14
	v_and_b32_e32 v12, 28, v17
	v_cmp_eq_u32_e64 s8, 0, v18
	v_cmp_lt_u32_e64 s9, 1, v18
	v_cmp_lt_u32_e64 s10, 3, v18
	v_lshlrev_b32_e32 v13, 2, v13
	v_or_b32_e32 v14, 0xffffff00, v0
	s_mov_b32 s14, s13
	s_waitcnt vmcnt(1)
	v_xor_b32_e32 v2, 0x80000000, v2
	v_xor_b32_e32 v4, 0x80000000, v4
	s_waitcnt vmcnt(0)
	v_xor_b32_e32 v6, 0x80000000, v6
	v_xor_b32_e32 v8, 0x80000000, v8
	s_branch .LBB108_2
.LBB108_1:                              ;   in Loop: Header=BB108_2 Depth=1
	s_add_i32 s14, s14, 1
	s_delay_alu instid0(SALU_CYCLE_1)
	s_cmp_eq_u32 s14, 10
	s_cbranch_scc1 .LBB108_12
.LBB108_2:                              ; =>This Loop Header: Depth=1
                                        ;     Child Loop BB108_4 Depth 2
                                        ;       Child Loop BB108_5 Depth 3
	s_mov_b32 s15, 0
	s_branch .LBB108_4
.LBB108_3:                              ;   in Loop: Header=BB108_4 Depth=2
	s_or_b32 exec_lo, exec_lo, s11
	s_waitcnt lgkmcnt(0)
	v_add_nc_u32_e32 v23, v24, v23
	ds_load_b32 v27, v11 offset:8220
	ds_load_2addr_b32 v[25:26], v10 offset1:1
	s_add_i32 s11, s15, 4
	s_cmp_lt_u32 s15, 60
	s_mov_b32 s15, s11
	ds_bpermute_b32 v23, v13, v23
	s_waitcnt lgkmcnt(0)
	v_cndmask_b32_e64 v28, v23, v24, s1
	ds_load_2addr_b32 v[23:24], v10 offset0:2 offset1:3
	v_lshl_add_u32 v29, v27, 16, v28
	ds_load_2addr_b32 v[27:28], v10 offset0:4 offset1:5
	ds_load_b32 v30, v10 offset:24
	v_add_nc_u32_e32 v25, v29, v25
	s_delay_alu instid0(VALU_DEP_1) | instskip(SKIP_1) | instid1(VALU_DEP_1)
	v_add_nc_u32_e32 v26, v26, v25
	s_waitcnt lgkmcnt(2)
	v_add_nc_u32_e32 v23, v23, v26
	s_delay_alu instid0(VALU_DEP_1) | instskip(SKIP_1) | instid1(VALU_DEP_1)
	v_add_nc_u32_e32 v24, v24, v23
	s_waitcnt lgkmcnt(1)
	;; [unrolled: 4-line block ×3, first 2 shown]
	v_add_nc_u32_e32 v30, v30, v28
	ds_store_2addr_b32 v10, v29, v25 offset1:1
	ds_store_2addr_b32 v10, v26, v23 offset0:2 offset1:3
	ds_store_2addr_b32 v10, v24, v27 offset0:4 offset1:5
	;; [unrolled: 1-line block ×3, first 2 shown]
	s_waitcnt lgkmcnt(0)
	s_barrier
	buffer_gl0_inv
	s_cbranch_scc0 .LBB108_1
.LBB108_4:                              ;   Parent Loop BB108_2 Depth=1
                                        ; =>  This Loop Header: Depth=2
                                        ;       Child Loop BB108_5 Depth 3
	v_dual_mov_b32 v15, v14 :: v_dual_mov_b32 v16, v9
	s_mov_b32 s16, 0
.LBB108_5:                              ;   Parent Loop BB108_2 Depth=1
                                        ;     Parent Loop BB108_4 Depth=2
                                        ; =>    This Inner Loop Header: Depth=3
	s_delay_alu instid0(VALU_DEP_1) | instskip(SKIP_3) | instid1(VALU_DEP_1)
	v_add_nc_u32_e32 v15, 0x100, v15
	ds_store_b32 v16, v11
	v_add_nc_u32_e32 v16, 0x400, v16
	v_cmp_lt_u32_e64 s11, 0x6ff, v15
	s_or_b32 s16, s11, s16
	s_delay_alu instid0(SALU_CYCLE_1)
	s_and_not1_b32 exec_lo, exec_lo, s16
	s_cbranch_execnz .LBB108_5
; %bb.6:                                ;   in Loop: Header=BB108_4 Depth=2
	s_or_b32 exec_lo, exec_lo, s16
	s_sub_i32 s11, 60, s15
	s_delay_alu instid0(SALU_CYCLE_1) | instskip(SKIP_1) | instid1(VALU_DEP_2)
	v_lshlrev_b64 v[15:16], s11, v[1:2]
	v_lshlrev_b64 v[17:18], s11, v[3:4]
	v_lshrrev_b32_e32 v15, 20, v16
	v_lshrrev_b32_e32 v16, 30, v16
	s_delay_alu instid0(VALU_DEP_3) | instskip(SKIP_1) | instid1(VALU_DEP_4)
	v_lshrrev_b32_e32 v17, 20, v18
	v_lshrrev_b32_e32 v18, 30, v18
	v_and_or_b32 v15, 0x700, v15, v0
	s_delay_alu instid0(VALU_DEP_4) | instskip(NEXT) | instid1(VALU_DEP_4)
	v_and_b32_e32 v16, 2, v16
	v_and_or_b32 v17, 0x700, v17, v0
	s_delay_alu instid0(VALU_DEP_4) | instskip(NEXT) | instid1(VALU_DEP_3)
	v_and_b32_e32 v18, 2, v18
	v_lshl_or_b32 v16, v15, 2, v16
	s_delay_alu instid0(VALU_DEP_2)
	v_lshl_or_b32 v18, v17, 2, v18
	ds_load_u16 v15, v16
	s_waitcnt lgkmcnt(0)
	v_add_nc_u16 v19, v15, 1
	ds_store_b16 v16, v19
	ds_load_u16 v17, v18
	v_lshlrev_b64 v[19:20], s11, v[5:6]
	s_delay_alu instid0(VALU_DEP_1) | instskip(SKIP_1) | instid1(VALU_DEP_2)
	v_lshrrev_b32_e32 v19, 20, v20
	v_lshrrev_b32_e32 v20, 30, v20
	v_and_or_b32 v19, 0x700, v19, v0
	s_delay_alu instid0(VALU_DEP_2) | instskip(NEXT) | instid1(VALU_DEP_1)
	v_and_b32_e32 v20, 2, v20
	v_lshl_or_b32 v20, v19, 2, v20
	s_waitcnt lgkmcnt(0)
	v_add_nc_u16 v21, v17, 1
	ds_store_b16 v18, v21
	ds_load_u16 v19, v20
	v_lshlrev_b64 v[21:22], s11, v[7:8]
	s_delay_alu instid0(VALU_DEP_1) | instskip(SKIP_1) | instid1(VALU_DEP_2)
	v_lshrrev_b32_e32 v21, 20, v22
	v_lshrrev_b32_e32 v22, 30, v22
	v_and_or_b32 v21, 0x700, v21, v0
	s_delay_alu instid0(VALU_DEP_2) | instskip(NEXT) | instid1(VALU_DEP_1)
	v_and_b32_e32 v22, 2, v22
	v_lshl_or_b32 v22, v21, 2, v22
	s_waitcnt lgkmcnt(0)
	v_add_nc_u16 v23, v19, 1
	ds_store_b16 v20, v23
	ds_load_u16 v21, v22
	s_waitcnt lgkmcnt(0)
	v_add_nc_u16 v23, v21, 1
	ds_store_b16 v22, v23
	s_waitcnt lgkmcnt(0)
	s_barrier
	buffer_gl0_inv
	ds_load_2addr_b32 v[23:24], v10 offset1:1
	ds_load_2addr_b32 v[25:26], v10 offset0:2 offset1:3
	ds_load_2addr_b32 v[27:28], v10 offset0:4 offset1:5
	;; [unrolled: 1-line block ×3, first 2 shown]
	s_waitcnt lgkmcnt(3)
	v_add_nc_u32_e32 v23, v24, v23
	s_waitcnt lgkmcnt(2)
	s_delay_alu instid0(VALU_DEP_1) | instskip(SKIP_1) | instid1(VALU_DEP_1)
	v_add3_u32 v23, v23, v25, v26
	s_waitcnt lgkmcnt(1)
	v_add3_u32 v23, v23, v27, v28
	s_waitcnt lgkmcnt(0)
	s_delay_alu instid0(VALU_DEP_1) | instskip(NEXT) | instid1(VALU_DEP_1)
	v_add3_u32 v23, v23, v29, v30
	v_mov_b32_dpp v24, v23 row_shr:1 row_mask:0xf bank_mask:0xf
	s_delay_alu instid0(VALU_DEP_1) | instskip(NEXT) | instid1(VALU_DEP_1)
	v_cndmask_b32_e64 v24, v24, 0, s2
	v_add_nc_u32_e32 v23, v24, v23
	s_delay_alu instid0(VALU_DEP_1) | instskip(NEXT) | instid1(VALU_DEP_1)
	v_mov_b32_dpp v24, v23 row_shr:2 row_mask:0xf bank_mask:0xf
	v_cndmask_b32_e64 v24, 0, v24, s3
	s_delay_alu instid0(VALU_DEP_1) | instskip(NEXT) | instid1(VALU_DEP_1)
	v_add_nc_u32_e32 v23, v23, v24
	v_mov_b32_dpp v24, v23 row_shr:4 row_mask:0xf bank_mask:0xf
	s_delay_alu instid0(VALU_DEP_1) | instskip(NEXT) | instid1(VALU_DEP_1)
	v_cndmask_b32_e64 v24, 0, v24, s4
	v_add_nc_u32_e32 v23, v23, v24
	s_delay_alu instid0(VALU_DEP_1) | instskip(NEXT) | instid1(VALU_DEP_1)
	v_mov_b32_dpp v24, v23 row_shr:8 row_mask:0xf bank_mask:0xf
	v_cndmask_b32_e64 v24, 0, v24, s5
	s_delay_alu instid0(VALU_DEP_1) | instskip(SKIP_3) | instid1(VALU_DEP_1)
	v_add_nc_u32_e32 v23, v23, v24
	ds_swizzle_b32 v24, v23 offset:swizzle(BROADCAST,32,15)
	s_waitcnt lgkmcnt(0)
	v_cndmask_b32_e64 v24, v24, 0, s6
	v_add_nc_u32_e32 v23, v23, v24
	s_and_saveexec_b32 s11, s7
	s_cbranch_execz .LBB108_8
; %bb.7:                                ;   in Loop: Header=BB108_4 Depth=2
	ds_store_b32 v12, v23 offset:8192
.LBB108_8:                              ;   in Loop: Header=BB108_4 Depth=2
	s_or_b32 exec_lo, exec_lo, s11
	s_waitcnt lgkmcnt(0)
	s_barrier
	buffer_gl0_inv
	s_and_saveexec_b32 s11, vcc_lo
	s_cbranch_execz .LBB108_10
; %bb.9:                                ;   in Loop: Header=BB108_4 Depth=2
	ds_load_b32 v24, v9 offset:8192
	s_waitcnt lgkmcnt(0)
	v_mov_b32_dpp v25, v24 row_shr:1 row_mask:0xf bank_mask:0xf
	s_delay_alu instid0(VALU_DEP_1) | instskip(NEXT) | instid1(VALU_DEP_1)
	v_cndmask_b32_e64 v25, v25, 0, s8
	v_add_nc_u32_e32 v24, v25, v24
	s_delay_alu instid0(VALU_DEP_1) | instskip(NEXT) | instid1(VALU_DEP_1)
	v_mov_b32_dpp v25, v24 row_shr:2 row_mask:0xf bank_mask:0xf
	v_cndmask_b32_e64 v25, 0, v25, s9
	s_delay_alu instid0(VALU_DEP_1) | instskip(NEXT) | instid1(VALU_DEP_1)
	v_add_nc_u32_e32 v24, v24, v25
	v_mov_b32_dpp v25, v24 row_shr:4 row_mask:0xf bank_mask:0xf
	s_delay_alu instid0(VALU_DEP_1) | instskip(NEXT) | instid1(VALU_DEP_1)
	v_cndmask_b32_e64 v25, 0, v25, s10
	v_add_nc_u32_e32 v24, v24, v25
	ds_store_b32 v9, v24 offset:8192
.LBB108_10:                             ;   in Loop: Header=BB108_4 Depth=2
	s_or_b32 exec_lo, exec_lo, s11
	v_mov_b32_e32 v24, 0
	s_waitcnt lgkmcnt(0)
	s_barrier
	buffer_gl0_inv
	s_and_saveexec_b32 s11, s0
	s_cbranch_execz .LBB108_3
; %bb.11:                               ;   in Loop: Header=BB108_4 Depth=2
	ds_load_b32 v24, v12 offset:8188
	s_branch .LBB108_3
.LBB108_12:
	ds_load_u16 v0, v16
	ds_load_u16 v1, v18
	;; [unrolled: 1-line block ×4, first 2 shown]
	v_and_b32_e32 v4, 0xffff, v15
	v_and_b32_e32 v5, 0xffff, v17
	;; [unrolled: 1-line block ×4, first 2 shown]
	s_lshl_b64 s[0:1], s[12:13], 2
	s_delay_alu instid0(SALU_CYCLE_1)
	s_add_u32 s0, s18, s0
	s_addc_u32 s1, s19, s1
	s_waitcnt lgkmcnt(3)
	v_add_nc_u32_e32 v0, v0, v4
	s_waitcnt lgkmcnt(2)
	v_add_nc_u32_e32 v1, v1, v5
	;; [unrolled: 2-line block ×4, first 2 shown]
	v_lshlrev_b32_e32 v4, 2, v9
	global_store_b128 v4, v[0:3], s[0:1]
	s_nop 0
	s_sendmsg sendmsg(MSG_DEALLOC_VGPRS)
	s_endpgm
	.section	.rodata,"a",@progbits
	.p2align	6, 0x0
	.amdhsa_kernel _Z11rank_kernelIxLj4ELb0EL18RadixRankAlgorithm0ELj256ELj4ELj10EEvPKT_Pi
		.amdhsa_group_segment_fixed_size 8224
		.amdhsa_private_segment_fixed_size 0
		.amdhsa_kernarg_size 16
		.amdhsa_user_sgpr_count 15
		.amdhsa_user_sgpr_dispatch_ptr 0
		.amdhsa_user_sgpr_queue_ptr 0
		.amdhsa_user_sgpr_kernarg_segment_ptr 1
		.amdhsa_user_sgpr_dispatch_id 0
		.amdhsa_user_sgpr_private_segment_size 0
		.amdhsa_wavefront_size32 1
		.amdhsa_uses_dynamic_stack 0
		.amdhsa_enable_private_segment 0
		.amdhsa_system_sgpr_workgroup_id_x 1
		.amdhsa_system_sgpr_workgroup_id_y 0
		.amdhsa_system_sgpr_workgroup_id_z 0
		.amdhsa_system_sgpr_workgroup_info 0
		.amdhsa_system_vgpr_workitem_id 0
		.amdhsa_next_free_vgpr 31
		.amdhsa_next_free_sgpr 20
		.amdhsa_reserve_vcc 1
		.amdhsa_float_round_mode_32 0
		.amdhsa_float_round_mode_16_64 0
		.amdhsa_float_denorm_mode_32 3
		.amdhsa_float_denorm_mode_16_64 3
		.amdhsa_dx10_clamp 1
		.amdhsa_ieee_mode 1
		.amdhsa_fp16_overflow 0
		.amdhsa_workgroup_processor_mode 1
		.amdhsa_memory_ordered 1
		.amdhsa_forward_progress 0
		.amdhsa_shared_vgpr_count 0
		.amdhsa_exception_fp_ieee_invalid_op 0
		.amdhsa_exception_fp_denorm_src 0
		.amdhsa_exception_fp_ieee_div_zero 0
		.amdhsa_exception_fp_ieee_overflow 0
		.amdhsa_exception_fp_ieee_underflow 0
		.amdhsa_exception_fp_ieee_inexact 0
		.amdhsa_exception_int_div_zero 0
	.end_amdhsa_kernel
	.section	.text._Z11rank_kernelIxLj4ELb0EL18RadixRankAlgorithm0ELj256ELj4ELj10EEvPKT_Pi,"axG",@progbits,_Z11rank_kernelIxLj4ELb0EL18RadixRankAlgorithm0ELj256ELj4ELj10EEvPKT_Pi,comdat
.Lfunc_end108:
	.size	_Z11rank_kernelIxLj4ELb0EL18RadixRankAlgorithm0ELj256ELj4ELj10EEvPKT_Pi, .Lfunc_end108-_Z11rank_kernelIxLj4ELb0EL18RadixRankAlgorithm0ELj256ELj4ELj10EEvPKT_Pi
                                        ; -- End function
	.section	.AMDGPU.csdata,"",@progbits
; Kernel info:
; codeLenInByte = 1420
; NumSgprs: 22
; NumVgprs: 31
; ScratchSize: 0
; MemoryBound: 0
; FloatMode: 240
; IeeeMode: 1
; LDSByteSize: 8224 bytes/workgroup (compile time only)
; SGPRBlocks: 2
; VGPRBlocks: 3
; NumSGPRsForWavesPerEU: 22
; NumVGPRsForWavesPerEU: 31
; Occupancy: 16
; WaveLimiterHint : 0
; COMPUTE_PGM_RSRC2:SCRATCH_EN: 0
; COMPUTE_PGM_RSRC2:USER_SGPR: 15
; COMPUTE_PGM_RSRC2:TRAP_HANDLER: 0
; COMPUTE_PGM_RSRC2:TGID_X_EN: 1
; COMPUTE_PGM_RSRC2:TGID_Y_EN: 0
; COMPUTE_PGM_RSRC2:TGID_Z_EN: 0
; COMPUTE_PGM_RSRC2:TIDIG_COMP_CNT: 0
	.section	.text._Z11rank_kernelIxLj4ELb0EL18RadixRankAlgorithm1ELj256ELj4ELj10EEvPKT_Pi,"axG",@progbits,_Z11rank_kernelIxLj4ELb0EL18RadixRankAlgorithm1ELj256ELj4ELj10EEvPKT_Pi,comdat
	.protected	_Z11rank_kernelIxLj4ELb0EL18RadixRankAlgorithm1ELj256ELj4ELj10EEvPKT_Pi ; -- Begin function _Z11rank_kernelIxLj4ELb0EL18RadixRankAlgorithm1ELj256ELj4ELj10EEvPKT_Pi
	.globl	_Z11rank_kernelIxLj4ELb0EL18RadixRankAlgorithm1ELj256ELj4ELj10EEvPKT_Pi
	.p2align	8
	.type	_Z11rank_kernelIxLj4ELb0EL18RadixRankAlgorithm1ELj256ELj4ELj10EEvPKT_Pi,@function
_Z11rank_kernelIxLj4ELb0EL18RadixRankAlgorithm1ELj256ELj4ELj10EEvPKT_Pi: ; @_Z11rank_kernelIxLj4ELb0EL18RadixRankAlgorithm1ELj256ELj4ELj10EEvPKT_Pi
; %bb.0:
	s_load_b128 s[16:19], s[0:1], 0x0
	s_mov_b32 s13, 0
	s_lshl_b32 s12, s15, 10
	v_dual_mov_b32 v19, 0 :: v_dual_lshlrev_b32 v18, 5, v0
	s_lshl_b64 s[0:1], s[12:13], 3
	v_mbcnt_lo_u32_b32 v9, -1, 0
	v_or_b32_e32 v12, 31, v0
	v_lshrrev_b32_e32 v14, 3, v0
	v_lshlrev_b32_e32 v17, 2, v0
	v_cmp_gt_u32_e32 vcc_lo, 8, v0
	v_add_nc_u32_e32 v13, -1, v9
	v_and_b32_e32 v10, 15, v9
	v_and_b32_e32 v11, 16, v9
	;; [unrolled: 1-line block ×3, first 2 shown]
	v_cmp_eq_u32_e64 s7, v12, v0
	v_cmp_gt_i32_e64 s8, 0, v13
	v_cmp_eq_u32_e64 s2, 0, v10
	v_cmp_lt_u32_e64 s3, 1, v10
	v_cmp_lt_u32_e64 s4, 3, v10
	s_waitcnt lgkmcnt(0)
	s_add_u32 s0, s16, s0
	s_addc_u32 s1, s17, s1
	v_cmp_lt_u32_e64 s5, 7, v10
	s_clause 0x1
	global_load_b128 v[1:4], v18, s[0:1]
	global_load_b128 v[5:8], v18, s[0:1] offset:16
	v_cmp_eq_u32_e64 s1, 0, v9
	v_cndmask_b32_e64 v9, v13, v9, s8
	v_cmp_lt_u32_e64 s0, 31, v0
	v_cmp_eq_u32_e64 s6, 0, v11
	v_and_b32_e32 v20, 28, v14
	v_cmp_eq_u32_e64 s8, 0, v15
	v_cmp_lt_u32_e64 s9, 1, v15
	v_cmp_lt_u32_e64 s10, 3, v15
	v_lshlrev_b32_e32 v21, 2, v9
	v_or_b32_e32 v22, 0xffffff00, v0
	s_mov_b32 s14, s13
	s_waitcnt vmcnt(1)
	v_xor_b32_e32 v2, 0x80000000, v2
	v_xor_b32_e32 v4, 0x80000000, v4
	s_waitcnt vmcnt(0)
	v_xor_b32_e32 v6, 0x80000000, v6
	v_xor_b32_e32 v8, 0x80000000, v8
	s_branch .LBB109_2
.LBB109_1:                              ;   in Loop: Header=BB109_2 Depth=1
	s_add_i32 s14, s14, 1
	s_delay_alu instid0(SALU_CYCLE_1)
	s_cmp_eq_u32 s14, 10
	s_cbranch_scc1 .LBB109_12
.LBB109_2:                              ; =>This Loop Header: Depth=1
                                        ;     Child Loop BB109_4 Depth 2
                                        ;       Child Loop BB109_5 Depth 3
	s_mov_b32 s15, 0
	s_branch .LBB109_4
.LBB109_3:                              ;   in Loop: Header=BB109_4 Depth=2
	s_or_b32 exec_lo, exec_lo, s11
	s_waitcnt lgkmcnt(0)
	v_add_nc_u32_e32 v10, v31, v10
	ds_load_b32 v32, v19 offset:8220
	s_add_i32 s11, s15, 4
	s_cmp_lt_u32 s15, 60
	s_mov_b32 s15, s11
	ds_bpermute_b32 v10, v21, v10
	s_waitcnt lgkmcnt(0)
	v_cndmask_b32_e64 v10, v10, v31, s1
	s_delay_alu instid0(VALU_DEP_1) | instskip(NEXT) | instid1(VALU_DEP_1)
	v_lshl_add_u32 v10, v32, 16, v10
	v_add_nc_u32_e32 v15, v10, v15
	s_delay_alu instid0(VALU_DEP_1) | instskip(NEXT) | instid1(VALU_DEP_1)
	v_add_nc_u32_e32 v16, v15, v16
	v_add_nc_u32_e32 v13, v16, v13
	s_delay_alu instid0(VALU_DEP_1) | instskip(NEXT) | instid1(VALU_DEP_1)
	v_add_nc_u32_e32 v14, v13, v14
	;; [unrolled: 3-line block ×3, first 2 shown]
	v_add_nc_u32_e32 v9, v12, v9
	ds_store_2addr_b32 v18, v10, v15 offset1:1
	ds_store_2addr_b32 v18, v16, v13 offset0:2 offset1:3
	ds_store_2addr_b32 v18, v14, v11 offset0:4 offset1:5
	;; [unrolled: 1-line block ×3, first 2 shown]
	s_waitcnt lgkmcnt(0)
	s_barrier
	buffer_gl0_inv
	s_cbranch_scc0 .LBB109_1
.LBB109_4:                              ;   Parent Loop BB109_2 Depth=1
                                        ; =>  This Loop Header: Depth=2
                                        ;       Child Loop BB109_5 Depth 3
	v_dual_mov_b32 v9, v22 :: v_dual_mov_b32 v10, v17
	s_mov_b32 s16, 0
.LBB109_5:                              ;   Parent Loop BB109_2 Depth=1
                                        ;     Parent Loop BB109_4 Depth=2
                                        ; =>    This Inner Loop Header: Depth=3
	s_delay_alu instid0(VALU_DEP_1) | instskip(SKIP_3) | instid1(VALU_DEP_1)
	v_add_nc_u32_e32 v9, 0x100, v9
	ds_store_b32 v10, v19
	v_add_nc_u32_e32 v10, 0x400, v10
	v_cmp_lt_u32_e64 s11, 0x6ff, v9
	s_or_b32 s16, s11, s16
	s_delay_alu instid0(SALU_CYCLE_1)
	s_and_not1_b32 exec_lo, exec_lo, s16
	s_cbranch_execnz .LBB109_5
; %bb.6:                                ;   in Loop: Header=BB109_4 Depth=2
	s_or_b32 exec_lo, exec_lo, s16
	s_sub_i32 s11, 60, s15
	s_delay_alu instid0(SALU_CYCLE_1) | instskip(NEXT) | instid1(VALU_DEP_1)
	v_lshlrev_b64 v[9:10], s11, v[1:2]
	v_lshrrev_b32_e32 v9, 20, v10
	v_lshrrev_b32_e32 v10, 30, v10
	s_delay_alu instid0(VALU_DEP_2) | instskip(NEXT) | instid1(VALU_DEP_2)
	v_and_or_b32 v9, 0x700, v9, v0
	v_and_b32_e32 v10, 2, v10
	s_delay_alu instid0(VALU_DEP_1) | instskip(SKIP_4) | instid1(VALU_DEP_2)
	v_lshl_or_b32 v24, v9, 2, v10
	v_lshlrev_b64 v[9:10], s11, v[3:4]
	ds_load_u16 v23, v24
	v_lshrrev_b32_e32 v9, 20, v10
	v_lshrrev_b32_e32 v10, 30, v10
	v_and_or_b32 v9, 0x700, v9, v0
	s_delay_alu instid0(VALU_DEP_2) | instskip(NEXT) | instid1(VALU_DEP_1)
	v_and_b32_e32 v10, 2, v10
	v_lshl_or_b32 v26, v9, 2, v10
	v_lshlrev_b64 v[9:10], s11, v[5:6]
	s_delay_alu instid0(VALU_DEP_1) | instskip(SKIP_3) | instid1(VALU_DEP_3)
	v_lshrrev_b32_e32 v9, 20, v10
	s_waitcnt lgkmcnt(0)
	v_add_nc_u16 v11, v23, 1
	v_lshrrev_b32_e32 v10, 30, v10
	v_and_or_b32 v9, 0x700, v9, v0
	ds_store_b16 v24, v11
	ds_load_u16 v25, v26
	v_and_b32_e32 v10, 2, v10
	s_delay_alu instid0(VALU_DEP_1) | instskip(SKIP_1) | instid1(VALU_DEP_1)
	v_lshl_or_b32 v28, v9, 2, v10
	v_lshlrev_b64 v[9:10], s11, v[7:8]
	v_lshrrev_b32_e32 v9, 20, v10
	v_lshrrev_b32_e32 v10, 30, v10
	s_delay_alu instid0(VALU_DEP_2) | instskip(NEXT) | instid1(VALU_DEP_2)
	v_and_or_b32 v9, 0x700, v9, v0
	v_and_b32_e32 v10, 2, v10
	s_waitcnt lgkmcnt(0)
	v_add_nc_u16 v11, v25, 1
	s_delay_alu instid0(VALU_DEP_2)
	v_lshl_or_b32 v30, v9, 2, v10
	ds_store_b16 v26, v11
	ds_load_u16 v27, v28
	s_waitcnt lgkmcnt(0)
	v_add_nc_u16 v11, v27, 1
	ds_store_b16 v28, v11
	ds_load_u16 v29, v30
	s_waitcnt lgkmcnt(0)
	v_add_nc_u16 v9, v29, 1
	ds_store_b16 v30, v9
	s_waitcnt lgkmcnt(0)
	s_barrier
	buffer_gl0_inv
	ds_load_2addr_b32 v[15:16], v18 offset1:1
	ds_load_2addr_b32 v[13:14], v18 offset0:2 offset1:3
	ds_load_2addr_b32 v[11:12], v18 offset0:4 offset1:5
	;; [unrolled: 1-line block ×3, first 2 shown]
	s_waitcnt lgkmcnt(3)
	v_add_nc_u32_e32 v31, v16, v15
	s_waitcnt lgkmcnt(2)
	s_delay_alu instid0(VALU_DEP_1) | instskip(SKIP_1) | instid1(VALU_DEP_1)
	v_add3_u32 v31, v31, v13, v14
	s_waitcnt lgkmcnt(1)
	v_add3_u32 v31, v31, v11, v12
	s_waitcnt lgkmcnt(0)
	s_delay_alu instid0(VALU_DEP_1) | instskip(NEXT) | instid1(VALU_DEP_1)
	v_add3_u32 v10, v31, v9, v10
	v_mov_b32_dpp v31, v10 row_shr:1 row_mask:0xf bank_mask:0xf
	s_delay_alu instid0(VALU_DEP_1) | instskip(NEXT) | instid1(VALU_DEP_1)
	v_cndmask_b32_e64 v31, v31, 0, s2
	v_add_nc_u32_e32 v10, v31, v10
	s_delay_alu instid0(VALU_DEP_1) | instskip(NEXT) | instid1(VALU_DEP_1)
	v_mov_b32_dpp v31, v10 row_shr:2 row_mask:0xf bank_mask:0xf
	v_cndmask_b32_e64 v31, 0, v31, s3
	s_delay_alu instid0(VALU_DEP_1) | instskip(NEXT) | instid1(VALU_DEP_1)
	v_add_nc_u32_e32 v10, v10, v31
	v_mov_b32_dpp v31, v10 row_shr:4 row_mask:0xf bank_mask:0xf
	s_delay_alu instid0(VALU_DEP_1) | instskip(NEXT) | instid1(VALU_DEP_1)
	v_cndmask_b32_e64 v31, 0, v31, s4
	v_add_nc_u32_e32 v10, v10, v31
	s_delay_alu instid0(VALU_DEP_1) | instskip(NEXT) | instid1(VALU_DEP_1)
	v_mov_b32_dpp v31, v10 row_shr:8 row_mask:0xf bank_mask:0xf
	v_cndmask_b32_e64 v31, 0, v31, s5
	s_delay_alu instid0(VALU_DEP_1) | instskip(SKIP_3) | instid1(VALU_DEP_1)
	v_add_nc_u32_e32 v10, v10, v31
	ds_swizzle_b32 v31, v10 offset:swizzle(BROADCAST,32,15)
	s_waitcnt lgkmcnt(0)
	v_cndmask_b32_e64 v31, v31, 0, s6
	v_add_nc_u32_e32 v10, v10, v31
	s_and_saveexec_b32 s11, s7
	s_cbranch_execz .LBB109_8
; %bb.7:                                ;   in Loop: Header=BB109_4 Depth=2
	ds_store_b32 v20, v10 offset:8192
.LBB109_8:                              ;   in Loop: Header=BB109_4 Depth=2
	s_or_b32 exec_lo, exec_lo, s11
	s_waitcnt lgkmcnt(0)
	s_barrier
	buffer_gl0_inv
	s_and_saveexec_b32 s11, vcc_lo
	s_cbranch_execz .LBB109_10
; %bb.9:                                ;   in Loop: Header=BB109_4 Depth=2
	ds_load_b32 v31, v17 offset:8192
	s_waitcnt lgkmcnt(0)
	v_mov_b32_dpp v32, v31 row_shr:1 row_mask:0xf bank_mask:0xf
	s_delay_alu instid0(VALU_DEP_1) | instskip(NEXT) | instid1(VALU_DEP_1)
	v_cndmask_b32_e64 v32, v32, 0, s8
	v_add_nc_u32_e32 v31, v32, v31
	s_delay_alu instid0(VALU_DEP_1) | instskip(NEXT) | instid1(VALU_DEP_1)
	v_mov_b32_dpp v32, v31 row_shr:2 row_mask:0xf bank_mask:0xf
	v_cndmask_b32_e64 v32, 0, v32, s9
	s_delay_alu instid0(VALU_DEP_1) | instskip(NEXT) | instid1(VALU_DEP_1)
	v_add_nc_u32_e32 v31, v31, v32
	v_mov_b32_dpp v32, v31 row_shr:4 row_mask:0xf bank_mask:0xf
	s_delay_alu instid0(VALU_DEP_1) | instskip(NEXT) | instid1(VALU_DEP_1)
	v_cndmask_b32_e64 v32, 0, v32, s10
	v_add_nc_u32_e32 v31, v31, v32
	ds_store_b32 v17, v31 offset:8192
.LBB109_10:                             ;   in Loop: Header=BB109_4 Depth=2
	s_or_b32 exec_lo, exec_lo, s11
	v_mov_b32_e32 v31, 0
	s_waitcnt lgkmcnt(0)
	s_barrier
	buffer_gl0_inv
	s_and_saveexec_b32 s11, s0
	s_cbranch_execz .LBB109_3
; %bb.11:                               ;   in Loop: Header=BB109_4 Depth=2
	ds_load_b32 v31, v20 offset:8188
	s_branch .LBB109_3
.LBB109_12:
	ds_load_u16 v0, v24
	ds_load_u16 v1, v26
	;; [unrolled: 1-line block ×4, first 2 shown]
	v_and_b32_e32 v4, 0xffff, v23
	v_and_b32_e32 v5, 0xffff, v25
	;; [unrolled: 1-line block ×4, first 2 shown]
	s_lshl_b64 s[0:1], s[12:13], 2
	s_delay_alu instid0(SALU_CYCLE_1)
	s_add_u32 s0, s18, s0
	s_addc_u32 s1, s19, s1
	s_waitcnt lgkmcnt(3)
	v_add_nc_u32_e32 v0, v0, v4
	s_waitcnt lgkmcnt(2)
	v_add_nc_u32_e32 v1, v1, v5
	;; [unrolled: 2-line block ×4, first 2 shown]
	v_lshlrev_b32_e32 v4, 2, v17
	global_store_b128 v4, v[0:3], s[0:1]
	s_nop 0
	s_sendmsg sendmsg(MSG_DEALLOC_VGPRS)
	s_endpgm
	.section	.rodata,"a",@progbits
	.p2align	6, 0x0
	.amdhsa_kernel _Z11rank_kernelIxLj4ELb0EL18RadixRankAlgorithm1ELj256ELj4ELj10EEvPKT_Pi
		.amdhsa_group_segment_fixed_size 8224
		.amdhsa_private_segment_fixed_size 0
		.amdhsa_kernarg_size 16
		.amdhsa_user_sgpr_count 15
		.amdhsa_user_sgpr_dispatch_ptr 0
		.amdhsa_user_sgpr_queue_ptr 0
		.amdhsa_user_sgpr_kernarg_segment_ptr 1
		.amdhsa_user_sgpr_dispatch_id 0
		.amdhsa_user_sgpr_private_segment_size 0
		.amdhsa_wavefront_size32 1
		.amdhsa_uses_dynamic_stack 0
		.amdhsa_enable_private_segment 0
		.amdhsa_system_sgpr_workgroup_id_x 1
		.amdhsa_system_sgpr_workgroup_id_y 0
		.amdhsa_system_sgpr_workgroup_id_z 0
		.amdhsa_system_sgpr_workgroup_info 0
		.amdhsa_system_vgpr_workitem_id 0
		.amdhsa_next_free_vgpr 33
		.amdhsa_next_free_sgpr 20
		.amdhsa_reserve_vcc 1
		.amdhsa_float_round_mode_32 0
		.amdhsa_float_round_mode_16_64 0
		.amdhsa_float_denorm_mode_32 3
		.amdhsa_float_denorm_mode_16_64 3
		.amdhsa_dx10_clamp 1
		.amdhsa_ieee_mode 1
		.amdhsa_fp16_overflow 0
		.amdhsa_workgroup_processor_mode 1
		.amdhsa_memory_ordered 1
		.amdhsa_forward_progress 0
		.amdhsa_shared_vgpr_count 0
		.amdhsa_exception_fp_ieee_invalid_op 0
		.amdhsa_exception_fp_denorm_src 0
		.amdhsa_exception_fp_ieee_div_zero 0
		.amdhsa_exception_fp_ieee_overflow 0
		.amdhsa_exception_fp_ieee_underflow 0
		.amdhsa_exception_fp_ieee_inexact 0
		.amdhsa_exception_int_div_zero 0
	.end_amdhsa_kernel
	.section	.text._Z11rank_kernelIxLj4ELb0EL18RadixRankAlgorithm1ELj256ELj4ELj10EEvPKT_Pi,"axG",@progbits,_Z11rank_kernelIxLj4ELb0EL18RadixRankAlgorithm1ELj256ELj4ELj10EEvPKT_Pi,comdat
.Lfunc_end109:
	.size	_Z11rank_kernelIxLj4ELb0EL18RadixRankAlgorithm1ELj256ELj4ELj10EEvPKT_Pi, .Lfunc_end109-_Z11rank_kernelIxLj4ELb0EL18RadixRankAlgorithm1ELj256ELj4ELj10EEvPKT_Pi
                                        ; -- End function
	.section	.AMDGPU.csdata,"",@progbits
; Kernel info:
; codeLenInByte = 1376
; NumSgprs: 22
; NumVgprs: 33
; ScratchSize: 0
; MemoryBound: 0
; FloatMode: 240
; IeeeMode: 1
; LDSByteSize: 8224 bytes/workgroup (compile time only)
; SGPRBlocks: 2
; VGPRBlocks: 4
; NumSGPRsForWavesPerEU: 22
; NumVGPRsForWavesPerEU: 33
; Occupancy: 16
; WaveLimiterHint : 0
; COMPUTE_PGM_RSRC2:SCRATCH_EN: 0
; COMPUTE_PGM_RSRC2:USER_SGPR: 15
; COMPUTE_PGM_RSRC2:TRAP_HANDLER: 0
; COMPUTE_PGM_RSRC2:TGID_X_EN: 1
; COMPUTE_PGM_RSRC2:TGID_Y_EN: 0
; COMPUTE_PGM_RSRC2:TGID_Z_EN: 0
; COMPUTE_PGM_RSRC2:TIDIG_COMP_CNT: 0
	.section	.text._Z11rank_kernelIxLj4ELb0EL18RadixRankAlgorithm2ELj256ELj4ELj10EEvPKT_Pi,"axG",@progbits,_Z11rank_kernelIxLj4ELb0EL18RadixRankAlgorithm2ELj256ELj4ELj10EEvPKT_Pi,comdat
	.protected	_Z11rank_kernelIxLj4ELb0EL18RadixRankAlgorithm2ELj256ELj4ELj10EEvPKT_Pi ; -- Begin function _Z11rank_kernelIxLj4ELb0EL18RadixRankAlgorithm2ELj256ELj4ELj10EEvPKT_Pi
	.globl	_Z11rank_kernelIxLj4ELb0EL18RadixRankAlgorithm2ELj256ELj4ELj10EEvPKT_Pi
	.p2align	8
	.type	_Z11rank_kernelIxLj4ELb0EL18RadixRankAlgorithm2ELj256ELj4ELj10EEvPKT_Pi,@function
_Z11rank_kernelIxLj4ELb0EL18RadixRankAlgorithm2ELj256ELj4ELj10EEvPKT_Pi: ; @_Z11rank_kernelIxLj4ELb0EL18RadixRankAlgorithm2ELj256ELj4ELj10EEvPKT_Pi
; %bb.0:
	s_clause 0x1
	s_load_b128 s[16:19], s[0:1], 0x0
	s_load_b32 s8, s[0:1], 0x1c
	v_dual_mov_b32 v9, 0 :: v_dual_and_b32 v10, 0x3ff, v0
	s_mov_b32 s21, 0
	s_lshl_b32 s20, s15, 10
	v_mbcnt_lo_u32_b32 v11, -1, 0
	s_lshl_b64 s[2:3], s[20:21], 3
	v_lshlrev_b32_e32 v5, 5, v10
	v_bfe_u32 v12, v0, 10, 10
	v_bfe_u32 v13, v0, 20, 10
	v_and_b32_e32 v15, 16, v11
	v_add_nc_u32_e32 v16, -1, v11
	v_and_b32_e32 v14, 15, v11
	v_cmp_eq_u32_e32 vcc_lo, 0, v11
	v_and_b32_e32 v17, 7, v11
	v_cmp_eq_u32_e64 s4, 0, v15
	v_lshlrev_b32_e32 v0, 2, v10
	v_cmp_gt_u32_e64 s5, 8, v10
	v_cmp_lt_u32_e64 s6, 31, v10
	s_waitcnt lgkmcnt(0)
	s_add_u32 s0, s16, s2
	s_addc_u32 s1, s17, s3
	s_lshr_b32 s7, s8, 16
	s_clause 0x1
	global_load_b128 v[1:4], v5, s[0:1]
	global_load_b128 v[5:8], v5, s[0:1] offset:16
	v_mad_u32_u24 v15, v13, s7, v12
	v_cmp_gt_i32_e64 s7, 0, v16
	v_cmp_eq_u32_e64 s0, 0, v14
	v_cmp_lt_u32_e64 s1, 1, v14
	v_cmp_lt_u32_e64 s2, 3, v14
	;; [unrolled: 1-line block ×3, first 2 shown]
	v_cndmask_b32_e64 v11, v16, v11, s7
	s_and_b32 s7, s8, 0xffff
	v_or_b32_e32 v14, 31, v10
	v_cmp_lt_u32_e64 s8, 1, v17
	v_cmp_lt_u32_e64 s9, 3, v17
	v_mad_u64_u32 v[12:13], null, v15, s7, v[10:11]
	v_lshrrev_b32_e32 v13, 3, v10
	v_cmp_eq_u32_e64 s10, v14, v10
	v_lshlrev_b32_e32 v10, 2, v11
	v_cmp_eq_u32_e64 s7, 0, v17
	s_mov_b32 s13, s21
	v_and_b32_e32 v11, 28, v13
	v_lshrrev_b32_e32 v12, 5, v12
	s_delay_alu instid0(VALU_DEP_2)
	v_add_nc_u32_e32 v13, -4, v11
	s_waitcnt vmcnt(1)
	v_xor_b32_e32 v2, 0x80000000, v2
	v_xor_b32_e32 v4, 0x80000000, v4
	s_waitcnt vmcnt(0)
	v_xor_b32_e32 v6, 0x80000000, v6
	v_xor_b32_e32 v8, 0x80000000, v8
	s_branch .LBB110_2
.LBB110_1:                              ;   in Loop: Header=BB110_2 Depth=1
	s_add_i32 s13, s13, 1
	s_delay_alu instid0(SALU_CYCLE_1)
	s_cmp_eq_u32 s13, 10
	s_cbranch_scc1 .LBB110_18
.LBB110_2:                              ; =>This Loop Header: Depth=1
                                        ;     Child Loop BB110_4 Depth 2
	s_mov_b64 s[14:15], 60
	s_mov_b32 s16, -4
	s_branch .LBB110_4
.LBB110_3:                              ;   in Loop: Header=BB110_4 Depth=2
	s_or_b32 exec_lo, exec_lo, s11
	s_waitcnt lgkmcnt(0)
	v_add_nc_u32_e32 v25, v26, v25
	s_add_i32 s16, s16, 4
	s_add_u32 s14, s14, -4
	s_addc_u32 s15, s15, -1
	s_cmp_lt_u32 s16, 60
	ds_bpermute_b32 v25, v10, v25
	s_waitcnt lgkmcnt(0)
	v_cndmask_b32_e32 v25, v25, v26, vcc_lo
	ds_store_b32 v0, v25 offset:32
	s_waitcnt lgkmcnt(0)
	s_barrier
	buffer_gl0_inv
	s_cbranch_scc0 .LBB110_1
.LBB110_4:                              ;   Parent Loop BB110_2 Depth=1
                                        ; =>  This Inner Loop Header: Depth=2
	v_lshlrev_b64 v[14:15], s14, v[1:2]
	ds_store_b32 v0, v9 offset:32
	s_waitcnt lgkmcnt(0)
	s_barrier
	buffer_gl0_inv
	v_bfe_u32 v14, v15, 28, 1
	v_lshrrev_b32_e32 v17, 28, v15
	v_and_b32_e32 v15, 0xf0000000, v15
	; wave barrier
	s_delay_alu instid0(VALU_DEP_3) | instskip(NEXT) | instid1(VALU_DEP_1)
	v_add_co_u32 v14, s11, v14, -1
	v_cndmask_b32_e64 v16, 0, 1, s11
	s_delay_alu instid0(VALU_DEP_4) | instskip(SKIP_2) | instid1(VALU_DEP_4)
	v_lshlrev_b32_e32 v18, 30, v17
	v_lshlrev_b32_e32 v19, 29, v17
	v_not_b32_e32 v20, v15
	v_cmp_ne_u32_e64 s11, 0, v16
	s_delay_alu instid0(VALU_DEP_4) | instskip(SKIP_2) | instid1(VALU_DEP_4)
	v_not_b32_e32 v16, v18
	v_cmp_gt_i32_e64 s12, 0, v18
	v_not_b32_e32 v18, v19
	v_xor_b32_e32 v14, s11, v14
	s_delay_alu instid0(VALU_DEP_4) | instskip(SKIP_1) | instid1(VALU_DEP_4)
	v_ashrrev_i32_e32 v16, 31, v16
	v_cmp_gt_i32_e64 s11, 0, v19
	v_ashrrev_i32_e32 v18, 31, v18
	s_delay_alu instid0(VALU_DEP_4) | instskip(NEXT) | instid1(VALU_DEP_4)
	v_and_b32_e32 v14, exec_lo, v14
	v_xor_b32_e32 v16, s12, v16
	v_cmp_gt_i32_e64 s12, 0, v15
	v_ashrrev_i32_e32 v15, 31, v20
	v_xor_b32_e32 v18, s11, v18
	s_delay_alu instid0(VALU_DEP_4) | instskip(NEXT) | instid1(VALU_DEP_3)
	v_and_b32_e32 v14, v14, v16
	v_xor_b32_e32 v15, s12, v15
	s_delay_alu instid0(VALU_DEP_2) | instskip(NEXT) | instid1(VALU_DEP_1)
	v_and_b32_e32 v14, v14, v18
	v_and_b32_e32 v16, v14, v15
	v_mad_u32_u24 v15, v17, 9, v12
	s_delay_alu instid0(VALU_DEP_2) | instskip(SKIP_1) | instid1(VALU_DEP_3)
	v_mbcnt_lo_u32_b32 v14, v16, 0
	v_cmp_ne_u32_e64 s12, 0, v16
	v_lshl_add_u32 v15, v15, 2, 32
	s_delay_alu instid0(VALU_DEP_3) | instskip(NEXT) | instid1(VALU_DEP_1)
	v_cmp_eq_u32_e64 s11, 0, v14
	s_and_b32 s12, s12, s11
	s_delay_alu instid0(SALU_CYCLE_1)
	s_and_saveexec_b32 s11, s12
	s_cbranch_execz .LBB110_6
; %bb.5:                                ;   in Loop: Header=BB110_4 Depth=2
	v_bcnt_u32_b32 v16, v16, 0
	ds_store_b32 v15, v16
.LBB110_6:                              ;   in Loop: Header=BB110_4 Depth=2
	s_or_b32 exec_lo, exec_lo, s11
	v_lshlrev_b64 v[16:17], s14, v[3:4]
	; wave barrier
	s_delay_alu instid0(VALU_DEP_1) | instskip(SKIP_2) | instid1(VALU_DEP_3)
	v_bfe_u32 v16, v17, 28, 1
	v_lshrrev_b32_e32 v18, 28, v17
	v_and_b32_e32 v17, 0xf0000000, v17
	v_add_co_u32 v16, s11, v16, -1
	s_delay_alu instid0(VALU_DEP_1) | instskip(NEXT) | instid1(VALU_DEP_4)
	v_cndmask_b32_e64 v19, 0, 1, s11
	v_lshlrev_b32_e32 v20, 30, v18
	v_lshlrev_b32_e32 v21, 29, v18
	v_not_b32_e32 v22, v17
	v_mul_u32_u24_e32 v18, 9, v18
	v_cmp_ne_u32_e64 s11, 0, v19
	v_not_b32_e32 v19, v20
	v_cmp_gt_i32_e64 s12, 0, v20
	v_not_b32_e32 v20, v21
	v_add_lshl_u32 v18, v12, v18, 2
	v_xor_b32_e32 v16, s11, v16
	v_ashrrev_i32_e32 v19, 31, v19
	v_cmp_gt_i32_e64 s11, 0, v21
	v_ashrrev_i32_e32 v20, 31, v20
	s_delay_alu instid0(VALU_DEP_4) | instskip(NEXT) | instid1(VALU_DEP_4)
	v_and_b32_e32 v16, exec_lo, v16
	v_xor_b32_e32 v19, s12, v19
	v_cmp_gt_i32_e64 s12, 0, v17
	v_ashrrev_i32_e32 v17, 31, v22
	v_xor_b32_e32 v20, s11, v20
	s_delay_alu instid0(VALU_DEP_4) | instskip(NEXT) | instid1(VALU_DEP_3)
	v_and_b32_e32 v16, v16, v19
	v_xor_b32_e32 v17, s12, v17
	s_delay_alu instid0(VALU_DEP_2) | instskip(SKIP_3) | instid1(VALU_DEP_1)
	v_and_b32_e32 v19, v16, v20
	ds_load_b32 v16, v18 offset:32
	v_add_nc_u32_e32 v18, 32, v18
	; wave barrier
	v_and_b32_e32 v19, v19, v17
	v_mbcnt_lo_u32_b32 v17, v19, 0
	v_cmp_ne_u32_e64 s12, 0, v19
	s_delay_alu instid0(VALU_DEP_2) | instskip(NEXT) | instid1(VALU_DEP_1)
	v_cmp_eq_u32_e64 s11, 0, v17
	s_and_b32 s12, s12, s11
	s_delay_alu instid0(SALU_CYCLE_1)
	s_and_saveexec_b32 s11, s12
	s_cbranch_execz .LBB110_8
; %bb.7:                                ;   in Loop: Header=BB110_4 Depth=2
	s_waitcnt lgkmcnt(0)
	v_bcnt_u32_b32 v19, v19, v16
	ds_store_b32 v18, v19
.LBB110_8:                              ;   in Loop: Header=BB110_4 Depth=2
	s_or_b32 exec_lo, exec_lo, s11
	v_lshlrev_b64 v[19:20], s14, v[5:6]
	; wave barrier
	s_delay_alu instid0(VALU_DEP_1) | instskip(SKIP_2) | instid1(VALU_DEP_3)
	v_bfe_u32 v19, v20, 28, 1
	v_lshrrev_b32_e32 v21, 28, v20
	v_and_b32_e32 v20, 0xf0000000, v20
	v_add_co_u32 v19, s11, v19, -1
	s_delay_alu instid0(VALU_DEP_1) | instskip(NEXT) | instid1(VALU_DEP_4)
	v_cndmask_b32_e64 v22, 0, 1, s11
	v_lshlrev_b32_e32 v23, 30, v21
	v_lshlrev_b32_e32 v24, 29, v21
	v_not_b32_e32 v25, v20
	v_mul_u32_u24_e32 v21, 9, v21
	v_cmp_ne_u32_e64 s11, 0, v22
	v_not_b32_e32 v22, v23
	v_cmp_gt_i32_e64 s12, 0, v23
	v_not_b32_e32 v23, v24
	v_add_lshl_u32 v21, v12, v21, 2
	v_xor_b32_e32 v19, s11, v19
	v_ashrrev_i32_e32 v22, 31, v22
	v_cmp_gt_i32_e64 s11, 0, v24
	v_ashrrev_i32_e32 v23, 31, v23
	s_delay_alu instid0(VALU_DEP_4) | instskip(NEXT) | instid1(VALU_DEP_4)
	v_and_b32_e32 v19, exec_lo, v19
	v_xor_b32_e32 v22, s12, v22
	v_cmp_gt_i32_e64 s12, 0, v20
	v_ashrrev_i32_e32 v20, 31, v25
	v_xor_b32_e32 v23, s11, v23
	s_delay_alu instid0(VALU_DEP_4) | instskip(NEXT) | instid1(VALU_DEP_3)
	v_and_b32_e32 v19, v19, v22
	v_xor_b32_e32 v20, s12, v20
	s_delay_alu instid0(VALU_DEP_2) | instskip(SKIP_3) | instid1(VALU_DEP_1)
	v_and_b32_e32 v22, v19, v23
	ds_load_b32 v19, v21 offset:32
	v_add_nc_u32_e32 v21, 32, v21
	; wave barrier
	v_and_b32_e32 v22, v22, v20
	v_mbcnt_lo_u32_b32 v20, v22, 0
	v_cmp_ne_u32_e64 s12, 0, v22
	s_delay_alu instid0(VALU_DEP_2) | instskip(NEXT) | instid1(VALU_DEP_1)
	v_cmp_eq_u32_e64 s11, 0, v20
	s_and_b32 s12, s12, s11
	s_delay_alu instid0(SALU_CYCLE_1)
	s_and_saveexec_b32 s11, s12
	s_cbranch_execz .LBB110_10
; %bb.9:                                ;   in Loop: Header=BB110_4 Depth=2
	s_waitcnt lgkmcnt(0)
	v_bcnt_u32_b32 v22, v22, v19
	ds_store_b32 v21, v22
.LBB110_10:                             ;   in Loop: Header=BB110_4 Depth=2
	s_or_b32 exec_lo, exec_lo, s11
	v_lshlrev_b64 v[22:23], s14, v[7:8]
	; wave barrier
	s_delay_alu instid0(VALU_DEP_1) | instskip(SKIP_2) | instid1(VALU_DEP_3)
	v_bfe_u32 v22, v23, 28, 1
	v_lshrrev_b32_e32 v24, 28, v23
	v_and_b32_e32 v23, 0xf0000000, v23
	v_add_co_u32 v22, s11, v22, -1
	s_delay_alu instid0(VALU_DEP_1) | instskip(NEXT) | instid1(VALU_DEP_4)
	v_cndmask_b32_e64 v25, 0, 1, s11
	v_lshlrev_b32_e32 v26, 30, v24
	v_lshlrev_b32_e32 v27, 29, v24
	v_not_b32_e32 v28, v23
	v_mul_u32_u24_e32 v24, 9, v24
	v_cmp_ne_u32_e64 s11, 0, v25
	v_not_b32_e32 v25, v26
	v_cmp_gt_i32_e64 s12, 0, v26
	v_not_b32_e32 v26, v27
	v_add_lshl_u32 v24, v12, v24, 2
	v_xor_b32_e32 v22, s11, v22
	v_ashrrev_i32_e32 v25, 31, v25
	v_cmp_gt_i32_e64 s11, 0, v27
	v_ashrrev_i32_e32 v26, 31, v26
	s_delay_alu instid0(VALU_DEP_4) | instskip(NEXT) | instid1(VALU_DEP_4)
	v_and_b32_e32 v22, exec_lo, v22
	v_xor_b32_e32 v25, s12, v25
	v_cmp_gt_i32_e64 s12, 0, v23
	v_ashrrev_i32_e32 v23, 31, v28
	v_xor_b32_e32 v26, s11, v26
	s_delay_alu instid0(VALU_DEP_4) | instskip(NEXT) | instid1(VALU_DEP_3)
	v_and_b32_e32 v22, v22, v25
	v_xor_b32_e32 v23, s12, v23
	s_delay_alu instid0(VALU_DEP_2) | instskip(SKIP_3) | instid1(VALU_DEP_1)
	v_and_b32_e32 v25, v22, v26
	ds_load_b32 v22, v24 offset:32
	v_add_nc_u32_e32 v24, 32, v24
	; wave barrier
	v_and_b32_e32 v25, v25, v23
	v_mbcnt_lo_u32_b32 v23, v25, 0
	v_cmp_ne_u32_e64 s12, 0, v25
	s_delay_alu instid0(VALU_DEP_2) | instskip(NEXT) | instid1(VALU_DEP_1)
	v_cmp_eq_u32_e64 s11, 0, v23
	s_and_b32 s12, s12, s11
	s_delay_alu instid0(SALU_CYCLE_1)
	s_and_saveexec_b32 s11, s12
	s_cbranch_execz .LBB110_12
; %bb.11:                               ;   in Loop: Header=BB110_4 Depth=2
	s_waitcnt lgkmcnt(0)
	v_bcnt_u32_b32 v25, v25, v22
	ds_store_b32 v24, v25
.LBB110_12:                             ;   in Loop: Header=BB110_4 Depth=2
	s_or_b32 exec_lo, exec_lo, s11
	; wave barrier
	s_waitcnt lgkmcnt(0)
	s_barrier
	buffer_gl0_inv
	ds_load_b32 v25, v0 offset:32
	s_waitcnt lgkmcnt(0)
	v_mov_b32_dpp v26, v25 row_shr:1 row_mask:0xf bank_mask:0xf
	s_delay_alu instid0(VALU_DEP_1) | instskip(NEXT) | instid1(VALU_DEP_1)
	v_cndmask_b32_e64 v26, v26, 0, s0
	v_add_nc_u32_e32 v25, v26, v25
	s_delay_alu instid0(VALU_DEP_1) | instskip(NEXT) | instid1(VALU_DEP_1)
	v_mov_b32_dpp v26, v25 row_shr:2 row_mask:0xf bank_mask:0xf
	v_cndmask_b32_e64 v26, 0, v26, s1
	s_delay_alu instid0(VALU_DEP_1) | instskip(NEXT) | instid1(VALU_DEP_1)
	v_add_nc_u32_e32 v25, v25, v26
	v_mov_b32_dpp v26, v25 row_shr:4 row_mask:0xf bank_mask:0xf
	s_delay_alu instid0(VALU_DEP_1) | instskip(NEXT) | instid1(VALU_DEP_1)
	v_cndmask_b32_e64 v26, 0, v26, s2
	v_add_nc_u32_e32 v25, v25, v26
	s_delay_alu instid0(VALU_DEP_1) | instskip(NEXT) | instid1(VALU_DEP_1)
	v_mov_b32_dpp v26, v25 row_shr:8 row_mask:0xf bank_mask:0xf
	v_cndmask_b32_e64 v26, 0, v26, s3
	s_delay_alu instid0(VALU_DEP_1) | instskip(SKIP_3) | instid1(VALU_DEP_1)
	v_add_nc_u32_e32 v25, v25, v26
	ds_swizzle_b32 v26, v25 offset:swizzle(BROADCAST,32,15)
	s_waitcnt lgkmcnt(0)
	v_cndmask_b32_e64 v26, v26, 0, s4
	v_add_nc_u32_e32 v25, v25, v26
	s_and_saveexec_b32 s11, s10
	s_delay_alu instid0(SALU_CYCLE_1)
	s_xor_b32 s11, exec_lo, s11
	s_cbranch_execz .LBB110_14
; %bb.13:                               ;   in Loop: Header=BB110_4 Depth=2
	ds_store_b32 v11, v25
.LBB110_14:                             ;   in Loop: Header=BB110_4 Depth=2
	s_or_b32 exec_lo, exec_lo, s11
	s_waitcnt lgkmcnt(0)
	s_barrier
	buffer_gl0_inv
	s_and_saveexec_b32 s11, s5
	s_cbranch_execz .LBB110_16
; %bb.15:                               ;   in Loop: Header=BB110_4 Depth=2
	ds_load_b32 v26, v0
	s_waitcnt lgkmcnt(0)
	v_mov_b32_dpp v27, v26 row_shr:1 row_mask:0xf bank_mask:0xf
	s_delay_alu instid0(VALU_DEP_1) | instskip(NEXT) | instid1(VALU_DEP_1)
	v_cndmask_b32_e64 v27, v27, 0, s7
	v_add_nc_u32_e32 v26, v27, v26
	s_delay_alu instid0(VALU_DEP_1) | instskip(NEXT) | instid1(VALU_DEP_1)
	v_mov_b32_dpp v27, v26 row_shr:2 row_mask:0xf bank_mask:0xf
	v_cndmask_b32_e64 v27, 0, v27, s8
	s_delay_alu instid0(VALU_DEP_1) | instskip(NEXT) | instid1(VALU_DEP_1)
	v_add_nc_u32_e32 v26, v26, v27
	v_mov_b32_dpp v27, v26 row_shr:4 row_mask:0xf bank_mask:0xf
	s_delay_alu instid0(VALU_DEP_1) | instskip(NEXT) | instid1(VALU_DEP_1)
	v_cndmask_b32_e64 v27, 0, v27, s9
	v_add_nc_u32_e32 v26, v26, v27
	ds_store_b32 v0, v26
.LBB110_16:                             ;   in Loop: Header=BB110_4 Depth=2
	s_or_b32 exec_lo, exec_lo, s11
	v_mov_b32_e32 v26, 0
	s_waitcnt lgkmcnt(0)
	s_barrier
	buffer_gl0_inv
	s_and_saveexec_b32 s11, s6
	s_cbranch_execz .LBB110_3
; %bb.17:                               ;   in Loop: Header=BB110_4 Depth=2
	ds_load_b32 v26, v13
	s_branch .LBB110_3
.LBB110_18:
	ds_load_b32 v1, v15
	ds_load_b32 v2, v18
	;; [unrolled: 1-line block ×4, first 2 shown]
	s_lshl_b64 s[0:1], s[20:21], 2
	v_lshlrev_b32_e32 v0, 2, v0
	s_add_u32 s0, s18, s0
	s_addc_u32 s1, s19, s1
	s_waitcnt lgkmcnt(3)
	v_add_nc_u32_e32 v1, v1, v14
	s_waitcnt lgkmcnt(2)
	v_add3_u32 v2, v17, v16, v2
	s_waitcnt lgkmcnt(1)
	v_add3_u32 v3, v20, v19, v3
	;; [unrolled: 2-line block ×3, first 2 shown]
	global_store_b128 v0, v[1:4], s[0:1]
	s_nop 0
	s_sendmsg sendmsg(MSG_DEALLOC_VGPRS)
	s_endpgm
	.section	.rodata,"a",@progbits
	.p2align	6, 0x0
	.amdhsa_kernel _Z11rank_kernelIxLj4ELb0EL18RadixRankAlgorithm2ELj256ELj4ELj10EEvPKT_Pi
		.amdhsa_group_segment_fixed_size 1056
		.amdhsa_private_segment_fixed_size 0
		.amdhsa_kernarg_size 272
		.amdhsa_user_sgpr_count 15
		.amdhsa_user_sgpr_dispatch_ptr 0
		.amdhsa_user_sgpr_queue_ptr 0
		.amdhsa_user_sgpr_kernarg_segment_ptr 1
		.amdhsa_user_sgpr_dispatch_id 0
		.amdhsa_user_sgpr_private_segment_size 0
		.amdhsa_wavefront_size32 1
		.amdhsa_uses_dynamic_stack 0
		.amdhsa_enable_private_segment 0
		.amdhsa_system_sgpr_workgroup_id_x 1
		.amdhsa_system_sgpr_workgroup_id_y 0
		.amdhsa_system_sgpr_workgroup_id_z 0
		.amdhsa_system_sgpr_workgroup_info 0
		.amdhsa_system_vgpr_workitem_id 2
		.amdhsa_next_free_vgpr 29
		.amdhsa_next_free_sgpr 22
		.amdhsa_reserve_vcc 1
		.amdhsa_float_round_mode_32 0
		.amdhsa_float_round_mode_16_64 0
		.amdhsa_float_denorm_mode_32 3
		.amdhsa_float_denorm_mode_16_64 3
		.amdhsa_dx10_clamp 1
		.amdhsa_ieee_mode 1
		.amdhsa_fp16_overflow 0
		.amdhsa_workgroup_processor_mode 1
		.amdhsa_memory_ordered 1
		.amdhsa_forward_progress 0
		.amdhsa_shared_vgpr_count 0
		.amdhsa_exception_fp_ieee_invalid_op 0
		.amdhsa_exception_fp_denorm_src 0
		.amdhsa_exception_fp_ieee_div_zero 0
		.amdhsa_exception_fp_ieee_overflow 0
		.amdhsa_exception_fp_ieee_underflow 0
		.amdhsa_exception_fp_ieee_inexact 0
		.amdhsa_exception_int_div_zero 0
	.end_amdhsa_kernel
	.section	.text._Z11rank_kernelIxLj4ELb0EL18RadixRankAlgorithm2ELj256ELj4ELj10EEvPKT_Pi,"axG",@progbits,_Z11rank_kernelIxLj4ELb0EL18RadixRankAlgorithm2ELj256ELj4ELj10EEvPKT_Pi,comdat
.Lfunc_end110:
	.size	_Z11rank_kernelIxLj4ELb0EL18RadixRankAlgorithm2ELj256ELj4ELj10EEvPKT_Pi, .Lfunc_end110-_Z11rank_kernelIxLj4ELb0EL18RadixRankAlgorithm2ELj256ELj4ELj10EEvPKT_Pi
                                        ; -- End function
	.section	.AMDGPU.csdata,"",@progbits
; Kernel info:
; codeLenInByte = 1928
; NumSgprs: 24
; NumVgprs: 29
; ScratchSize: 0
; MemoryBound: 0
; FloatMode: 240
; IeeeMode: 1
; LDSByteSize: 1056 bytes/workgroup (compile time only)
; SGPRBlocks: 2
; VGPRBlocks: 3
; NumSGPRsForWavesPerEU: 24
; NumVGPRsForWavesPerEU: 29
; Occupancy: 16
; WaveLimiterHint : 0
; COMPUTE_PGM_RSRC2:SCRATCH_EN: 0
; COMPUTE_PGM_RSRC2:USER_SGPR: 15
; COMPUTE_PGM_RSRC2:TRAP_HANDLER: 0
; COMPUTE_PGM_RSRC2:TGID_X_EN: 1
; COMPUTE_PGM_RSRC2:TGID_Y_EN: 0
; COMPUTE_PGM_RSRC2:TGID_Z_EN: 0
; COMPUTE_PGM_RSRC2:TIDIG_COMP_CNT: 2
	.section	.text._Z11rank_kernelIxLj4ELb0EL18RadixRankAlgorithm0ELj256ELj8ELj10EEvPKT_Pi,"axG",@progbits,_Z11rank_kernelIxLj4ELb0EL18RadixRankAlgorithm0ELj256ELj8ELj10EEvPKT_Pi,comdat
	.protected	_Z11rank_kernelIxLj4ELb0EL18RadixRankAlgorithm0ELj256ELj8ELj10EEvPKT_Pi ; -- Begin function _Z11rank_kernelIxLj4ELb0EL18RadixRankAlgorithm0ELj256ELj8ELj10EEvPKT_Pi
	.globl	_Z11rank_kernelIxLj4ELb0EL18RadixRankAlgorithm0ELj256ELj8ELj10EEvPKT_Pi
	.p2align	8
	.type	_Z11rank_kernelIxLj4ELb0EL18RadixRankAlgorithm0ELj256ELj8ELj10EEvPKT_Pi,@function
_Z11rank_kernelIxLj4ELb0EL18RadixRankAlgorithm0ELj256ELj8ELj10EEvPKT_Pi: ; @_Z11rank_kernelIxLj4ELb0EL18RadixRankAlgorithm0ELj256ELj8ELj10EEvPKT_Pi
; %bb.0:
	s_load_b128 s[16:19], s[0:1], 0x0
	s_mov_b32 s13, 0
	s_lshl_b32 s12, s15, 11
	v_dual_mov_b32 v18, 0 :: v_dual_lshlrev_b32 v13, 6, v0
	s_lshl_b64 s[0:1], s[12:13], 3
	v_mbcnt_lo_u32_b32 v21, -1, 0
	v_or_b32_e32 v24, 31, v0
	v_lshrrev_b32_e32 v26, 3, v0
	v_lshlrev_b32_e32 v17, 3, v0
	v_lshlrev_b32_e32 v19, 5, v0
	v_add_nc_u32_e32 v25, -1, v21
	v_and_b32_e32 v22, 15, v21
	v_and_b32_e32 v23, 16, v21
	;; [unrolled: 1-line block ×3, first 2 shown]
	v_cmp_gt_u32_e32 vcc_lo, 8, v0
	v_cmp_gt_i32_e64 s8, 0, v25
	v_cmp_eq_u32_e64 s2, 0, v22
	v_cmp_lt_u32_e64 s3, 1, v22
	v_cmp_lt_u32_e64 s4, 3, v22
	s_waitcnt lgkmcnt(0)
	s_add_u32 s0, s16, s0
	s_addc_u32 s1, s17, s1
	v_cmp_lt_u32_e64 s5, 7, v22
	s_clause 0x3
	global_load_b128 v[1:4], v13, s[0:1]
	global_load_b128 v[5:8], v13, s[0:1] offset:16
	global_load_b128 v[9:12], v13, s[0:1] offset:32
	;; [unrolled: 1-line block ×3, first 2 shown]
	v_cndmask_b32_e64 v22, v25, v21, s8
	v_cmp_lt_u32_e64 s0, 31, v0
	v_cmp_eq_u32_e64 s1, 0, v21
	v_lshlrev_b32_e32 v20, 2, v0
	v_cmp_eq_u32_e64 s6, 0, v23
	v_cmp_eq_u32_e64 s7, v24, v0
	v_and_b32_e32 v21, 28, v26
	v_cmp_eq_u32_e64 s8, 0, v27
	v_cmp_lt_u32_e64 s9, 1, v27
	v_cmp_lt_u32_e64 s10, 3, v27
	v_lshlrev_b32_e32 v22, 2, v22
	v_or_b32_e32 v23, 0xffffff00, v0
	s_mov_b32 s14, s13
	s_waitcnt vmcnt(3)
	v_xor_b32_e32 v2, 0x80000000, v2
	v_xor_b32_e32 v4, 0x80000000, v4
	s_waitcnt vmcnt(2)
	v_xor_b32_e32 v6, 0x80000000, v6
	v_xor_b32_e32 v8, 0x80000000, v8
	;; [unrolled: 3-line block ×4, first 2 shown]
	s_branch .LBB111_2
.LBB111_1:                              ;   in Loop: Header=BB111_2 Depth=1
	s_add_i32 s14, s14, 1
	s_delay_alu instid0(SALU_CYCLE_1)
	s_cmp_eq_u32 s14, 10
	s_cbranch_scc1 .LBB111_12
.LBB111_2:                              ; =>This Loop Header: Depth=1
                                        ;     Child Loop BB111_4 Depth 2
                                        ;       Child Loop BB111_5 Depth 3
	s_mov_b32 s15, 0
	s_branch .LBB111_4
.LBB111_3:                              ;   in Loop: Header=BB111_4 Depth=2
	s_or_b32 exec_lo, exec_lo, s11
	s_waitcnt lgkmcnt(0)
	v_add_nc_u32_e32 v40, v41, v40
	ds_load_b32 v44, v18 offset:8220
	ds_load_2addr_b32 v[42:43], v19 offset1:1
	s_add_i32 s11, s15, 4
	s_cmp_lt_u32 s15, 60
	s_mov_b32 s15, s11
	ds_bpermute_b32 v40, v22, v40
	s_waitcnt lgkmcnt(0)
	v_cndmask_b32_e64 v45, v40, v41, s1
	ds_load_2addr_b32 v[40:41], v19 offset0:2 offset1:3
	v_lshl_add_u32 v46, v44, 16, v45
	ds_load_2addr_b32 v[44:45], v19 offset0:4 offset1:5
	ds_load_b32 v47, v19 offset:24
	v_add_nc_u32_e32 v42, v46, v42
	s_delay_alu instid0(VALU_DEP_1) | instskip(SKIP_1) | instid1(VALU_DEP_1)
	v_add_nc_u32_e32 v43, v43, v42
	s_waitcnt lgkmcnt(2)
	v_add_nc_u32_e32 v40, v40, v43
	s_delay_alu instid0(VALU_DEP_1) | instskip(SKIP_1) | instid1(VALU_DEP_1)
	v_add_nc_u32_e32 v41, v41, v40
	s_waitcnt lgkmcnt(1)
	;; [unrolled: 4-line block ×3, first 2 shown]
	v_add_nc_u32_e32 v47, v47, v45
	ds_store_2addr_b32 v19, v46, v42 offset1:1
	ds_store_2addr_b32 v19, v43, v40 offset0:2 offset1:3
	ds_store_2addr_b32 v19, v41, v44 offset0:4 offset1:5
	;; [unrolled: 1-line block ×3, first 2 shown]
	s_waitcnt lgkmcnt(0)
	s_barrier
	buffer_gl0_inv
	s_cbranch_scc0 .LBB111_1
.LBB111_4:                              ;   Parent Loop BB111_2 Depth=1
                                        ; =>  This Loop Header: Depth=2
                                        ;       Child Loop BB111_5 Depth 3
	v_dual_mov_b32 v24, v23 :: v_dual_mov_b32 v25, v20
	s_mov_b32 s16, 0
.LBB111_5:                              ;   Parent Loop BB111_2 Depth=1
                                        ;     Parent Loop BB111_4 Depth=2
                                        ; =>    This Inner Loop Header: Depth=3
	s_delay_alu instid0(VALU_DEP_1) | instskip(SKIP_3) | instid1(VALU_DEP_1)
	v_add_nc_u32_e32 v24, 0x100, v24
	ds_store_b32 v25, v18
	v_add_nc_u32_e32 v25, 0x400, v25
	v_cmp_lt_u32_e64 s11, 0x6ff, v24
	s_or_b32 s16, s11, s16
	s_delay_alu instid0(SALU_CYCLE_1)
	s_and_not1_b32 exec_lo, exec_lo, s16
	s_cbranch_execnz .LBB111_5
; %bb.6:                                ;   in Loop: Header=BB111_4 Depth=2
	s_or_b32 exec_lo, exec_lo, s16
	s_sub_i32 s11, 60, s15
	s_delay_alu instid0(SALU_CYCLE_1) | instskip(SKIP_1) | instid1(VALU_DEP_2)
	v_lshlrev_b64 v[24:25], s11, v[1:2]
	v_lshlrev_b64 v[26:27], s11, v[3:4]
	v_lshrrev_b32_e32 v24, 20, v25
	v_lshrrev_b32_e32 v25, 30, v25
	s_delay_alu instid0(VALU_DEP_3) | instskip(SKIP_1) | instid1(VALU_DEP_4)
	v_lshrrev_b32_e32 v26, 20, v27
	v_lshrrev_b32_e32 v27, 30, v27
	v_and_or_b32 v24, 0x700, v24, v0
	s_delay_alu instid0(VALU_DEP_4) | instskip(NEXT) | instid1(VALU_DEP_4)
	v_and_b32_e32 v25, 2, v25
	v_and_or_b32 v26, 0x700, v26, v0
	s_delay_alu instid0(VALU_DEP_4) | instskip(NEXT) | instid1(VALU_DEP_3)
	v_and_b32_e32 v27, 2, v27
	v_lshl_or_b32 v25, v24, 2, v25
	s_delay_alu instid0(VALU_DEP_2)
	v_lshl_or_b32 v27, v26, 2, v27
	ds_load_u16 v24, v25
	s_waitcnt lgkmcnt(0)
	v_add_nc_u16 v28, v24, 1
	ds_store_b16 v25, v28
	ds_load_u16 v26, v27
	v_lshlrev_b64 v[28:29], s11, v[5:6]
	s_delay_alu instid0(VALU_DEP_1) | instskip(SKIP_1) | instid1(VALU_DEP_2)
	v_lshrrev_b32_e32 v28, 20, v29
	v_lshrrev_b32_e32 v29, 30, v29
	v_and_or_b32 v28, 0x700, v28, v0
	s_delay_alu instid0(VALU_DEP_2) | instskip(NEXT) | instid1(VALU_DEP_1)
	v_and_b32_e32 v29, 2, v29
	v_lshl_or_b32 v29, v28, 2, v29
	s_waitcnt lgkmcnt(0)
	v_add_nc_u16 v30, v26, 1
	ds_store_b16 v27, v30
	ds_load_u16 v28, v29
	v_lshlrev_b64 v[30:31], s11, v[7:8]
	s_delay_alu instid0(VALU_DEP_1) | instskip(SKIP_1) | instid1(VALU_DEP_2)
	v_lshrrev_b32_e32 v30, 20, v31
	v_lshrrev_b32_e32 v31, 30, v31
	v_and_or_b32 v30, 0x700, v30, v0
	s_delay_alu instid0(VALU_DEP_2) | instskip(NEXT) | instid1(VALU_DEP_1)
	v_and_b32_e32 v31, 2, v31
	v_lshl_or_b32 v31, v30, 2, v31
	;; [unrolled: 12-line block ×6, first 2 shown]
	s_waitcnt lgkmcnt(0)
	v_add_nc_u16 v40, v36, 1
	ds_store_b16 v37, v40
	ds_load_u16 v38, v39
	s_waitcnt lgkmcnt(0)
	v_add_nc_u16 v40, v38, 1
	ds_store_b16 v39, v40
	s_waitcnt lgkmcnt(0)
	s_barrier
	buffer_gl0_inv
	ds_load_2addr_b32 v[40:41], v19 offset1:1
	ds_load_2addr_b32 v[42:43], v19 offset0:2 offset1:3
	ds_load_2addr_b32 v[44:45], v19 offset0:4 offset1:5
	;; [unrolled: 1-line block ×3, first 2 shown]
	s_waitcnt lgkmcnt(3)
	v_add_nc_u32_e32 v40, v41, v40
	s_waitcnt lgkmcnt(2)
	s_delay_alu instid0(VALU_DEP_1) | instskip(SKIP_1) | instid1(VALU_DEP_1)
	v_add3_u32 v40, v40, v42, v43
	s_waitcnt lgkmcnt(1)
	v_add3_u32 v40, v40, v44, v45
	s_waitcnt lgkmcnt(0)
	s_delay_alu instid0(VALU_DEP_1) | instskip(NEXT) | instid1(VALU_DEP_1)
	v_add3_u32 v40, v40, v46, v47
	v_mov_b32_dpp v41, v40 row_shr:1 row_mask:0xf bank_mask:0xf
	s_delay_alu instid0(VALU_DEP_1) | instskip(NEXT) | instid1(VALU_DEP_1)
	v_cndmask_b32_e64 v41, v41, 0, s2
	v_add_nc_u32_e32 v40, v41, v40
	s_delay_alu instid0(VALU_DEP_1) | instskip(NEXT) | instid1(VALU_DEP_1)
	v_mov_b32_dpp v41, v40 row_shr:2 row_mask:0xf bank_mask:0xf
	v_cndmask_b32_e64 v41, 0, v41, s3
	s_delay_alu instid0(VALU_DEP_1) | instskip(NEXT) | instid1(VALU_DEP_1)
	v_add_nc_u32_e32 v40, v40, v41
	v_mov_b32_dpp v41, v40 row_shr:4 row_mask:0xf bank_mask:0xf
	s_delay_alu instid0(VALU_DEP_1) | instskip(NEXT) | instid1(VALU_DEP_1)
	v_cndmask_b32_e64 v41, 0, v41, s4
	v_add_nc_u32_e32 v40, v40, v41
	s_delay_alu instid0(VALU_DEP_1) | instskip(NEXT) | instid1(VALU_DEP_1)
	v_mov_b32_dpp v41, v40 row_shr:8 row_mask:0xf bank_mask:0xf
	v_cndmask_b32_e64 v41, 0, v41, s5
	s_delay_alu instid0(VALU_DEP_1) | instskip(SKIP_3) | instid1(VALU_DEP_1)
	v_add_nc_u32_e32 v40, v40, v41
	ds_swizzle_b32 v41, v40 offset:swizzle(BROADCAST,32,15)
	s_waitcnt lgkmcnt(0)
	v_cndmask_b32_e64 v41, v41, 0, s6
	v_add_nc_u32_e32 v40, v40, v41
	s_and_saveexec_b32 s11, s7
	s_cbranch_execz .LBB111_8
; %bb.7:                                ;   in Loop: Header=BB111_4 Depth=2
	ds_store_b32 v21, v40 offset:8192
.LBB111_8:                              ;   in Loop: Header=BB111_4 Depth=2
	s_or_b32 exec_lo, exec_lo, s11
	s_waitcnt lgkmcnt(0)
	s_barrier
	buffer_gl0_inv
	s_and_saveexec_b32 s11, vcc_lo
	s_cbranch_execz .LBB111_10
; %bb.9:                                ;   in Loop: Header=BB111_4 Depth=2
	ds_load_b32 v41, v20 offset:8192
	s_waitcnt lgkmcnt(0)
	v_mov_b32_dpp v42, v41 row_shr:1 row_mask:0xf bank_mask:0xf
	s_delay_alu instid0(VALU_DEP_1) | instskip(NEXT) | instid1(VALU_DEP_1)
	v_cndmask_b32_e64 v42, v42, 0, s8
	v_add_nc_u32_e32 v41, v42, v41
	s_delay_alu instid0(VALU_DEP_1) | instskip(NEXT) | instid1(VALU_DEP_1)
	v_mov_b32_dpp v42, v41 row_shr:2 row_mask:0xf bank_mask:0xf
	v_cndmask_b32_e64 v42, 0, v42, s9
	s_delay_alu instid0(VALU_DEP_1) | instskip(NEXT) | instid1(VALU_DEP_1)
	v_add_nc_u32_e32 v41, v41, v42
	v_mov_b32_dpp v42, v41 row_shr:4 row_mask:0xf bank_mask:0xf
	s_delay_alu instid0(VALU_DEP_1) | instskip(NEXT) | instid1(VALU_DEP_1)
	v_cndmask_b32_e64 v42, 0, v42, s10
	v_add_nc_u32_e32 v41, v41, v42
	ds_store_b32 v20, v41 offset:8192
.LBB111_10:                             ;   in Loop: Header=BB111_4 Depth=2
	s_or_b32 exec_lo, exec_lo, s11
	v_mov_b32_e32 v41, 0
	s_waitcnt lgkmcnt(0)
	s_barrier
	buffer_gl0_inv
	s_and_saveexec_b32 s11, s0
	s_cbranch_execz .LBB111_3
; %bb.11:                               ;   in Loop: Header=BB111_4 Depth=2
	ds_load_b32 v41, v21 offset:8188
	s_branch .LBB111_3
.LBB111_12:
	ds_load_u16 v0, v25
	ds_load_u16 v1, v27
	;; [unrolled: 1-line block ×8, first 2 shown]
	v_and_b32_e32 v8, 0xffff, v24
	v_and_b32_e32 v9, 0xffff, v26
	;; [unrolled: 1-line block ×8, first 2 shown]
	s_lshl_b64 s[0:1], s[12:13], 2
	s_delay_alu instid0(SALU_CYCLE_1)
	s_add_u32 s0, s18, s0
	s_addc_u32 s1, s19, s1
	s_waitcnt lgkmcnt(7)
	v_add_nc_u32_e32 v0, v0, v8
	s_waitcnt lgkmcnt(6)
	v_add_nc_u32_e32 v1, v1, v9
	;; [unrolled: 2-line block ×4, first 2 shown]
	v_lshlrev_b32_e32 v8, 2, v17
	s_waitcnt lgkmcnt(3)
	v_add_nc_u32_e32 v4, v4, v12
	s_waitcnt lgkmcnt(2)
	v_add_nc_u32_e32 v5, v5, v13
	;; [unrolled: 2-line block ×4, first 2 shown]
	s_clause 0x1
	global_store_b128 v8, v[0:3], s[0:1]
	global_store_b128 v8, v[4:7], s[0:1] offset:16
	s_nop 0
	s_sendmsg sendmsg(MSG_DEALLOC_VGPRS)
	s_endpgm
	.section	.rodata,"a",@progbits
	.p2align	6, 0x0
	.amdhsa_kernel _Z11rank_kernelIxLj4ELb0EL18RadixRankAlgorithm0ELj256ELj8ELj10EEvPKT_Pi
		.amdhsa_group_segment_fixed_size 8224
		.amdhsa_private_segment_fixed_size 0
		.amdhsa_kernarg_size 16
		.amdhsa_user_sgpr_count 15
		.amdhsa_user_sgpr_dispatch_ptr 0
		.amdhsa_user_sgpr_queue_ptr 0
		.amdhsa_user_sgpr_kernarg_segment_ptr 1
		.amdhsa_user_sgpr_dispatch_id 0
		.amdhsa_user_sgpr_private_segment_size 0
		.amdhsa_wavefront_size32 1
		.amdhsa_uses_dynamic_stack 0
		.amdhsa_enable_private_segment 0
		.amdhsa_system_sgpr_workgroup_id_x 1
		.amdhsa_system_sgpr_workgroup_id_y 0
		.amdhsa_system_sgpr_workgroup_id_z 0
		.amdhsa_system_sgpr_workgroup_info 0
		.amdhsa_system_vgpr_workitem_id 0
		.amdhsa_next_free_vgpr 48
		.amdhsa_next_free_sgpr 20
		.amdhsa_reserve_vcc 1
		.amdhsa_float_round_mode_32 0
		.amdhsa_float_round_mode_16_64 0
		.amdhsa_float_denorm_mode_32 3
		.amdhsa_float_denorm_mode_16_64 3
		.amdhsa_dx10_clamp 1
		.amdhsa_ieee_mode 1
		.amdhsa_fp16_overflow 0
		.amdhsa_workgroup_processor_mode 1
		.amdhsa_memory_ordered 1
		.amdhsa_forward_progress 0
		.amdhsa_shared_vgpr_count 0
		.amdhsa_exception_fp_ieee_invalid_op 0
		.amdhsa_exception_fp_denorm_src 0
		.amdhsa_exception_fp_ieee_div_zero 0
		.amdhsa_exception_fp_ieee_overflow 0
		.amdhsa_exception_fp_ieee_underflow 0
		.amdhsa_exception_fp_ieee_inexact 0
		.amdhsa_exception_int_div_zero 0
	.end_amdhsa_kernel
	.section	.text._Z11rank_kernelIxLj4ELb0EL18RadixRankAlgorithm0ELj256ELj8ELj10EEvPKT_Pi,"axG",@progbits,_Z11rank_kernelIxLj4ELb0EL18RadixRankAlgorithm0ELj256ELj8ELj10EEvPKT_Pi,comdat
.Lfunc_end111:
	.size	_Z11rank_kernelIxLj4ELb0EL18RadixRankAlgorithm0ELj256ELj8ELj10EEvPKT_Pi, .Lfunc_end111-_Z11rank_kernelIxLj4ELb0EL18RadixRankAlgorithm0ELj256ELj8ELj10EEvPKT_Pi
                                        ; -- End function
	.section	.AMDGPU.csdata,"",@progbits
; Kernel info:
; codeLenInByte = 1896
; NumSgprs: 22
; NumVgprs: 48
; ScratchSize: 0
; MemoryBound: 0
; FloatMode: 240
; IeeeMode: 1
; LDSByteSize: 8224 bytes/workgroup (compile time only)
; SGPRBlocks: 2
; VGPRBlocks: 5
; NumSGPRsForWavesPerEU: 22
; NumVGPRsForWavesPerEU: 48
; Occupancy: 16
; WaveLimiterHint : 0
; COMPUTE_PGM_RSRC2:SCRATCH_EN: 0
; COMPUTE_PGM_RSRC2:USER_SGPR: 15
; COMPUTE_PGM_RSRC2:TRAP_HANDLER: 0
; COMPUTE_PGM_RSRC2:TGID_X_EN: 1
; COMPUTE_PGM_RSRC2:TGID_Y_EN: 0
; COMPUTE_PGM_RSRC2:TGID_Z_EN: 0
; COMPUTE_PGM_RSRC2:TIDIG_COMP_CNT: 0
	.section	.text._Z11rank_kernelIxLj4ELb0EL18RadixRankAlgorithm1ELj256ELj8ELj10EEvPKT_Pi,"axG",@progbits,_Z11rank_kernelIxLj4ELb0EL18RadixRankAlgorithm1ELj256ELj8ELj10EEvPKT_Pi,comdat
	.protected	_Z11rank_kernelIxLj4ELb0EL18RadixRankAlgorithm1ELj256ELj8ELj10EEvPKT_Pi ; -- Begin function _Z11rank_kernelIxLj4ELb0EL18RadixRankAlgorithm1ELj256ELj8ELj10EEvPKT_Pi
	.globl	_Z11rank_kernelIxLj4ELb0EL18RadixRankAlgorithm1ELj256ELj8ELj10EEvPKT_Pi
	.p2align	8
	.type	_Z11rank_kernelIxLj4ELb0EL18RadixRankAlgorithm1ELj256ELj8ELj10EEvPKT_Pi,@function
_Z11rank_kernelIxLj4ELb0EL18RadixRankAlgorithm1ELj256ELj8ELj10EEvPKT_Pi: ; @_Z11rank_kernelIxLj4ELb0EL18RadixRankAlgorithm1ELj256ELj8ELj10EEvPKT_Pi
; %bb.0:
	s_load_b128 s[16:19], s[0:1], 0x0
	s_mov_b32 s13, 0
	s_lshl_b32 s12, s15, 11
	v_dual_mov_b32 v26, 0 :: v_dual_lshlrev_b32 v13, 6, v0
	s_lshl_b64 s[0:1], s[12:13], 3
	v_mbcnt_lo_u32_b32 v17, -1, 0
	v_or_b32_e32 v20, 31, v0
	v_lshrrev_b32_e32 v22, 3, v0
	v_lshlrev_b32_e32 v25, 3, v0
	v_lshlrev_b32_e32 v27, 5, v0
	v_add_nc_u32_e32 v21, -1, v17
	v_and_b32_e32 v18, 15, v17
	v_and_b32_e32 v19, 16, v17
	;; [unrolled: 1-line block ×3, first 2 shown]
	v_cmp_gt_u32_e32 vcc_lo, 8, v0
	v_cmp_gt_i32_e64 s8, 0, v21
	v_lshlrev_b32_e32 v28, 2, v0
	v_cmp_eq_u32_e64 s2, 0, v18
	v_cmp_lt_u32_e64 s3, 1, v18
	s_waitcnt lgkmcnt(0)
	s_add_u32 s0, s16, s0
	s_addc_u32 s1, s17, s1
	v_cmp_lt_u32_e64 s4, 3, v18
	s_clause 0x3
	global_load_b128 v[1:4], v13, s[0:1]
	global_load_b128 v[5:8], v13, s[0:1] offset:16
	global_load_b128 v[9:12], v13, s[0:1] offset:32
	;; [unrolled: 1-line block ×3, first 2 shown]
	v_cmp_eq_u32_e64 s1, 0, v17
	v_cndmask_b32_e64 v17, v21, v17, s8
	v_cmp_lt_u32_e64 s0, 31, v0
	v_cmp_lt_u32_e64 s5, 7, v18
	v_cmp_eq_u32_e64 s6, 0, v19
	v_cmp_eq_u32_e64 s7, v20, v0
	v_and_b32_e32 v29, 28, v22
	v_cmp_eq_u32_e64 s8, 0, v23
	v_cmp_lt_u32_e64 s9, 1, v23
	v_cmp_lt_u32_e64 s10, 3, v23
	v_lshlrev_b32_e32 v30, 2, v17
	v_or_b32_e32 v31, 0xffffff00, v0
	s_mov_b32 s14, s13
	s_waitcnt vmcnt(3)
	v_xor_b32_e32 v2, 0x80000000, v2
	v_xor_b32_e32 v4, 0x80000000, v4
	s_waitcnt vmcnt(2)
	v_xor_b32_e32 v6, 0x80000000, v6
	v_xor_b32_e32 v8, 0x80000000, v8
	;; [unrolled: 3-line block ×4, first 2 shown]
	s_branch .LBB112_2
.LBB112_1:                              ;   in Loop: Header=BB112_2 Depth=1
	s_add_i32 s14, s14, 1
	s_delay_alu instid0(SALU_CYCLE_1)
	s_cmp_eq_u32 s14, 10
	s_cbranch_scc1 .LBB112_12
.LBB112_2:                              ; =>This Loop Header: Depth=1
                                        ;     Child Loop BB112_4 Depth 2
                                        ;       Child Loop BB112_5 Depth 3
	s_mov_b32 s15, 0
	s_branch .LBB112_4
.LBB112_3:                              ;   in Loop: Header=BB112_4 Depth=2
	s_or_b32 exec_lo, exec_lo, s11
	s_waitcnt lgkmcnt(0)
	v_add_nc_u32_e32 v18, v48, v18
	ds_load_b32 v49, v26 offset:8220
	s_add_i32 s11, s15, 4
	s_cmp_lt_u32 s15, 60
	s_mov_b32 s15, s11
	ds_bpermute_b32 v18, v30, v18
	s_waitcnt lgkmcnt(0)
	v_cndmask_b32_e64 v18, v18, v48, s1
	s_delay_alu instid0(VALU_DEP_1) | instskip(NEXT) | instid1(VALU_DEP_1)
	v_lshl_add_u32 v18, v49, 16, v18
	v_add_nc_u32_e32 v23, v18, v23
	s_delay_alu instid0(VALU_DEP_1) | instskip(NEXT) | instid1(VALU_DEP_1)
	v_add_nc_u32_e32 v24, v23, v24
	v_add_nc_u32_e32 v21, v24, v21
	s_delay_alu instid0(VALU_DEP_1) | instskip(NEXT) | instid1(VALU_DEP_1)
	v_add_nc_u32_e32 v22, v21, v22
	;; [unrolled: 3-line block ×3, first 2 shown]
	v_add_nc_u32_e32 v17, v20, v17
	ds_store_2addr_b32 v27, v18, v23 offset1:1
	ds_store_2addr_b32 v27, v24, v21 offset0:2 offset1:3
	ds_store_2addr_b32 v27, v22, v19 offset0:4 offset1:5
	;; [unrolled: 1-line block ×3, first 2 shown]
	s_waitcnt lgkmcnt(0)
	s_barrier
	buffer_gl0_inv
	s_cbranch_scc0 .LBB112_1
.LBB112_4:                              ;   Parent Loop BB112_2 Depth=1
                                        ; =>  This Loop Header: Depth=2
                                        ;       Child Loop BB112_5 Depth 3
	v_dual_mov_b32 v17, v31 :: v_dual_mov_b32 v18, v28
	s_mov_b32 s16, 0
.LBB112_5:                              ;   Parent Loop BB112_2 Depth=1
                                        ;     Parent Loop BB112_4 Depth=2
                                        ; =>    This Inner Loop Header: Depth=3
	s_delay_alu instid0(VALU_DEP_1) | instskip(SKIP_3) | instid1(VALU_DEP_1)
	v_add_nc_u32_e32 v17, 0x100, v17
	ds_store_b32 v18, v26
	v_add_nc_u32_e32 v18, 0x400, v18
	v_cmp_lt_u32_e64 s11, 0x6ff, v17
	s_or_b32 s16, s11, s16
	s_delay_alu instid0(SALU_CYCLE_1)
	s_and_not1_b32 exec_lo, exec_lo, s16
	s_cbranch_execnz .LBB112_5
; %bb.6:                                ;   in Loop: Header=BB112_4 Depth=2
	s_or_b32 exec_lo, exec_lo, s16
	s_sub_i32 s11, 60, s15
	s_delay_alu instid0(SALU_CYCLE_1) | instskip(NEXT) | instid1(VALU_DEP_1)
	v_lshlrev_b64 v[17:18], s11, v[1:2]
	v_lshrrev_b32_e32 v17, 20, v18
	v_lshrrev_b32_e32 v18, 30, v18
	s_delay_alu instid0(VALU_DEP_2) | instskip(NEXT) | instid1(VALU_DEP_2)
	v_and_or_b32 v17, 0x700, v17, v0
	v_and_b32_e32 v18, 2, v18
	s_delay_alu instid0(VALU_DEP_1) | instskip(SKIP_4) | instid1(VALU_DEP_2)
	v_lshl_or_b32 v33, v17, 2, v18
	v_lshlrev_b64 v[17:18], s11, v[3:4]
	ds_load_u16 v32, v33
	v_lshrrev_b32_e32 v17, 20, v18
	v_lshrrev_b32_e32 v18, 30, v18
	v_and_or_b32 v17, 0x700, v17, v0
	s_delay_alu instid0(VALU_DEP_2) | instskip(NEXT) | instid1(VALU_DEP_1)
	v_and_b32_e32 v18, 2, v18
	v_lshl_or_b32 v35, v17, 2, v18
	v_lshlrev_b64 v[17:18], s11, v[5:6]
	s_delay_alu instid0(VALU_DEP_1) | instskip(SKIP_3) | instid1(VALU_DEP_3)
	v_lshrrev_b32_e32 v17, 20, v18
	s_waitcnt lgkmcnt(0)
	v_add_nc_u16 v19, v32, 1
	v_lshrrev_b32_e32 v18, 30, v18
	v_and_or_b32 v17, 0x700, v17, v0
	ds_store_b16 v33, v19
	ds_load_u16 v34, v35
	v_and_b32_e32 v18, 2, v18
	s_delay_alu instid0(VALU_DEP_1) | instskip(SKIP_1) | instid1(VALU_DEP_1)
	v_lshl_or_b32 v37, v17, 2, v18
	v_lshlrev_b64 v[17:18], s11, v[7:8]
	v_lshrrev_b32_e32 v17, 20, v18
	v_lshrrev_b32_e32 v18, 30, v18
	s_delay_alu instid0(VALU_DEP_2) | instskip(NEXT) | instid1(VALU_DEP_2)
	v_and_or_b32 v17, 0x700, v17, v0
	v_and_b32_e32 v18, 2, v18
	s_waitcnt lgkmcnt(0)
	v_add_nc_u16 v19, v34, 1
	s_delay_alu instid0(VALU_DEP_2) | instskip(SKIP_3) | instid1(VALU_DEP_1)
	v_lshl_or_b32 v39, v17, 2, v18
	ds_store_b16 v35, v19
	ds_load_u16 v36, v37
	v_lshlrev_b64 v[17:18], s11, v[9:10]
	v_lshrrev_b32_e32 v17, 20, v18
	v_lshrrev_b32_e32 v18, 30, v18
	s_delay_alu instid0(VALU_DEP_2) | instskip(NEXT) | instid1(VALU_DEP_2)
	v_and_or_b32 v17, 0x700, v17, v0
	v_and_b32_e32 v18, 2, v18
	s_delay_alu instid0(VALU_DEP_1) | instskip(SKIP_3) | instid1(VALU_DEP_2)
	v_lshl_or_b32 v41, v17, 2, v18
	v_lshlrev_b64 v[17:18], s11, v[11:12]
	s_waitcnt lgkmcnt(0)
	v_add_nc_u16 v19, v36, 1
	v_lshrrev_b32_e32 v17, 20, v18
	ds_store_b16 v37, v19
	ds_load_u16 v38, v39
	v_lshrrev_b32_e32 v18, 30, v18
	v_and_or_b32 v17, 0x700, v17, v0
	s_delay_alu instid0(VALU_DEP_2) | instskip(NEXT) | instid1(VALU_DEP_1)
	v_and_b32_e32 v18, 2, v18
	v_lshl_or_b32 v43, v17, 2, v18
	v_lshlrev_b64 v[17:18], s11, v[13:14]
	s_delay_alu instid0(VALU_DEP_1) | instskip(SKIP_3) | instid1(VALU_DEP_3)
	v_lshrrev_b32_e32 v17, 20, v18
	v_lshrrev_b32_e32 v18, 30, v18
	s_waitcnt lgkmcnt(0)
	v_add_nc_u16 v19, v38, 1
	v_and_or_b32 v17, 0x700, v17, v0
	s_delay_alu instid0(VALU_DEP_3) | instskip(SKIP_4) | instid1(VALU_DEP_1)
	v_and_b32_e32 v18, 2, v18
	ds_store_b16 v39, v19
	ds_load_u16 v40, v41
	v_lshl_or_b32 v45, v17, 2, v18
	v_lshlrev_b64 v[17:18], s11, v[15:16]
	v_lshrrev_b32_e32 v17, 20, v18
	v_lshrrev_b32_e32 v18, 30, v18
	s_delay_alu instid0(VALU_DEP_2) | instskip(NEXT) | instid1(VALU_DEP_2)
	v_and_or_b32 v17, 0x700, v17, v0
	v_and_b32_e32 v18, 2, v18
	s_waitcnt lgkmcnt(0)
	v_add_nc_u16 v19, v40, 1
	s_delay_alu instid0(VALU_DEP_2)
	v_lshl_or_b32 v47, v17, 2, v18
	ds_store_b16 v41, v19
	ds_load_u16 v42, v43
	s_waitcnt lgkmcnt(0)
	v_add_nc_u16 v19, v42, 1
	ds_store_b16 v43, v19
	ds_load_u16 v44, v45
	s_waitcnt lgkmcnt(0)
	v_add_nc_u16 v19, v44, 1
	;; [unrolled: 4-line block ×3, first 2 shown]
	ds_store_b16 v47, v17
	s_waitcnt lgkmcnt(0)
	s_barrier
	buffer_gl0_inv
	ds_load_2addr_b32 v[23:24], v27 offset1:1
	ds_load_2addr_b32 v[21:22], v27 offset0:2 offset1:3
	ds_load_2addr_b32 v[19:20], v27 offset0:4 offset1:5
	;; [unrolled: 1-line block ×3, first 2 shown]
	s_waitcnt lgkmcnt(3)
	v_add_nc_u32_e32 v48, v24, v23
	s_waitcnt lgkmcnt(2)
	s_delay_alu instid0(VALU_DEP_1) | instskip(SKIP_1) | instid1(VALU_DEP_1)
	v_add3_u32 v48, v48, v21, v22
	s_waitcnt lgkmcnt(1)
	v_add3_u32 v48, v48, v19, v20
	s_waitcnt lgkmcnt(0)
	s_delay_alu instid0(VALU_DEP_1) | instskip(NEXT) | instid1(VALU_DEP_1)
	v_add3_u32 v18, v48, v17, v18
	v_mov_b32_dpp v48, v18 row_shr:1 row_mask:0xf bank_mask:0xf
	s_delay_alu instid0(VALU_DEP_1) | instskip(NEXT) | instid1(VALU_DEP_1)
	v_cndmask_b32_e64 v48, v48, 0, s2
	v_add_nc_u32_e32 v18, v48, v18
	s_delay_alu instid0(VALU_DEP_1) | instskip(NEXT) | instid1(VALU_DEP_1)
	v_mov_b32_dpp v48, v18 row_shr:2 row_mask:0xf bank_mask:0xf
	v_cndmask_b32_e64 v48, 0, v48, s3
	s_delay_alu instid0(VALU_DEP_1) | instskip(NEXT) | instid1(VALU_DEP_1)
	v_add_nc_u32_e32 v18, v18, v48
	v_mov_b32_dpp v48, v18 row_shr:4 row_mask:0xf bank_mask:0xf
	s_delay_alu instid0(VALU_DEP_1) | instskip(NEXT) | instid1(VALU_DEP_1)
	v_cndmask_b32_e64 v48, 0, v48, s4
	v_add_nc_u32_e32 v18, v18, v48
	s_delay_alu instid0(VALU_DEP_1) | instskip(NEXT) | instid1(VALU_DEP_1)
	v_mov_b32_dpp v48, v18 row_shr:8 row_mask:0xf bank_mask:0xf
	v_cndmask_b32_e64 v48, 0, v48, s5
	s_delay_alu instid0(VALU_DEP_1) | instskip(SKIP_3) | instid1(VALU_DEP_1)
	v_add_nc_u32_e32 v18, v18, v48
	ds_swizzle_b32 v48, v18 offset:swizzle(BROADCAST,32,15)
	s_waitcnt lgkmcnt(0)
	v_cndmask_b32_e64 v48, v48, 0, s6
	v_add_nc_u32_e32 v18, v18, v48
	s_and_saveexec_b32 s11, s7
	s_cbranch_execz .LBB112_8
; %bb.7:                                ;   in Loop: Header=BB112_4 Depth=2
	ds_store_b32 v29, v18 offset:8192
.LBB112_8:                              ;   in Loop: Header=BB112_4 Depth=2
	s_or_b32 exec_lo, exec_lo, s11
	s_waitcnt lgkmcnt(0)
	s_barrier
	buffer_gl0_inv
	s_and_saveexec_b32 s11, vcc_lo
	s_cbranch_execz .LBB112_10
; %bb.9:                                ;   in Loop: Header=BB112_4 Depth=2
	ds_load_b32 v48, v28 offset:8192
	s_waitcnt lgkmcnt(0)
	v_mov_b32_dpp v49, v48 row_shr:1 row_mask:0xf bank_mask:0xf
	s_delay_alu instid0(VALU_DEP_1) | instskip(NEXT) | instid1(VALU_DEP_1)
	v_cndmask_b32_e64 v49, v49, 0, s8
	v_add_nc_u32_e32 v48, v49, v48
	s_delay_alu instid0(VALU_DEP_1) | instskip(NEXT) | instid1(VALU_DEP_1)
	v_mov_b32_dpp v49, v48 row_shr:2 row_mask:0xf bank_mask:0xf
	v_cndmask_b32_e64 v49, 0, v49, s9
	s_delay_alu instid0(VALU_DEP_1) | instskip(NEXT) | instid1(VALU_DEP_1)
	v_add_nc_u32_e32 v48, v48, v49
	v_mov_b32_dpp v49, v48 row_shr:4 row_mask:0xf bank_mask:0xf
	s_delay_alu instid0(VALU_DEP_1) | instskip(NEXT) | instid1(VALU_DEP_1)
	v_cndmask_b32_e64 v49, 0, v49, s10
	v_add_nc_u32_e32 v48, v48, v49
	ds_store_b32 v28, v48 offset:8192
.LBB112_10:                             ;   in Loop: Header=BB112_4 Depth=2
	s_or_b32 exec_lo, exec_lo, s11
	v_mov_b32_e32 v48, 0
	s_waitcnt lgkmcnt(0)
	s_barrier
	buffer_gl0_inv
	s_and_saveexec_b32 s11, s0
	s_cbranch_execz .LBB112_3
; %bb.11:                               ;   in Loop: Header=BB112_4 Depth=2
	ds_load_b32 v48, v29 offset:8188
	s_branch .LBB112_3
.LBB112_12:
	ds_load_u16 v0, v33
	ds_load_u16 v1, v35
	;; [unrolled: 1-line block ×8, first 2 shown]
	v_and_b32_e32 v8, 0xffff, v32
	v_and_b32_e32 v9, 0xffff, v34
	;; [unrolled: 1-line block ×8, first 2 shown]
	s_lshl_b64 s[0:1], s[12:13], 2
	s_delay_alu instid0(SALU_CYCLE_1)
	s_add_u32 s0, s18, s0
	s_addc_u32 s1, s19, s1
	s_waitcnt lgkmcnt(7)
	v_add_nc_u32_e32 v0, v0, v8
	s_waitcnt lgkmcnt(6)
	v_add_nc_u32_e32 v1, v1, v9
	;; [unrolled: 2-line block ×4, first 2 shown]
	v_lshlrev_b32_e32 v8, 2, v25
	s_waitcnt lgkmcnt(3)
	v_add_nc_u32_e32 v4, v4, v12
	s_waitcnt lgkmcnt(2)
	v_add_nc_u32_e32 v5, v5, v13
	;; [unrolled: 2-line block ×4, first 2 shown]
	s_clause 0x1
	global_store_b128 v8, v[0:3], s[0:1]
	global_store_b128 v8, v[4:7], s[0:1] offset:16
	s_nop 0
	s_sendmsg sendmsg(MSG_DEALLOC_VGPRS)
	s_endpgm
	.section	.rodata,"a",@progbits
	.p2align	6, 0x0
	.amdhsa_kernel _Z11rank_kernelIxLj4ELb0EL18RadixRankAlgorithm1ELj256ELj8ELj10EEvPKT_Pi
		.amdhsa_group_segment_fixed_size 8224
		.amdhsa_private_segment_fixed_size 0
		.amdhsa_kernarg_size 16
		.amdhsa_user_sgpr_count 15
		.amdhsa_user_sgpr_dispatch_ptr 0
		.amdhsa_user_sgpr_queue_ptr 0
		.amdhsa_user_sgpr_kernarg_segment_ptr 1
		.amdhsa_user_sgpr_dispatch_id 0
		.amdhsa_user_sgpr_private_segment_size 0
		.amdhsa_wavefront_size32 1
		.amdhsa_uses_dynamic_stack 0
		.amdhsa_enable_private_segment 0
		.amdhsa_system_sgpr_workgroup_id_x 1
		.amdhsa_system_sgpr_workgroup_id_y 0
		.amdhsa_system_sgpr_workgroup_id_z 0
		.amdhsa_system_sgpr_workgroup_info 0
		.amdhsa_system_vgpr_workitem_id 0
		.amdhsa_next_free_vgpr 50
		.amdhsa_next_free_sgpr 20
		.amdhsa_reserve_vcc 1
		.amdhsa_float_round_mode_32 0
		.amdhsa_float_round_mode_16_64 0
		.amdhsa_float_denorm_mode_32 3
		.amdhsa_float_denorm_mode_16_64 3
		.amdhsa_dx10_clamp 1
		.amdhsa_ieee_mode 1
		.amdhsa_fp16_overflow 0
		.amdhsa_workgroup_processor_mode 1
		.amdhsa_memory_ordered 1
		.amdhsa_forward_progress 0
		.amdhsa_shared_vgpr_count 0
		.amdhsa_exception_fp_ieee_invalid_op 0
		.amdhsa_exception_fp_denorm_src 0
		.amdhsa_exception_fp_ieee_div_zero 0
		.amdhsa_exception_fp_ieee_overflow 0
		.amdhsa_exception_fp_ieee_underflow 0
		.amdhsa_exception_fp_ieee_inexact 0
		.amdhsa_exception_int_div_zero 0
	.end_amdhsa_kernel
	.section	.text._Z11rank_kernelIxLj4ELb0EL18RadixRankAlgorithm1ELj256ELj8ELj10EEvPKT_Pi,"axG",@progbits,_Z11rank_kernelIxLj4ELb0EL18RadixRankAlgorithm1ELj256ELj8ELj10EEvPKT_Pi,comdat
.Lfunc_end112:
	.size	_Z11rank_kernelIxLj4ELb0EL18RadixRankAlgorithm1ELj256ELj8ELj10EEvPKT_Pi, .Lfunc_end112-_Z11rank_kernelIxLj4ELb0EL18RadixRankAlgorithm1ELj256ELj8ELj10EEvPKT_Pi
                                        ; -- End function
	.section	.AMDGPU.csdata,"",@progbits
; Kernel info:
; codeLenInByte = 1848
; NumSgprs: 22
; NumVgprs: 50
; ScratchSize: 0
; MemoryBound: 0
; FloatMode: 240
; IeeeMode: 1
; LDSByteSize: 8224 bytes/workgroup (compile time only)
; SGPRBlocks: 2
; VGPRBlocks: 6
; NumSGPRsForWavesPerEU: 22
; NumVGPRsForWavesPerEU: 50
; Occupancy: 16
; WaveLimiterHint : 0
; COMPUTE_PGM_RSRC2:SCRATCH_EN: 0
; COMPUTE_PGM_RSRC2:USER_SGPR: 15
; COMPUTE_PGM_RSRC2:TRAP_HANDLER: 0
; COMPUTE_PGM_RSRC2:TGID_X_EN: 1
; COMPUTE_PGM_RSRC2:TGID_Y_EN: 0
; COMPUTE_PGM_RSRC2:TGID_Z_EN: 0
; COMPUTE_PGM_RSRC2:TIDIG_COMP_CNT: 0
	.section	.text._Z11rank_kernelIxLj4ELb0EL18RadixRankAlgorithm2ELj256ELj8ELj10EEvPKT_Pi,"axG",@progbits,_Z11rank_kernelIxLj4ELb0EL18RadixRankAlgorithm2ELj256ELj8ELj10EEvPKT_Pi,comdat
	.protected	_Z11rank_kernelIxLj4ELb0EL18RadixRankAlgorithm2ELj256ELj8ELj10EEvPKT_Pi ; -- Begin function _Z11rank_kernelIxLj4ELb0EL18RadixRankAlgorithm2ELj256ELj8ELj10EEvPKT_Pi
	.globl	_Z11rank_kernelIxLj4ELb0EL18RadixRankAlgorithm2ELj256ELj8ELj10EEvPKT_Pi
	.p2align	8
	.type	_Z11rank_kernelIxLj4ELb0EL18RadixRankAlgorithm2ELj256ELj8ELj10EEvPKT_Pi,@function
_Z11rank_kernelIxLj4ELb0EL18RadixRankAlgorithm2ELj256ELj8ELj10EEvPKT_Pi: ; @_Z11rank_kernelIxLj4ELb0EL18RadixRankAlgorithm2ELj256ELj8ELj10EEvPKT_Pi
; %bb.0:
	s_clause 0x1
	s_load_b128 s[16:19], s[0:1], 0x0
	s_load_b32 s8, s[0:1], 0x1c
	v_and_b32_e32 v19, 0x3ff, v0
	s_mov_b32 s21, 0
	s_lshl_b32 s20, s15, 11
	v_mbcnt_lo_u32_b32 v20, -1, 0
	s_lshl_b64 s[2:3], s[20:21], 3
	v_lshlrev_b32_e32 v13, 6, v19
	v_mov_b32_e32 v17, 0
	v_bfe_u32 v21, v0, 10, 10
	v_and_b32_e32 v24, 16, v20
	v_bfe_u32 v22, v0, 20, 10
	v_add_nc_u32_e32 v25, -1, v20
	v_and_b32_e32 v23, 15, v20
	v_cmp_eq_u32_e32 vcc_lo, 0, v20
	v_cmp_eq_u32_e64 s4, 0, v24
	v_and_b32_e32 v26, 7, v20
	v_lshlrev_b32_e32 v0, 3, v19
	v_lshlrev_b32_e32 v18, 2, v19
	v_cmp_gt_u32_e64 s5, 8, v19
	s_waitcnt lgkmcnt(0)
	s_add_u32 s0, s16, s2
	s_addc_u32 s1, s17, s3
	s_lshr_b32 s7, s8, 16
	s_clause 0x3
	global_load_b128 v[1:4], v13, s[0:1]
	global_load_b128 v[5:8], v13, s[0:1] offset:16
	global_load_b128 v[9:12], v13, s[0:1] offset:32
	;; [unrolled: 1-line block ×3, first 2 shown]
	v_mad_u32_u24 v24, v22, s7, v21
	v_cmp_gt_i32_e64 s7, 0, v25
	v_cmp_eq_u32_e64 s0, 0, v23
	v_cmp_lt_u32_e64 s1, 1, v23
	v_cmp_lt_u32_e64 s2, 3, v23
	;; [unrolled: 1-line block ×3, first 2 shown]
	v_cndmask_b32_e64 v20, v25, v20, s7
	s_and_b32 s7, s8, 0xffff
	v_or_b32_e32 v23, 31, v19
	v_cmp_lt_u32_e64 s6, 31, v19
	v_cmp_lt_u32_e64 s8, 1, v26
	v_mad_u64_u32 v[21:22], null, v24, s7, v[19:20]
	v_lshrrev_b32_e32 v22, 3, v19
	v_cmp_eq_u32_e64 s10, v23, v19
	v_lshlrev_b32_e32 v19, 2, v20
	v_cmp_eq_u32_e64 s7, 0, v26
	v_cmp_lt_u32_e64 s9, 3, v26
	v_and_b32_e32 v20, 28, v22
	v_lshrrev_b32_e32 v21, 5, v21
	s_mov_b32 s13, s21
	s_delay_alu instid0(VALU_DEP_2)
	v_add_nc_u32_e32 v22, -4, v20
	s_waitcnt vmcnt(3)
	v_xor_b32_e32 v2, 0x80000000, v2
	v_xor_b32_e32 v4, 0x80000000, v4
	s_waitcnt vmcnt(2)
	v_xor_b32_e32 v6, 0x80000000, v6
	v_xor_b32_e32 v8, 0x80000000, v8
	;; [unrolled: 3-line block ×4, first 2 shown]
	s_branch .LBB113_2
.LBB113_1:                              ;   in Loop: Header=BB113_2 Depth=1
	s_add_i32 s13, s13, 1
	s_delay_alu instid0(SALU_CYCLE_1)
	s_cmp_eq_u32 s13, 10
	s_cbranch_scc1 .LBB113_26
.LBB113_2:                              ; =>This Loop Header: Depth=1
                                        ;     Child Loop BB113_4 Depth 2
	s_mov_b64 s[14:15], 60
	s_mov_b32 s16, -4
	s_branch .LBB113_4
.LBB113_3:                              ;   in Loop: Header=BB113_4 Depth=2
	s_or_b32 exec_lo, exec_lo, s11
	s_waitcnt lgkmcnt(0)
	v_add_nc_u32_e32 v46, v47, v46
	s_add_i32 s16, s16, 4
	s_add_u32 s14, s14, -4
	s_addc_u32 s15, s15, -1
	s_cmp_lt_u32 s16, 60
	ds_bpermute_b32 v46, v19, v46
	s_waitcnt lgkmcnt(0)
	v_cndmask_b32_e32 v46, v46, v47, vcc_lo
	ds_store_b32 v18, v46 offset:32
	s_waitcnt lgkmcnt(0)
	s_barrier
	buffer_gl0_inv
	s_cbranch_scc0 .LBB113_1
.LBB113_4:                              ;   Parent Loop BB113_2 Depth=1
                                        ; =>  This Inner Loop Header: Depth=2
	v_lshlrev_b64 v[23:24], s14, v[1:2]
	ds_store_b32 v18, v17 offset:32
	s_waitcnt lgkmcnt(0)
	s_barrier
	buffer_gl0_inv
	v_bfe_u32 v23, v24, 28, 1
	v_lshrrev_b32_e32 v26, 28, v24
	v_and_b32_e32 v24, 0xf0000000, v24
	; wave barrier
	s_delay_alu instid0(VALU_DEP_3) | instskip(NEXT) | instid1(VALU_DEP_1)
	v_add_co_u32 v23, s11, v23, -1
	v_cndmask_b32_e64 v25, 0, 1, s11
	s_delay_alu instid0(VALU_DEP_4) | instskip(SKIP_2) | instid1(VALU_DEP_4)
	v_lshlrev_b32_e32 v27, 30, v26
	v_lshlrev_b32_e32 v28, 29, v26
	v_not_b32_e32 v29, v24
	v_cmp_ne_u32_e64 s11, 0, v25
	s_delay_alu instid0(VALU_DEP_4) | instskip(SKIP_2) | instid1(VALU_DEP_4)
	v_not_b32_e32 v25, v27
	v_cmp_gt_i32_e64 s12, 0, v27
	v_not_b32_e32 v27, v28
	v_xor_b32_e32 v23, s11, v23
	s_delay_alu instid0(VALU_DEP_4) | instskip(SKIP_1) | instid1(VALU_DEP_4)
	v_ashrrev_i32_e32 v25, 31, v25
	v_cmp_gt_i32_e64 s11, 0, v28
	v_ashrrev_i32_e32 v27, 31, v27
	s_delay_alu instid0(VALU_DEP_4) | instskip(NEXT) | instid1(VALU_DEP_4)
	v_and_b32_e32 v23, exec_lo, v23
	v_xor_b32_e32 v25, s12, v25
	v_cmp_gt_i32_e64 s12, 0, v24
	v_ashrrev_i32_e32 v24, 31, v29
	v_xor_b32_e32 v27, s11, v27
	s_delay_alu instid0(VALU_DEP_4) | instskip(NEXT) | instid1(VALU_DEP_3)
	v_and_b32_e32 v23, v23, v25
	v_xor_b32_e32 v24, s12, v24
	s_delay_alu instid0(VALU_DEP_2) | instskip(NEXT) | instid1(VALU_DEP_1)
	v_and_b32_e32 v23, v23, v27
	v_and_b32_e32 v25, v23, v24
	v_mad_u32_u24 v24, v26, 9, v21
	s_delay_alu instid0(VALU_DEP_2) | instskip(SKIP_1) | instid1(VALU_DEP_3)
	v_mbcnt_lo_u32_b32 v23, v25, 0
	v_cmp_ne_u32_e64 s12, 0, v25
	v_lshl_add_u32 v24, v24, 2, 32
	s_delay_alu instid0(VALU_DEP_3) | instskip(NEXT) | instid1(VALU_DEP_1)
	v_cmp_eq_u32_e64 s11, 0, v23
	s_and_b32 s12, s12, s11
	s_delay_alu instid0(SALU_CYCLE_1)
	s_and_saveexec_b32 s11, s12
	s_cbranch_execz .LBB113_6
; %bb.5:                                ;   in Loop: Header=BB113_4 Depth=2
	v_bcnt_u32_b32 v25, v25, 0
	ds_store_b32 v24, v25
.LBB113_6:                              ;   in Loop: Header=BB113_4 Depth=2
	s_or_b32 exec_lo, exec_lo, s11
	v_lshlrev_b64 v[25:26], s14, v[3:4]
	; wave barrier
	s_delay_alu instid0(VALU_DEP_1) | instskip(SKIP_2) | instid1(VALU_DEP_3)
	v_bfe_u32 v25, v26, 28, 1
	v_lshrrev_b32_e32 v27, 28, v26
	v_and_b32_e32 v26, 0xf0000000, v26
	v_add_co_u32 v25, s11, v25, -1
	s_delay_alu instid0(VALU_DEP_1) | instskip(NEXT) | instid1(VALU_DEP_4)
	v_cndmask_b32_e64 v28, 0, 1, s11
	v_lshlrev_b32_e32 v29, 30, v27
	v_lshlrev_b32_e32 v30, 29, v27
	v_not_b32_e32 v31, v26
	v_mul_u32_u24_e32 v27, 9, v27
	v_cmp_ne_u32_e64 s11, 0, v28
	v_not_b32_e32 v28, v29
	v_cmp_gt_i32_e64 s12, 0, v29
	v_not_b32_e32 v29, v30
	v_add_lshl_u32 v27, v21, v27, 2
	v_xor_b32_e32 v25, s11, v25
	v_ashrrev_i32_e32 v28, 31, v28
	v_cmp_gt_i32_e64 s11, 0, v30
	v_ashrrev_i32_e32 v29, 31, v29
	s_delay_alu instid0(VALU_DEP_4) | instskip(NEXT) | instid1(VALU_DEP_4)
	v_and_b32_e32 v25, exec_lo, v25
	v_xor_b32_e32 v28, s12, v28
	v_cmp_gt_i32_e64 s12, 0, v26
	v_ashrrev_i32_e32 v26, 31, v31
	v_xor_b32_e32 v29, s11, v29
	s_delay_alu instid0(VALU_DEP_4) | instskip(NEXT) | instid1(VALU_DEP_3)
	v_and_b32_e32 v25, v25, v28
	v_xor_b32_e32 v26, s12, v26
	s_delay_alu instid0(VALU_DEP_2) | instskip(SKIP_3) | instid1(VALU_DEP_1)
	v_and_b32_e32 v28, v25, v29
	ds_load_b32 v25, v27 offset:32
	v_add_nc_u32_e32 v27, 32, v27
	; wave barrier
	v_and_b32_e32 v28, v28, v26
	v_mbcnt_lo_u32_b32 v26, v28, 0
	v_cmp_ne_u32_e64 s12, 0, v28
	s_delay_alu instid0(VALU_DEP_2) | instskip(NEXT) | instid1(VALU_DEP_1)
	v_cmp_eq_u32_e64 s11, 0, v26
	s_and_b32 s12, s12, s11
	s_delay_alu instid0(SALU_CYCLE_1)
	s_and_saveexec_b32 s11, s12
	s_cbranch_execz .LBB113_8
; %bb.7:                                ;   in Loop: Header=BB113_4 Depth=2
	s_waitcnt lgkmcnt(0)
	v_bcnt_u32_b32 v28, v28, v25
	ds_store_b32 v27, v28
.LBB113_8:                              ;   in Loop: Header=BB113_4 Depth=2
	s_or_b32 exec_lo, exec_lo, s11
	v_lshlrev_b64 v[28:29], s14, v[5:6]
	; wave barrier
	s_delay_alu instid0(VALU_DEP_1) | instskip(SKIP_2) | instid1(VALU_DEP_3)
	v_bfe_u32 v28, v29, 28, 1
	v_lshrrev_b32_e32 v30, 28, v29
	v_and_b32_e32 v29, 0xf0000000, v29
	v_add_co_u32 v28, s11, v28, -1
	s_delay_alu instid0(VALU_DEP_1) | instskip(NEXT) | instid1(VALU_DEP_4)
	v_cndmask_b32_e64 v31, 0, 1, s11
	v_lshlrev_b32_e32 v32, 30, v30
	v_lshlrev_b32_e32 v33, 29, v30
	v_not_b32_e32 v34, v29
	v_mul_u32_u24_e32 v30, 9, v30
	v_cmp_ne_u32_e64 s11, 0, v31
	v_not_b32_e32 v31, v32
	v_cmp_gt_i32_e64 s12, 0, v32
	v_not_b32_e32 v32, v33
	v_add_lshl_u32 v30, v21, v30, 2
	v_xor_b32_e32 v28, s11, v28
	v_ashrrev_i32_e32 v31, 31, v31
	v_cmp_gt_i32_e64 s11, 0, v33
	v_ashrrev_i32_e32 v32, 31, v32
	s_delay_alu instid0(VALU_DEP_4) | instskip(NEXT) | instid1(VALU_DEP_4)
	v_and_b32_e32 v28, exec_lo, v28
	v_xor_b32_e32 v31, s12, v31
	v_cmp_gt_i32_e64 s12, 0, v29
	v_ashrrev_i32_e32 v29, 31, v34
	v_xor_b32_e32 v32, s11, v32
	s_delay_alu instid0(VALU_DEP_4) | instskip(NEXT) | instid1(VALU_DEP_3)
	v_and_b32_e32 v28, v28, v31
	v_xor_b32_e32 v29, s12, v29
	s_delay_alu instid0(VALU_DEP_2) | instskip(SKIP_3) | instid1(VALU_DEP_1)
	v_and_b32_e32 v31, v28, v32
	ds_load_b32 v28, v30 offset:32
	v_add_nc_u32_e32 v30, 32, v30
	; wave barrier
	v_and_b32_e32 v31, v31, v29
	v_mbcnt_lo_u32_b32 v29, v31, 0
	v_cmp_ne_u32_e64 s12, 0, v31
	s_delay_alu instid0(VALU_DEP_2) | instskip(NEXT) | instid1(VALU_DEP_1)
	v_cmp_eq_u32_e64 s11, 0, v29
	s_and_b32 s12, s12, s11
	s_delay_alu instid0(SALU_CYCLE_1)
	s_and_saveexec_b32 s11, s12
	s_cbranch_execz .LBB113_10
; %bb.9:                                ;   in Loop: Header=BB113_4 Depth=2
	s_waitcnt lgkmcnt(0)
	v_bcnt_u32_b32 v31, v31, v28
	ds_store_b32 v30, v31
.LBB113_10:                             ;   in Loop: Header=BB113_4 Depth=2
	s_or_b32 exec_lo, exec_lo, s11
	v_lshlrev_b64 v[31:32], s14, v[7:8]
	; wave barrier
	s_delay_alu instid0(VALU_DEP_1) | instskip(SKIP_2) | instid1(VALU_DEP_3)
	v_bfe_u32 v31, v32, 28, 1
	v_lshrrev_b32_e32 v33, 28, v32
	v_and_b32_e32 v32, 0xf0000000, v32
	v_add_co_u32 v31, s11, v31, -1
	s_delay_alu instid0(VALU_DEP_1) | instskip(NEXT) | instid1(VALU_DEP_4)
	v_cndmask_b32_e64 v34, 0, 1, s11
	v_lshlrev_b32_e32 v35, 30, v33
	v_lshlrev_b32_e32 v36, 29, v33
	v_not_b32_e32 v37, v32
	v_mul_u32_u24_e32 v33, 9, v33
	v_cmp_ne_u32_e64 s11, 0, v34
	v_not_b32_e32 v34, v35
	v_cmp_gt_i32_e64 s12, 0, v35
	v_not_b32_e32 v35, v36
	v_add_lshl_u32 v33, v21, v33, 2
	v_xor_b32_e32 v31, s11, v31
	v_ashrrev_i32_e32 v34, 31, v34
	v_cmp_gt_i32_e64 s11, 0, v36
	v_ashrrev_i32_e32 v35, 31, v35
	s_delay_alu instid0(VALU_DEP_4) | instskip(NEXT) | instid1(VALU_DEP_4)
	v_and_b32_e32 v31, exec_lo, v31
	v_xor_b32_e32 v34, s12, v34
	v_cmp_gt_i32_e64 s12, 0, v32
	v_ashrrev_i32_e32 v32, 31, v37
	v_xor_b32_e32 v35, s11, v35
	s_delay_alu instid0(VALU_DEP_4) | instskip(NEXT) | instid1(VALU_DEP_3)
	v_and_b32_e32 v31, v31, v34
	v_xor_b32_e32 v32, s12, v32
	s_delay_alu instid0(VALU_DEP_2) | instskip(SKIP_3) | instid1(VALU_DEP_1)
	v_and_b32_e32 v34, v31, v35
	ds_load_b32 v31, v33 offset:32
	v_add_nc_u32_e32 v33, 32, v33
	; wave barrier
	v_and_b32_e32 v34, v34, v32
	v_mbcnt_lo_u32_b32 v32, v34, 0
	v_cmp_ne_u32_e64 s12, 0, v34
	s_delay_alu instid0(VALU_DEP_2) | instskip(NEXT) | instid1(VALU_DEP_1)
	v_cmp_eq_u32_e64 s11, 0, v32
	s_and_b32 s12, s12, s11
	s_delay_alu instid0(SALU_CYCLE_1)
	s_and_saveexec_b32 s11, s12
	s_cbranch_execz .LBB113_12
; %bb.11:                               ;   in Loop: Header=BB113_4 Depth=2
	s_waitcnt lgkmcnt(0)
	v_bcnt_u32_b32 v34, v34, v31
	ds_store_b32 v33, v34
.LBB113_12:                             ;   in Loop: Header=BB113_4 Depth=2
	s_or_b32 exec_lo, exec_lo, s11
	v_lshlrev_b64 v[34:35], s14, v[9:10]
	; wave barrier
	s_delay_alu instid0(VALU_DEP_1) | instskip(SKIP_2) | instid1(VALU_DEP_3)
	v_bfe_u32 v34, v35, 28, 1
	v_lshrrev_b32_e32 v36, 28, v35
	v_and_b32_e32 v35, 0xf0000000, v35
	v_add_co_u32 v34, s11, v34, -1
	s_delay_alu instid0(VALU_DEP_1) | instskip(NEXT) | instid1(VALU_DEP_4)
	v_cndmask_b32_e64 v37, 0, 1, s11
	v_lshlrev_b32_e32 v38, 30, v36
	v_lshlrev_b32_e32 v39, 29, v36
	v_not_b32_e32 v40, v35
	v_mul_u32_u24_e32 v36, 9, v36
	v_cmp_ne_u32_e64 s11, 0, v37
	v_not_b32_e32 v37, v38
	v_cmp_gt_i32_e64 s12, 0, v38
	v_not_b32_e32 v38, v39
	v_add_lshl_u32 v36, v21, v36, 2
	v_xor_b32_e32 v34, s11, v34
	v_ashrrev_i32_e32 v37, 31, v37
	v_cmp_gt_i32_e64 s11, 0, v39
	v_ashrrev_i32_e32 v38, 31, v38
	s_delay_alu instid0(VALU_DEP_4) | instskip(NEXT) | instid1(VALU_DEP_4)
	v_and_b32_e32 v34, exec_lo, v34
	v_xor_b32_e32 v37, s12, v37
	v_cmp_gt_i32_e64 s12, 0, v35
	v_ashrrev_i32_e32 v35, 31, v40
	v_xor_b32_e32 v38, s11, v38
	s_delay_alu instid0(VALU_DEP_4) | instskip(NEXT) | instid1(VALU_DEP_3)
	v_and_b32_e32 v34, v34, v37
	v_xor_b32_e32 v35, s12, v35
	s_delay_alu instid0(VALU_DEP_2) | instskip(SKIP_3) | instid1(VALU_DEP_1)
	v_and_b32_e32 v37, v34, v38
	ds_load_b32 v34, v36 offset:32
	v_add_nc_u32_e32 v36, 32, v36
	; wave barrier
	v_and_b32_e32 v37, v37, v35
	v_mbcnt_lo_u32_b32 v35, v37, 0
	v_cmp_ne_u32_e64 s12, 0, v37
	s_delay_alu instid0(VALU_DEP_2) | instskip(NEXT) | instid1(VALU_DEP_1)
	v_cmp_eq_u32_e64 s11, 0, v35
	s_and_b32 s12, s12, s11
	s_delay_alu instid0(SALU_CYCLE_1)
	s_and_saveexec_b32 s11, s12
	s_cbranch_execz .LBB113_14
; %bb.13:                               ;   in Loop: Header=BB113_4 Depth=2
	s_waitcnt lgkmcnt(0)
	v_bcnt_u32_b32 v37, v37, v34
	ds_store_b32 v36, v37
.LBB113_14:                             ;   in Loop: Header=BB113_4 Depth=2
	;; [unrolled: 51-line block ×5, first 2 shown]
	s_or_b32 exec_lo, exec_lo, s11
	; wave barrier
	s_waitcnt lgkmcnt(0)
	s_barrier
	buffer_gl0_inv
	ds_load_b32 v46, v18 offset:32
	s_waitcnt lgkmcnt(0)
	v_mov_b32_dpp v47, v46 row_shr:1 row_mask:0xf bank_mask:0xf
	s_delay_alu instid0(VALU_DEP_1) | instskip(NEXT) | instid1(VALU_DEP_1)
	v_cndmask_b32_e64 v47, v47, 0, s0
	v_add_nc_u32_e32 v46, v47, v46
	s_delay_alu instid0(VALU_DEP_1) | instskip(NEXT) | instid1(VALU_DEP_1)
	v_mov_b32_dpp v47, v46 row_shr:2 row_mask:0xf bank_mask:0xf
	v_cndmask_b32_e64 v47, 0, v47, s1
	s_delay_alu instid0(VALU_DEP_1) | instskip(NEXT) | instid1(VALU_DEP_1)
	v_add_nc_u32_e32 v46, v46, v47
	v_mov_b32_dpp v47, v46 row_shr:4 row_mask:0xf bank_mask:0xf
	s_delay_alu instid0(VALU_DEP_1) | instskip(NEXT) | instid1(VALU_DEP_1)
	v_cndmask_b32_e64 v47, 0, v47, s2
	v_add_nc_u32_e32 v46, v46, v47
	s_delay_alu instid0(VALU_DEP_1) | instskip(NEXT) | instid1(VALU_DEP_1)
	v_mov_b32_dpp v47, v46 row_shr:8 row_mask:0xf bank_mask:0xf
	v_cndmask_b32_e64 v47, 0, v47, s3
	s_delay_alu instid0(VALU_DEP_1) | instskip(SKIP_3) | instid1(VALU_DEP_1)
	v_add_nc_u32_e32 v46, v46, v47
	ds_swizzle_b32 v47, v46 offset:swizzle(BROADCAST,32,15)
	s_waitcnt lgkmcnt(0)
	v_cndmask_b32_e64 v47, v47, 0, s4
	v_add_nc_u32_e32 v46, v46, v47
	s_and_saveexec_b32 s11, s10
	s_delay_alu instid0(SALU_CYCLE_1)
	s_xor_b32 s11, exec_lo, s11
	s_cbranch_execz .LBB113_22
; %bb.21:                               ;   in Loop: Header=BB113_4 Depth=2
	ds_store_b32 v20, v46
.LBB113_22:                             ;   in Loop: Header=BB113_4 Depth=2
	s_or_b32 exec_lo, exec_lo, s11
	s_waitcnt lgkmcnt(0)
	s_barrier
	buffer_gl0_inv
	s_and_saveexec_b32 s11, s5
	s_cbranch_execz .LBB113_24
; %bb.23:                               ;   in Loop: Header=BB113_4 Depth=2
	ds_load_b32 v47, v18
	s_waitcnt lgkmcnt(0)
	v_mov_b32_dpp v48, v47 row_shr:1 row_mask:0xf bank_mask:0xf
	s_delay_alu instid0(VALU_DEP_1) | instskip(NEXT) | instid1(VALU_DEP_1)
	v_cndmask_b32_e64 v48, v48, 0, s7
	v_add_nc_u32_e32 v47, v48, v47
	s_delay_alu instid0(VALU_DEP_1) | instskip(NEXT) | instid1(VALU_DEP_1)
	v_mov_b32_dpp v48, v47 row_shr:2 row_mask:0xf bank_mask:0xf
	v_cndmask_b32_e64 v48, 0, v48, s8
	s_delay_alu instid0(VALU_DEP_1) | instskip(NEXT) | instid1(VALU_DEP_1)
	v_add_nc_u32_e32 v47, v47, v48
	v_mov_b32_dpp v48, v47 row_shr:4 row_mask:0xf bank_mask:0xf
	s_delay_alu instid0(VALU_DEP_1) | instskip(NEXT) | instid1(VALU_DEP_1)
	v_cndmask_b32_e64 v48, 0, v48, s9
	v_add_nc_u32_e32 v47, v47, v48
	ds_store_b32 v18, v47
.LBB113_24:                             ;   in Loop: Header=BB113_4 Depth=2
	s_or_b32 exec_lo, exec_lo, s11
	v_mov_b32_e32 v47, 0
	s_waitcnt lgkmcnt(0)
	s_barrier
	buffer_gl0_inv
	s_and_saveexec_b32 s11, s6
	s_cbranch_execz .LBB113_3
; %bb.25:                               ;   in Loop: Header=BB113_4 Depth=2
	ds_load_b32 v47, v22
	s_branch .LBB113_3
.LBB113_26:
	ds_load_b32 v1, v24
	ds_load_b32 v2, v27
	;; [unrolled: 1-line block ×8, first 2 shown]
	s_lshl_b64 s[0:1], s[20:21], 2
	v_lshlrev_b32_e32 v9, 2, v0
	s_add_u32 s0, s18, s0
	s_addc_u32 s1, s19, s1
	s_waitcnt lgkmcnt(7)
	v_add_nc_u32_e32 v0, v1, v23
	s_waitcnt lgkmcnt(6)
	v_add3_u32 v1, v26, v25, v2
	s_waitcnt lgkmcnt(5)
	v_add3_u32 v2, v29, v28, v3
	;; [unrolled: 2-line block ×7, first 2 shown]
	s_clause 0x1
	global_store_b128 v9, v[0:3], s[0:1]
	global_store_b128 v9, v[4:7], s[0:1] offset:16
	s_nop 0
	s_sendmsg sendmsg(MSG_DEALLOC_VGPRS)
	s_endpgm
	.section	.rodata,"a",@progbits
	.p2align	6, 0x0
	.amdhsa_kernel _Z11rank_kernelIxLj4ELb0EL18RadixRankAlgorithm2ELj256ELj8ELj10EEvPKT_Pi
		.amdhsa_group_segment_fixed_size 1056
		.amdhsa_private_segment_fixed_size 0
		.amdhsa_kernarg_size 272
		.amdhsa_user_sgpr_count 15
		.amdhsa_user_sgpr_dispatch_ptr 0
		.amdhsa_user_sgpr_queue_ptr 0
		.amdhsa_user_sgpr_kernarg_segment_ptr 1
		.amdhsa_user_sgpr_dispatch_id 0
		.amdhsa_user_sgpr_private_segment_size 0
		.amdhsa_wavefront_size32 1
		.amdhsa_uses_dynamic_stack 0
		.amdhsa_enable_private_segment 0
		.amdhsa_system_sgpr_workgroup_id_x 1
		.amdhsa_system_sgpr_workgroup_id_y 0
		.amdhsa_system_sgpr_workgroup_id_z 0
		.amdhsa_system_sgpr_workgroup_info 0
		.amdhsa_system_vgpr_workitem_id 2
		.amdhsa_next_free_vgpr 50
		.amdhsa_next_free_sgpr 22
		.amdhsa_reserve_vcc 1
		.amdhsa_float_round_mode_32 0
		.amdhsa_float_round_mode_16_64 0
		.amdhsa_float_denorm_mode_32 3
		.amdhsa_float_denorm_mode_16_64 3
		.amdhsa_dx10_clamp 1
		.amdhsa_ieee_mode 1
		.amdhsa_fp16_overflow 0
		.amdhsa_workgroup_processor_mode 1
		.amdhsa_memory_ordered 1
		.amdhsa_forward_progress 0
		.amdhsa_shared_vgpr_count 0
		.amdhsa_exception_fp_ieee_invalid_op 0
		.amdhsa_exception_fp_denorm_src 0
		.amdhsa_exception_fp_ieee_div_zero 0
		.amdhsa_exception_fp_ieee_overflow 0
		.amdhsa_exception_fp_ieee_underflow 0
		.amdhsa_exception_fp_ieee_inexact 0
		.amdhsa_exception_int_div_zero 0
	.end_amdhsa_kernel
	.section	.text._Z11rank_kernelIxLj4ELb0EL18RadixRankAlgorithm2ELj256ELj8ELj10EEvPKT_Pi,"axG",@progbits,_Z11rank_kernelIxLj4ELb0EL18RadixRankAlgorithm2ELj256ELj8ELj10EEvPKT_Pi,comdat
.Lfunc_end113:
	.size	_Z11rank_kernelIxLj4ELb0EL18RadixRankAlgorithm2ELj256ELj8ELj10EEvPKT_Pi, .Lfunc_end113-_Z11rank_kernelIxLj4ELb0EL18RadixRankAlgorithm2ELj256ELj8ELj10EEvPKT_Pi
                                        ; -- End function
	.section	.AMDGPU.csdata,"",@progbits
; Kernel info:
; codeLenInByte = 3088
; NumSgprs: 24
; NumVgprs: 50
; ScratchSize: 0
; MemoryBound: 0
; FloatMode: 240
; IeeeMode: 1
; LDSByteSize: 1056 bytes/workgroup (compile time only)
; SGPRBlocks: 2
; VGPRBlocks: 6
; NumSGPRsForWavesPerEU: 24
; NumVGPRsForWavesPerEU: 50
; Occupancy: 16
; WaveLimiterHint : 0
; COMPUTE_PGM_RSRC2:SCRATCH_EN: 0
; COMPUTE_PGM_RSRC2:USER_SGPR: 15
; COMPUTE_PGM_RSRC2:TRAP_HANDLER: 0
; COMPUTE_PGM_RSRC2:TGID_X_EN: 1
; COMPUTE_PGM_RSRC2:TGID_Y_EN: 0
; COMPUTE_PGM_RSRC2:TGID_Z_EN: 0
; COMPUTE_PGM_RSRC2:TIDIG_COMP_CNT: 2
	.section	.text._Z11rank_kernelIxLj4ELb0EL18RadixRankAlgorithm0ELj256ELj16ELj10EEvPKT_Pi,"axG",@progbits,_Z11rank_kernelIxLj4ELb0EL18RadixRankAlgorithm0ELj256ELj16ELj10EEvPKT_Pi,comdat
	.protected	_Z11rank_kernelIxLj4ELb0EL18RadixRankAlgorithm0ELj256ELj16ELj10EEvPKT_Pi ; -- Begin function _Z11rank_kernelIxLj4ELb0EL18RadixRankAlgorithm0ELj256ELj16ELj10EEvPKT_Pi
	.globl	_Z11rank_kernelIxLj4ELb0EL18RadixRankAlgorithm0ELj256ELj16ELj10EEvPKT_Pi
	.p2align	8
	.type	_Z11rank_kernelIxLj4ELb0EL18RadixRankAlgorithm0ELj256ELj16ELj10EEvPKT_Pi,@function
_Z11rank_kernelIxLj4ELb0EL18RadixRankAlgorithm0ELj256ELj16ELj10EEvPKT_Pi: ; @_Z11rank_kernelIxLj4ELb0EL18RadixRankAlgorithm0ELj256ELj16ELj10EEvPKT_Pi
; %bb.0:
	s_load_b128 s[16:19], s[0:1], 0x0
	s_mov_b32 s13, 0
	s_lshl_b32 s12, s15, 12
	v_dual_mov_b32 v34, 0 :: v_dual_lshlrev_b32 v29, 7, v0
	s_lshl_b64 s[0:1], s[12:13], 3
	v_mbcnt_lo_u32_b32 v37, -1, 0
	v_or_b32_e32 v40, 31, v0
	v_lshrrev_b32_e32 v42, 3, v0
	v_lshlrev_b32_e32 v33, 4, v0
	v_lshlrev_b32_e32 v35, 5, v0
	v_add_nc_u32_e32 v41, -1, v37
	v_and_b32_e32 v38, 15, v37
	v_and_b32_e32 v39, 16, v37
	;; [unrolled: 1-line block ×3, first 2 shown]
	v_cmp_gt_u32_e32 vcc_lo, 8, v0
	v_cmp_gt_i32_e64 s8, 0, v41
	v_cmp_eq_u32_e64 s2, 0, v38
	v_cmp_lt_u32_e64 s3, 1, v38
	v_cmp_lt_u32_e64 s4, 3, v38
	s_waitcnt lgkmcnt(0)
	s_add_u32 s0, s16, s0
	s_addc_u32 s1, s17, s1
	v_cmp_lt_u32_e64 s5, 7, v38
	s_clause 0x7
	global_load_b128 v[1:4], v29, s[0:1]
	global_load_b128 v[5:8], v29, s[0:1] offset:16
	global_load_b128 v[9:12], v29, s[0:1] offset:32
	;; [unrolled: 1-line block ×7, first 2 shown]
	v_cndmask_b32_e64 v38, v41, v37, s8
	v_cmp_lt_u32_e64 s0, 31, v0
	v_cmp_eq_u32_e64 s1, 0, v37
	v_lshlrev_b32_e32 v36, 2, v0
	v_cmp_eq_u32_e64 s6, 0, v39
	v_cmp_eq_u32_e64 s7, v40, v0
	v_and_b32_e32 v37, 28, v42
	v_cmp_eq_u32_e64 s8, 0, v43
	v_cmp_lt_u32_e64 s9, 1, v43
	v_cmp_lt_u32_e64 s10, 3, v43
	v_lshlrev_b32_e32 v38, 2, v38
	v_or_b32_e32 v39, 0xffffff00, v0
	s_mov_b32 s14, s13
	s_waitcnt vmcnt(7)
	v_xor_b32_e32 v2, 0x80000000, v2
	v_xor_b32_e32 v4, 0x80000000, v4
	s_waitcnt vmcnt(6)
	v_xor_b32_e32 v6, 0x80000000, v6
	v_xor_b32_e32 v8, 0x80000000, v8
	;; [unrolled: 3-line block ×8, first 2 shown]
	s_branch .LBB114_2
.LBB114_1:                              ;   in Loop: Header=BB114_2 Depth=1
	s_add_i32 s14, s14, 1
	s_delay_alu instid0(SALU_CYCLE_1)
	s_cmp_eq_u32 s14, 10
	s_cbranch_scc1 .LBB114_12
.LBB114_2:                              ; =>This Loop Header: Depth=1
                                        ;     Child Loop BB114_4 Depth 2
                                        ;       Child Loop BB114_5 Depth 3
	s_mov_b32 s15, 0
	s_branch .LBB114_4
.LBB114_3:                              ;   in Loop: Header=BB114_4 Depth=2
	s_or_b32 exec_lo, exec_lo, s11
	s_waitcnt lgkmcnt(0)
	v_add_nc_u32_e32 v72, v73, v72
	ds_load_b32 v76, v34 offset:8220
	ds_load_2addr_b32 v[74:75], v35 offset1:1
	s_add_i32 s11, s15, 4
	s_cmp_lt_u32 s15, 60
	s_mov_b32 s15, s11
	ds_bpermute_b32 v72, v38, v72
	s_waitcnt lgkmcnt(0)
	v_cndmask_b32_e64 v77, v72, v73, s1
	ds_load_2addr_b32 v[72:73], v35 offset0:2 offset1:3
	v_lshl_add_u32 v78, v76, 16, v77
	ds_load_2addr_b32 v[76:77], v35 offset0:4 offset1:5
	ds_load_b32 v79, v35 offset:24
	v_add_nc_u32_e32 v74, v78, v74
	s_delay_alu instid0(VALU_DEP_1) | instskip(SKIP_1) | instid1(VALU_DEP_1)
	v_add_nc_u32_e32 v75, v75, v74
	s_waitcnt lgkmcnt(2)
	v_add_nc_u32_e32 v72, v72, v75
	s_delay_alu instid0(VALU_DEP_1) | instskip(SKIP_1) | instid1(VALU_DEP_1)
	v_add_nc_u32_e32 v73, v73, v72
	s_waitcnt lgkmcnt(1)
	;; [unrolled: 4-line block ×3, first 2 shown]
	v_add_nc_u32_e32 v79, v79, v77
	ds_store_2addr_b32 v35, v78, v74 offset1:1
	ds_store_2addr_b32 v35, v75, v72 offset0:2 offset1:3
	ds_store_2addr_b32 v35, v73, v76 offset0:4 offset1:5
	;; [unrolled: 1-line block ×3, first 2 shown]
	s_waitcnt lgkmcnt(0)
	s_barrier
	buffer_gl0_inv
	s_cbranch_scc0 .LBB114_1
.LBB114_4:                              ;   Parent Loop BB114_2 Depth=1
                                        ; =>  This Loop Header: Depth=2
                                        ;       Child Loop BB114_5 Depth 3
	v_dual_mov_b32 v40, v39 :: v_dual_mov_b32 v41, v36
	s_mov_b32 s16, 0
.LBB114_5:                              ;   Parent Loop BB114_2 Depth=1
                                        ;     Parent Loop BB114_4 Depth=2
                                        ; =>    This Inner Loop Header: Depth=3
	s_delay_alu instid0(VALU_DEP_1) | instskip(SKIP_3) | instid1(VALU_DEP_1)
	v_add_nc_u32_e32 v40, 0x100, v40
	ds_store_b32 v41, v34
	v_add_nc_u32_e32 v41, 0x400, v41
	v_cmp_lt_u32_e64 s11, 0x6ff, v40
	s_or_b32 s16, s11, s16
	s_delay_alu instid0(SALU_CYCLE_1)
	s_and_not1_b32 exec_lo, exec_lo, s16
	s_cbranch_execnz .LBB114_5
; %bb.6:                                ;   in Loop: Header=BB114_4 Depth=2
	s_or_b32 exec_lo, exec_lo, s16
	s_sub_i32 s11, 60, s15
	s_delay_alu instid0(SALU_CYCLE_1)
	v_lshlrev_b64 v[40:41], s11, v[1:2]
	v_lshlrev_b64 v[46:47], s11, v[5:6]
	;; [unrolled: 1-line block ×6, first 2 shown]
	v_lshrrev_b32_e32 v40, 20, v41
	v_lshrrev_b32_e32 v41, 30, v41
	v_lshlrev_b64 v[57:58], s11, v[17:18]
	v_lshlrev_b64 v[59:60], s11, v[19:20]
	v_lshrrev_b32_e32 v53, 30, v54
	v_and_or_b32 v40, 0x700, v40, v0
	v_and_b32_e32 v41, 2, v41
	v_lshrrev_b32_e32 v55, 30, v56
	v_lshrrev_b32_e32 v57, 30, v58
	v_and_b32_e32 v53, 2, v53
	v_lshrrev_b32_e32 v59, 30, v60
	v_lshl_or_b32 v40, v40, 2, v41
	v_lshlrev_b64 v[41:42], s11, v[3:4]
	v_and_b32_e32 v55, 2, v55
	v_and_b32_e32 v57, 2, v57
	;; [unrolled: 1-line block ×3, first 2 shown]
	ds_load_u16 v43, v40
	v_lshlrev_b64 v[64:65], s11, v[23:24]
	v_lshrrev_b32_e32 v41, 20, v42
	v_lshrrev_b32_e32 v42, 30, v42
	s_delay_alu instid0(VALU_DEP_2) | instskip(NEXT) | instid1(VALU_DEP_2)
	v_and_or_b32 v41, 0x700, v41, v0
	v_and_b32_e32 v42, 2, v42
	s_delay_alu instid0(VALU_DEP_1) | instskip(SKIP_1) | instid1(VALU_DEP_1)
	v_lshl_or_b32 v41, v41, 2, v42
	v_lshrrev_b32_e32 v42, 20, v47
	v_and_or_b32 v42, 0x700, v42, v0
	s_waitcnt lgkmcnt(0)
	v_add_nc_u16 v44, v43, 1
	ds_store_b16 v40, v44
	ds_load_u16 v45, v41
	v_lshrrev_b32_e32 v44, 30, v47
	s_delay_alu instid0(VALU_DEP_1) | instskip(NEXT) | instid1(VALU_DEP_1)
	v_and_b32_e32 v44, 2, v44
	v_lshl_or_b32 v42, v42, 2, v44
	v_lshrrev_b32_e32 v44, 20, v49
	s_delay_alu instid0(VALU_DEP_1)
	v_and_or_b32 v44, 0x700, v44, v0
	s_waitcnt lgkmcnt(0)
	v_add_nc_u16 v46, v45, 1
	ds_store_b16 v41, v46
	ds_load_u16 v47, v42
	v_lshrrev_b32_e32 v46, 30, v49
	s_delay_alu instid0(VALU_DEP_1) | instskip(NEXT) | instid1(VALU_DEP_1)
	v_and_b32_e32 v46, 2, v46
	v_lshl_or_b32 v44, v44, 2, v46
	v_lshrrev_b32_e32 v46, 20, v51
	s_delay_alu instid0(VALU_DEP_1)
	v_and_or_b32 v46, 0x700, v46, v0
	s_waitcnt lgkmcnt(0)
	v_add_nc_u16 v48, v47, 1
	ds_store_b16 v42, v48
	ds_load_u16 v49, v44
	v_lshrrev_b32_e32 v48, 30, v51
	v_lshlrev_b64 v[51:52], s11, v[11:12]
	s_delay_alu instid0(VALU_DEP_2) | instskip(NEXT) | instid1(VALU_DEP_2)
	v_and_b32_e32 v48, 2, v48
	v_lshrrev_b32_e32 v51, 30, v52
	s_delay_alu instid0(VALU_DEP_2) | instskip(SKIP_1) | instid1(VALU_DEP_3)
	v_lshl_or_b32 v46, v46, 2, v48
	v_lshrrev_b32_e32 v48, 20, v52
	v_and_b32_e32 v51, 2, v51
	s_delay_alu instid0(VALU_DEP_2) | instskip(SKIP_2) | instid1(VALU_DEP_2)
	v_and_or_b32 v48, 0x700, v48, v0
	s_waitcnt lgkmcnt(0)
	v_add_nc_u16 v50, v49, 1
	v_lshl_or_b32 v48, v48, 2, v51
	v_lshrrev_b32_e32 v51, 20, v54
	ds_store_b16 v44, v50
	ds_load_u16 v50, v46
	v_and_or_b32 v51, 0x700, v51, v0
	s_delay_alu instid0(VALU_DEP_1) | instskip(SKIP_1) | instid1(VALU_DEP_1)
	v_lshl_or_b32 v51, v51, 2, v53
	v_lshrrev_b32_e32 v53, 20, v56
	v_and_or_b32 v53, 0x700, v53, v0
	s_delay_alu instid0(VALU_DEP_1) | instskip(SKIP_3) | instid1(VALU_DEP_2)
	v_lshl_or_b32 v53, v53, 2, v55
	v_lshrrev_b32_e32 v55, 20, v58
	s_waitcnt lgkmcnt(0)
	v_add_nc_u16 v52, v50, 1
	v_and_or_b32 v55, 0x700, v55, v0
	ds_store_b16 v46, v52
	ds_load_u16 v52, v48
	v_lshl_or_b32 v55, v55, 2, v57
	v_lshrrev_b32_e32 v57, 20, v60
	s_delay_alu instid0(VALU_DEP_1) | instskip(NEXT) | instid1(VALU_DEP_1)
	v_and_or_b32 v57, 0x700, v57, v0
	v_lshl_or_b32 v57, v57, 2, v59
	s_waitcnt lgkmcnt(0)
	v_add_nc_u16 v54, v52, 1
	ds_store_b16 v48, v54
	ds_load_u16 v54, v51
	s_waitcnt lgkmcnt(0)
	v_add_nc_u16 v56, v54, 1
	ds_store_b16 v51, v56
	ds_load_u16 v56, v53
	;; [unrolled: 4-line block ×4, first 2 shown]
	v_lshlrev_b64 v[59:60], s11, v[21:22]
	s_delay_alu instid0(VALU_DEP_1) | instskip(SKIP_1) | instid1(VALU_DEP_2)
	v_lshrrev_b32_e32 v59, 20, v60
	v_lshrrev_b32_e32 v60, 30, v60
	v_and_or_b32 v59, 0x700, v59, v0
	s_delay_alu instid0(VALU_DEP_2) | instskip(NEXT) | instid1(VALU_DEP_1)
	v_and_b32_e32 v60, 2, v60
	v_lshl_or_b32 v60, v59, 2, v60
	v_lshrrev_b32_e32 v59, 20, v65
	s_waitcnt lgkmcnt(0)
	v_add_nc_u16 v62, v61, 1
	s_delay_alu instid0(VALU_DEP_2) | instskip(SKIP_3) | instid1(VALU_DEP_1)
	v_and_or_b32 v59, 0x700, v59, v0
	ds_store_b16 v57, v62
	ds_load_u16 v63, v60
	v_lshrrev_b32_e32 v62, 30, v65
	v_and_b32_e32 v62, 2, v62
	s_delay_alu instid0(VALU_DEP_1)
	v_lshl_or_b32 v64, v59, 2, v62
	s_waitcnt lgkmcnt(0)
	v_add_nc_u16 v65, v63, 1
	ds_store_b16 v60, v65
	ds_load_u16 v59, v64
	v_lshlrev_b64 v[65:66], s11, v[25:26]
	s_delay_alu instid0(VALU_DEP_1) | instskip(SKIP_1) | instid1(VALU_DEP_2)
	v_lshrrev_b32_e32 v62, 20, v66
	v_lshrrev_b32_e32 v65, 30, v66
	v_and_or_b32 v62, 0x700, v62, v0
	s_delay_alu instid0(VALU_DEP_2) | instskip(NEXT) | instid1(VALU_DEP_1)
	v_and_b32_e32 v65, 2, v65
	v_lshl_or_b32 v66, v62, 2, v65
	s_waitcnt lgkmcnt(0)
	v_add_nc_u16 v67, v59, 1
	ds_store_b16 v64, v67
	ds_load_u16 v62, v66
	v_lshlrev_b64 v[67:68], s11, v[27:28]
	s_delay_alu instid0(VALU_DEP_1) | instskip(SKIP_1) | instid1(VALU_DEP_2)
	v_lshrrev_b32_e32 v65, 20, v68
	v_lshrrev_b32_e32 v67, 30, v68
	v_and_or_b32 v65, 0x700, v65, v0
	s_delay_alu instid0(VALU_DEP_2) | instskip(NEXT) | instid1(VALU_DEP_1)
	v_and_b32_e32 v67, 2, v67
	;; [unrolled: 12-line block ×4, first 2 shown]
	v_lshl_or_b32 v71, v69, 2, v71
	s_waitcnt lgkmcnt(0)
	v_add_nc_u16 v72, v67, 1
	ds_store_b16 v70, v72
	ds_load_u16 v69, v71
	s_waitcnt lgkmcnt(0)
	v_add_nc_u16 v72, v69, 1
	ds_store_b16 v71, v72
	s_waitcnt lgkmcnt(0)
	s_barrier
	buffer_gl0_inv
	ds_load_2addr_b32 v[72:73], v35 offset1:1
	ds_load_2addr_b32 v[74:75], v35 offset0:2 offset1:3
	ds_load_2addr_b32 v[76:77], v35 offset0:4 offset1:5
	;; [unrolled: 1-line block ×3, first 2 shown]
	s_waitcnt lgkmcnt(3)
	v_add_nc_u32_e32 v72, v73, v72
	s_waitcnt lgkmcnt(2)
	s_delay_alu instid0(VALU_DEP_1) | instskip(SKIP_1) | instid1(VALU_DEP_1)
	v_add3_u32 v72, v72, v74, v75
	s_waitcnt lgkmcnt(1)
	v_add3_u32 v72, v72, v76, v77
	s_waitcnt lgkmcnt(0)
	s_delay_alu instid0(VALU_DEP_1) | instskip(NEXT) | instid1(VALU_DEP_1)
	v_add3_u32 v72, v72, v78, v79
	v_mov_b32_dpp v73, v72 row_shr:1 row_mask:0xf bank_mask:0xf
	s_delay_alu instid0(VALU_DEP_1) | instskip(NEXT) | instid1(VALU_DEP_1)
	v_cndmask_b32_e64 v73, v73, 0, s2
	v_add_nc_u32_e32 v72, v73, v72
	s_delay_alu instid0(VALU_DEP_1) | instskip(NEXT) | instid1(VALU_DEP_1)
	v_mov_b32_dpp v73, v72 row_shr:2 row_mask:0xf bank_mask:0xf
	v_cndmask_b32_e64 v73, 0, v73, s3
	s_delay_alu instid0(VALU_DEP_1) | instskip(NEXT) | instid1(VALU_DEP_1)
	v_add_nc_u32_e32 v72, v72, v73
	v_mov_b32_dpp v73, v72 row_shr:4 row_mask:0xf bank_mask:0xf
	s_delay_alu instid0(VALU_DEP_1) | instskip(NEXT) | instid1(VALU_DEP_1)
	v_cndmask_b32_e64 v73, 0, v73, s4
	v_add_nc_u32_e32 v72, v72, v73
	s_delay_alu instid0(VALU_DEP_1) | instskip(NEXT) | instid1(VALU_DEP_1)
	v_mov_b32_dpp v73, v72 row_shr:8 row_mask:0xf bank_mask:0xf
	v_cndmask_b32_e64 v73, 0, v73, s5
	s_delay_alu instid0(VALU_DEP_1) | instskip(SKIP_3) | instid1(VALU_DEP_1)
	v_add_nc_u32_e32 v72, v72, v73
	ds_swizzle_b32 v73, v72 offset:swizzle(BROADCAST,32,15)
	s_waitcnt lgkmcnt(0)
	v_cndmask_b32_e64 v73, v73, 0, s6
	v_add_nc_u32_e32 v72, v72, v73
	s_and_saveexec_b32 s11, s7
	s_cbranch_execz .LBB114_8
; %bb.7:                                ;   in Loop: Header=BB114_4 Depth=2
	ds_store_b32 v37, v72 offset:8192
.LBB114_8:                              ;   in Loop: Header=BB114_4 Depth=2
	s_or_b32 exec_lo, exec_lo, s11
	s_waitcnt lgkmcnt(0)
	s_barrier
	buffer_gl0_inv
	s_and_saveexec_b32 s11, vcc_lo
	s_cbranch_execz .LBB114_10
; %bb.9:                                ;   in Loop: Header=BB114_4 Depth=2
	ds_load_b32 v73, v36 offset:8192
	s_waitcnt lgkmcnt(0)
	v_mov_b32_dpp v74, v73 row_shr:1 row_mask:0xf bank_mask:0xf
	s_delay_alu instid0(VALU_DEP_1) | instskip(NEXT) | instid1(VALU_DEP_1)
	v_cndmask_b32_e64 v74, v74, 0, s8
	v_add_nc_u32_e32 v73, v74, v73
	s_delay_alu instid0(VALU_DEP_1) | instskip(NEXT) | instid1(VALU_DEP_1)
	v_mov_b32_dpp v74, v73 row_shr:2 row_mask:0xf bank_mask:0xf
	v_cndmask_b32_e64 v74, 0, v74, s9
	s_delay_alu instid0(VALU_DEP_1) | instskip(NEXT) | instid1(VALU_DEP_1)
	v_add_nc_u32_e32 v73, v73, v74
	v_mov_b32_dpp v74, v73 row_shr:4 row_mask:0xf bank_mask:0xf
	s_delay_alu instid0(VALU_DEP_1) | instskip(NEXT) | instid1(VALU_DEP_1)
	v_cndmask_b32_e64 v74, 0, v74, s10
	v_add_nc_u32_e32 v73, v73, v74
	ds_store_b32 v36, v73 offset:8192
.LBB114_10:                             ;   in Loop: Header=BB114_4 Depth=2
	s_or_b32 exec_lo, exec_lo, s11
	v_mov_b32_e32 v73, 0
	s_waitcnt lgkmcnt(0)
	s_barrier
	buffer_gl0_inv
	s_and_saveexec_b32 s11, s0
	s_cbranch_execz .LBB114_3
; %bb.11:                               ;   in Loop: Header=BB114_4 Depth=2
	ds_load_b32 v73, v37 offset:8188
	s_branch .LBB114_3
.LBB114_12:
	ds_load_u16 v0, v71
	ds_load_u16 v1, v70
	;; [unrolled: 1-line block ×16, first 2 shown]
	v_and_b32_e32 v8, 0xffff, v43
	v_and_b32_e32 v12, 0xffff, v45
	;; [unrolled: 1-line block ×16, first 2 shown]
	s_waitcnt lgkmcnt(15)
	v_add_nc_u32_e32 v3, v0, v2
	s_waitcnt lgkmcnt(14)
	v_add_nc_u32_e32 v2, v1, v29
	;; [unrolled: 2-line block ×9, first 2 shown]
	s_lshl_b64 s[0:1], s[12:13], 2
	v_lshlrev_b32_e32 v17, 2, v33
	v_add_nc_u32_e32 v11, v21, v11
	v_add_nc_u32_e32 v10, v22, v10
	;; [unrolled: 1-line block ×7, first 2 shown]
	s_add_u32 s0, s18, s0
	s_addc_u32 s1, s19, s1
	s_clause 0x3
	global_store_b128 v17, v[12:15], s[0:1]
	global_store_b128 v17, v[8:11], s[0:1] offset:16
	global_store_b128 v17, v[4:7], s[0:1] offset:32
	;; [unrolled: 1-line block ×3, first 2 shown]
	s_nop 0
	s_sendmsg sendmsg(MSG_DEALLOC_VGPRS)
	s_endpgm
	.section	.rodata,"a",@progbits
	.p2align	6, 0x0
	.amdhsa_kernel _Z11rank_kernelIxLj4ELb0EL18RadixRankAlgorithm0ELj256ELj16ELj10EEvPKT_Pi
		.amdhsa_group_segment_fixed_size 8224
		.amdhsa_private_segment_fixed_size 0
		.amdhsa_kernarg_size 16
		.amdhsa_user_sgpr_count 15
		.amdhsa_user_sgpr_dispatch_ptr 0
		.amdhsa_user_sgpr_queue_ptr 0
		.amdhsa_user_sgpr_kernarg_segment_ptr 1
		.amdhsa_user_sgpr_dispatch_id 0
		.amdhsa_user_sgpr_private_segment_size 0
		.amdhsa_wavefront_size32 1
		.amdhsa_uses_dynamic_stack 0
		.amdhsa_enable_private_segment 0
		.amdhsa_system_sgpr_workgroup_id_x 1
		.amdhsa_system_sgpr_workgroup_id_y 0
		.amdhsa_system_sgpr_workgroup_id_z 0
		.amdhsa_system_sgpr_workgroup_info 0
		.amdhsa_system_vgpr_workitem_id 0
		.amdhsa_next_free_vgpr 80
		.amdhsa_next_free_sgpr 20
		.amdhsa_reserve_vcc 1
		.amdhsa_float_round_mode_32 0
		.amdhsa_float_round_mode_16_64 0
		.amdhsa_float_denorm_mode_32 3
		.amdhsa_float_denorm_mode_16_64 3
		.amdhsa_dx10_clamp 1
		.amdhsa_ieee_mode 1
		.amdhsa_fp16_overflow 0
		.amdhsa_workgroup_processor_mode 1
		.amdhsa_memory_ordered 1
		.amdhsa_forward_progress 0
		.amdhsa_shared_vgpr_count 0
		.amdhsa_exception_fp_ieee_invalid_op 0
		.amdhsa_exception_fp_denorm_src 0
		.amdhsa_exception_fp_ieee_div_zero 0
		.amdhsa_exception_fp_ieee_overflow 0
		.amdhsa_exception_fp_ieee_underflow 0
		.amdhsa_exception_fp_ieee_inexact 0
		.amdhsa_exception_int_div_zero 0
	.end_amdhsa_kernel
	.section	.text._Z11rank_kernelIxLj4ELb0EL18RadixRankAlgorithm0ELj256ELj16ELj10EEvPKT_Pi,"axG",@progbits,_Z11rank_kernelIxLj4ELb0EL18RadixRankAlgorithm0ELj256ELj16ELj10EEvPKT_Pi,comdat
.Lfunc_end114:
	.size	_Z11rank_kernelIxLj4ELb0EL18RadixRankAlgorithm0ELj256ELj16ELj10EEvPKT_Pi, .Lfunc_end114-_Z11rank_kernelIxLj4ELb0EL18RadixRankAlgorithm0ELj256ELj16ELj10EEvPKT_Pi
                                        ; -- End function
	.section	.AMDGPU.csdata,"",@progbits
; Kernel info:
; codeLenInByte = 2760
; NumSgprs: 22
; NumVgprs: 80
; ScratchSize: 0
; MemoryBound: 0
; FloatMode: 240
; IeeeMode: 1
; LDSByteSize: 8224 bytes/workgroup (compile time only)
; SGPRBlocks: 2
; VGPRBlocks: 9
; NumSGPRsForWavesPerEU: 22
; NumVGPRsForWavesPerEU: 80
; Occupancy: 16
; WaveLimiterHint : 0
; COMPUTE_PGM_RSRC2:SCRATCH_EN: 0
; COMPUTE_PGM_RSRC2:USER_SGPR: 15
; COMPUTE_PGM_RSRC2:TRAP_HANDLER: 0
; COMPUTE_PGM_RSRC2:TGID_X_EN: 1
; COMPUTE_PGM_RSRC2:TGID_Y_EN: 0
; COMPUTE_PGM_RSRC2:TGID_Z_EN: 0
; COMPUTE_PGM_RSRC2:TIDIG_COMP_CNT: 0
	.section	.text._Z11rank_kernelIxLj4ELb0EL18RadixRankAlgorithm1ELj256ELj16ELj10EEvPKT_Pi,"axG",@progbits,_Z11rank_kernelIxLj4ELb0EL18RadixRankAlgorithm1ELj256ELj16ELj10EEvPKT_Pi,comdat
	.protected	_Z11rank_kernelIxLj4ELb0EL18RadixRankAlgorithm1ELj256ELj16ELj10EEvPKT_Pi ; -- Begin function _Z11rank_kernelIxLj4ELb0EL18RadixRankAlgorithm1ELj256ELj16ELj10EEvPKT_Pi
	.globl	_Z11rank_kernelIxLj4ELb0EL18RadixRankAlgorithm1ELj256ELj16ELj10EEvPKT_Pi
	.p2align	8
	.type	_Z11rank_kernelIxLj4ELb0EL18RadixRankAlgorithm1ELj256ELj16ELj10EEvPKT_Pi,@function
_Z11rank_kernelIxLj4ELb0EL18RadixRankAlgorithm1ELj256ELj16ELj10EEvPKT_Pi: ; @_Z11rank_kernelIxLj4ELb0EL18RadixRankAlgorithm1ELj256ELj16ELj10EEvPKT_Pi
; %bb.0:
	s_load_b128 s[16:19], s[0:1], 0x0
	s_mov_b32 s13, 0
	s_lshl_b32 s12, s15, 12
	v_dual_mov_b32 v42, 0 :: v_dual_lshlrev_b32 v29, 7, v0
	s_lshl_b64 s[0:1], s[12:13], 3
	v_mbcnt_lo_u32_b32 v33, -1, 0
	v_or_b32_e32 v36, 31, v0
	v_lshrrev_b32_e32 v38, 3, v0
	v_lshlrev_b32_e32 v41, 4, v0
	v_lshlrev_b32_e32 v43, 5, v0
	v_add_nc_u32_e32 v37, -1, v33
	v_and_b32_e32 v34, 15, v33
	v_and_b32_e32 v35, 16, v33
	;; [unrolled: 1-line block ×3, first 2 shown]
	v_cmp_gt_u32_e32 vcc_lo, 8, v0
	v_cmp_gt_i32_e64 s8, 0, v37
	v_lshlrev_b32_e32 v44, 2, v0
	v_cmp_eq_u32_e64 s2, 0, v34
	v_cmp_lt_u32_e64 s3, 1, v34
	s_waitcnt lgkmcnt(0)
	s_add_u32 s0, s16, s0
	s_addc_u32 s1, s17, s1
	v_cmp_lt_u32_e64 s4, 3, v34
	s_clause 0x7
	global_load_b128 v[1:4], v29, s[0:1]
	global_load_b128 v[5:8], v29, s[0:1] offset:16
	global_load_b128 v[9:12], v29, s[0:1] offset:32
	;; [unrolled: 1-line block ×7, first 2 shown]
	v_cmp_eq_u32_e64 s1, 0, v33
	v_cndmask_b32_e64 v33, v37, v33, s8
	v_cmp_lt_u32_e64 s0, 31, v0
	v_cmp_lt_u32_e64 s5, 7, v34
	v_cmp_eq_u32_e64 s6, 0, v35
	v_cmp_eq_u32_e64 s7, v36, v0
	v_and_b32_e32 v45, 28, v38
	v_cmp_eq_u32_e64 s8, 0, v39
	v_cmp_lt_u32_e64 s9, 1, v39
	v_cmp_lt_u32_e64 s10, 3, v39
	v_lshlrev_b32_e32 v46, 2, v33
	v_or_b32_e32 v47, 0xffffff00, v0
	s_mov_b32 s14, s13
	s_waitcnt vmcnt(7)
	v_xor_b32_e32 v2, 0x80000000, v2
	v_xor_b32_e32 v4, 0x80000000, v4
	s_waitcnt vmcnt(6)
	v_xor_b32_e32 v6, 0x80000000, v6
	v_xor_b32_e32 v8, 0x80000000, v8
	;; [unrolled: 3-line block ×8, first 2 shown]
	s_branch .LBB115_2
.LBB115_1:                              ;   in Loop: Header=BB115_2 Depth=1
	s_add_i32 s14, s14, 1
	s_delay_alu instid0(SALU_CYCLE_1)
	s_cmp_eq_u32 s14, 10
	s_cbranch_scc1 .LBB115_12
.LBB115_2:                              ; =>This Loop Header: Depth=1
                                        ;     Child Loop BB115_4 Depth 2
                                        ;       Child Loop BB115_5 Depth 3
	s_mov_b32 s15, 0
	s_branch .LBB115_4
.LBB115_3:                              ;   in Loop: Header=BB115_4 Depth=2
	s_or_b32 exec_lo, exec_lo, s11
	s_waitcnt lgkmcnt(0)
	v_add_nc_u32_e32 v34, v80, v34
	ds_load_b32 v81, v42 offset:8220
	s_add_i32 s11, s15, 4
	s_cmp_lt_u32 s15, 60
	s_mov_b32 s15, s11
	ds_bpermute_b32 v34, v46, v34
	s_waitcnt lgkmcnt(0)
	v_cndmask_b32_e64 v34, v34, v80, s1
	s_delay_alu instid0(VALU_DEP_1) | instskip(NEXT) | instid1(VALU_DEP_1)
	v_lshl_add_u32 v34, v81, 16, v34
	v_add_nc_u32_e32 v39, v34, v39
	s_delay_alu instid0(VALU_DEP_1) | instskip(NEXT) | instid1(VALU_DEP_1)
	v_add_nc_u32_e32 v40, v39, v40
	v_add_nc_u32_e32 v37, v40, v37
	s_delay_alu instid0(VALU_DEP_1) | instskip(NEXT) | instid1(VALU_DEP_1)
	v_add_nc_u32_e32 v38, v37, v38
	;; [unrolled: 3-line block ×3, first 2 shown]
	v_add_nc_u32_e32 v33, v36, v33
	ds_store_2addr_b32 v43, v34, v39 offset1:1
	ds_store_2addr_b32 v43, v40, v37 offset0:2 offset1:3
	ds_store_2addr_b32 v43, v38, v35 offset0:4 offset1:5
	;; [unrolled: 1-line block ×3, first 2 shown]
	s_waitcnt lgkmcnt(0)
	s_barrier
	buffer_gl0_inv
	s_cbranch_scc0 .LBB115_1
.LBB115_4:                              ;   Parent Loop BB115_2 Depth=1
                                        ; =>  This Loop Header: Depth=2
                                        ;       Child Loop BB115_5 Depth 3
	v_dual_mov_b32 v33, v47 :: v_dual_mov_b32 v34, v44
	s_mov_b32 s16, 0
.LBB115_5:                              ;   Parent Loop BB115_2 Depth=1
                                        ;     Parent Loop BB115_4 Depth=2
                                        ; =>    This Inner Loop Header: Depth=3
	s_delay_alu instid0(VALU_DEP_1) | instskip(SKIP_3) | instid1(VALU_DEP_1)
	v_add_nc_u32_e32 v33, 0x100, v33
	ds_store_b32 v34, v42
	v_add_nc_u32_e32 v34, 0x400, v34
	v_cmp_lt_u32_e64 s11, 0x6ff, v33
	s_or_b32 s16, s11, s16
	s_delay_alu instid0(SALU_CYCLE_1)
	s_and_not1_b32 exec_lo, exec_lo, s16
	s_cbranch_execnz .LBB115_5
; %bb.6:                                ;   in Loop: Header=BB115_4 Depth=2
	s_or_b32 exec_lo, exec_lo, s16
	s_sub_i32 s11, 60, s15
	s_delay_alu instid0(SALU_CYCLE_1) | instskip(NEXT) | instid1(VALU_DEP_1)
	v_lshlrev_b64 v[33:34], s11, v[1:2]
	v_lshrrev_b32_e32 v33, 20, v34
	v_lshrrev_b32_e32 v34, 30, v34
	s_delay_alu instid0(VALU_DEP_2) | instskip(NEXT) | instid1(VALU_DEP_2)
	v_and_or_b32 v33, 0x700, v33, v0
	v_and_b32_e32 v34, 2, v34
	s_delay_alu instid0(VALU_DEP_1) | instskip(SKIP_4) | instid1(VALU_DEP_2)
	v_lshl_or_b32 v48, v33, 2, v34
	v_lshlrev_b64 v[33:34], s11, v[3:4]
	ds_load_u16 v51, v48
	v_lshrrev_b32_e32 v33, 20, v34
	v_lshrrev_b32_e32 v34, 30, v34
	v_and_or_b32 v33, 0x700, v33, v0
	s_delay_alu instid0(VALU_DEP_2) | instskip(NEXT) | instid1(VALU_DEP_1)
	v_and_b32_e32 v34, 2, v34
	v_lshl_or_b32 v49, v33, 2, v34
	v_lshlrev_b64 v[33:34], s11, v[5:6]
	s_delay_alu instid0(VALU_DEP_1) | instskip(SKIP_3) | instid1(VALU_DEP_3)
	v_lshrrev_b32_e32 v33, 20, v34
	s_waitcnt lgkmcnt(0)
	v_add_nc_u16 v35, v51, 1
	v_lshrrev_b32_e32 v34, 30, v34
	v_and_or_b32 v33, 0x700, v33, v0
	ds_store_b16 v48, v35
	ds_load_u16 v53, v49
	v_and_b32_e32 v34, 2, v34
	s_delay_alu instid0(VALU_DEP_1) | instskip(SKIP_1) | instid1(VALU_DEP_1)
	v_lshl_or_b32 v50, v33, 2, v34
	v_lshlrev_b64 v[33:34], s11, v[7:8]
	v_lshrrev_b32_e32 v33, 20, v34
	v_lshrrev_b32_e32 v34, 30, v34
	s_delay_alu instid0(VALU_DEP_2) | instskip(NEXT) | instid1(VALU_DEP_2)
	v_and_or_b32 v33, 0x700, v33, v0
	v_and_b32_e32 v34, 2, v34
	s_waitcnt lgkmcnt(0)
	v_add_nc_u16 v35, v53, 1
	s_delay_alu instid0(VALU_DEP_2) | instskip(SKIP_3) | instid1(VALU_DEP_1)
	v_lshl_or_b32 v52, v33, 2, v34
	ds_store_b16 v49, v35
	ds_load_u16 v55, v50
	v_lshlrev_b64 v[33:34], s11, v[9:10]
	v_lshrrev_b32_e32 v33, 20, v34
	v_lshrrev_b32_e32 v34, 30, v34
	s_delay_alu instid0(VALU_DEP_2) | instskip(NEXT) | instid1(VALU_DEP_2)
	v_and_or_b32 v33, 0x700, v33, v0
	v_and_b32_e32 v34, 2, v34
	s_delay_alu instid0(VALU_DEP_1) | instskip(SKIP_3) | instid1(VALU_DEP_2)
	v_lshl_or_b32 v54, v33, 2, v34
	v_lshlrev_b64 v[33:34], s11, v[11:12]
	s_waitcnt lgkmcnt(0)
	v_add_nc_u16 v35, v55, 1
	v_lshrrev_b32_e32 v33, 20, v34
	ds_store_b16 v50, v35
	ds_load_u16 v57, v52
	v_lshrrev_b32_e32 v34, 30, v34
	v_and_or_b32 v33, 0x700, v33, v0
	s_delay_alu instid0(VALU_DEP_2) | instskip(NEXT) | instid1(VALU_DEP_1)
	v_and_b32_e32 v34, 2, v34
	v_lshl_or_b32 v56, v33, 2, v34
	v_lshlrev_b64 v[33:34], s11, v[13:14]
	s_delay_alu instid0(VALU_DEP_1) | instskip(SKIP_3) | instid1(VALU_DEP_3)
	v_lshrrev_b32_e32 v33, 20, v34
	v_lshrrev_b32_e32 v34, 30, v34
	s_waitcnt lgkmcnt(0)
	v_add_nc_u16 v35, v57, 1
	v_and_or_b32 v33, 0x700, v33, v0
	s_delay_alu instid0(VALU_DEP_3) | instskip(SKIP_4) | instid1(VALU_DEP_1)
	v_and_b32_e32 v34, 2, v34
	ds_store_b16 v52, v35
	ds_load_u16 v58, v54
	v_lshl_or_b32 v59, v33, 2, v34
	v_lshlrev_b64 v[33:34], s11, v[15:16]
	v_lshrrev_b32_e32 v33, 20, v34
	v_lshrrev_b32_e32 v34, 30, v34
	s_delay_alu instid0(VALU_DEP_2) | instskip(NEXT) | instid1(VALU_DEP_2)
	v_and_or_b32 v33, 0x700, v33, v0
	v_and_b32_e32 v34, 2, v34
	s_waitcnt lgkmcnt(0)
	v_add_nc_u16 v35, v58, 1
	s_delay_alu instid0(VALU_DEP_2)
	v_lshl_or_b32 v61, v33, 2, v34
	v_lshlrev_b64 v[33:34], s11, v[17:18]
	ds_store_b16 v54, v35
	ds_load_u16 v60, v56
	v_lshrrev_b32_e32 v33, 20, v34
	v_lshrrev_b32_e32 v34, 30, v34
	s_delay_alu instid0(VALU_DEP_2) | instskip(NEXT) | instid1(VALU_DEP_2)
	v_and_or_b32 v33, 0x700, v33, v0
	v_and_b32_e32 v34, 2, v34
	s_delay_alu instid0(VALU_DEP_1) | instskip(SKIP_1) | instid1(VALU_DEP_1)
	v_lshl_or_b32 v63, v33, 2, v34
	v_lshlrev_b64 v[33:34], s11, v[19:20]
	v_lshrrev_b32_e32 v33, 20, v34
	s_waitcnt lgkmcnt(0)
	v_add_nc_u16 v35, v60, 1
	v_lshrrev_b32_e32 v34, 30, v34
	s_delay_alu instid0(VALU_DEP_3) | instskip(SKIP_3) | instid1(VALU_DEP_1)
	v_and_or_b32 v33, 0x700, v33, v0
	ds_store_b16 v56, v35
	ds_load_u16 v62, v59
	v_and_b32_e32 v34, 2, v34
	v_lshl_or_b32 v65, v33, 2, v34
	v_lshlrev_b64 v[33:34], s11, v[21:22]
	s_delay_alu instid0(VALU_DEP_1) | instskip(SKIP_1) | instid1(VALU_DEP_2)
	v_lshrrev_b32_e32 v33, 20, v34
	v_lshrrev_b32_e32 v34, 30, v34
	v_and_or_b32 v33, 0x700, v33, v0
	s_delay_alu instid0(VALU_DEP_2) | instskip(SKIP_2) | instid1(VALU_DEP_2)
	v_and_b32_e32 v34, 2, v34
	s_waitcnt lgkmcnt(0)
	v_add_nc_u16 v35, v62, 1
	v_lshl_or_b32 v68, v33, 2, v34
	ds_store_b16 v59, v35
	ds_load_u16 v64, v61
	v_lshlrev_b64 v[33:34], s11, v[23:24]
	s_delay_alu instid0(VALU_DEP_1) | instskip(SKIP_1) | instid1(VALU_DEP_2)
	v_lshrrev_b32_e32 v33, 20, v34
	v_lshrrev_b32_e32 v34, 30, v34
	v_and_or_b32 v33, 0x700, v33, v0
	s_delay_alu instid0(VALU_DEP_2) | instskip(NEXT) | instid1(VALU_DEP_1)
	v_and_b32_e32 v34, 2, v34
	v_lshl_or_b32 v72, v33, 2, v34
	v_lshlrev_b64 v[33:34], s11, v[25:26]
	s_waitcnt lgkmcnt(0)
	v_add_nc_u16 v35, v64, 1
	ds_store_b16 v61, v35
	ds_load_u16 v66, v63
	v_lshrrev_b32_e32 v33, 20, v34
	v_lshrrev_b32_e32 v34, 30, v34
	s_delay_alu instid0(VALU_DEP_2) | instskip(NEXT) | instid1(VALU_DEP_2)
	v_and_or_b32 v33, 0x700, v33, v0
	v_and_b32_e32 v34, 2, v34
	s_delay_alu instid0(VALU_DEP_1) | instskip(SKIP_1) | instid1(VALU_DEP_1)
	v_lshl_or_b32 v74, v33, 2, v34
	v_lshlrev_b64 v[33:34], s11, v[27:28]
	v_lshrrev_b32_e32 v33, 20, v34
	s_waitcnt lgkmcnt(0)
	v_add_nc_u16 v35, v66, 1
	v_lshrrev_b32_e32 v34, 30, v34
	s_delay_alu instid0(VALU_DEP_3) | instskip(SKIP_3) | instid1(VALU_DEP_1)
	v_and_or_b32 v33, 0x700, v33, v0
	ds_store_b16 v63, v35
	ds_load_u16 v69, v65
	v_and_b32_e32 v34, 2, v34
	v_lshl_or_b32 v76, v33, 2, v34
	v_lshlrev_b64 v[33:34], s11, v[29:30]
	s_delay_alu instid0(VALU_DEP_1) | instskip(SKIP_1) | instid1(VALU_DEP_2)
	v_lshrrev_b32_e32 v33, 20, v34
	v_lshrrev_b32_e32 v34, 30, v34
	v_and_or_b32 v33, 0x700, v33, v0
	s_delay_alu instid0(VALU_DEP_2) | instskip(SKIP_2) | instid1(VALU_DEP_2)
	v_and_b32_e32 v34, 2, v34
	s_waitcnt lgkmcnt(0)
	v_add_nc_u16 v35, v69, 1
	v_lshl_or_b32 v78, v33, 2, v34
	ds_store_b16 v65, v35
	ds_load_u16 v71, v68
	v_lshlrev_b64 v[33:34], s11, v[31:32]
	s_delay_alu instid0(VALU_DEP_1) | instskip(SKIP_1) | instid1(VALU_DEP_2)
	v_lshrrev_b32_e32 v33, 20, v34
	v_lshrrev_b32_e32 v34, 30, v34
	v_and_or_b32 v33, 0x700, v33, v0
	s_delay_alu instid0(VALU_DEP_2) | instskip(NEXT) | instid1(VALU_DEP_1)
	v_and_b32_e32 v34, 2, v34
	v_lshl_or_b32 v79, v33, 2, v34
	s_waitcnt lgkmcnt(0)
	v_add_nc_u16 v35, v71, 1
	ds_store_b16 v68, v35
	ds_load_u16 v67, v72
	s_waitcnt lgkmcnt(0)
	v_add_nc_u16 v35, v67, 1
	ds_store_b16 v72, v35
	ds_load_u16 v70, v74
	;; [unrolled: 4-line block ×5, first 2 shown]
	s_waitcnt lgkmcnt(0)
	v_add_nc_u16 v33, v77, 1
	ds_store_b16 v79, v33
	s_waitcnt lgkmcnt(0)
	s_barrier
	buffer_gl0_inv
	ds_load_2addr_b32 v[39:40], v43 offset1:1
	ds_load_2addr_b32 v[37:38], v43 offset0:2 offset1:3
	ds_load_2addr_b32 v[35:36], v43 offset0:4 offset1:5
	;; [unrolled: 1-line block ×3, first 2 shown]
	s_waitcnt lgkmcnt(3)
	v_add_nc_u32_e32 v80, v40, v39
	s_waitcnt lgkmcnt(2)
	s_delay_alu instid0(VALU_DEP_1) | instskip(SKIP_1) | instid1(VALU_DEP_1)
	v_add3_u32 v80, v80, v37, v38
	s_waitcnt lgkmcnt(1)
	v_add3_u32 v80, v80, v35, v36
	s_waitcnt lgkmcnt(0)
	s_delay_alu instid0(VALU_DEP_1) | instskip(NEXT) | instid1(VALU_DEP_1)
	v_add3_u32 v34, v80, v33, v34
	v_mov_b32_dpp v80, v34 row_shr:1 row_mask:0xf bank_mask:0xf
	s_delay_alu instid0(VALU_DEP_1) | instskip(NEXT) | instid1(VALU_DEP_1)
	v_cndmask_b32_e64 v80, v80, 0, s2
	v_add_nc_u32_e32 v34, v80, v34
	s_delay_alu instid0(VALU_DEP_1) | instskip(NEXT) | instid1(VALU_DEP_1)
	v_mov_b32_dpp v80, v34 row_shr:2 row_mask:0xf bank_mask:0xf
	v_cndmask_b32_e64 v80, 0, v80, s3
	s_delay_alu instid0(VALU_DEP_1) | instskip(NEXT) | instid1(VALU_DEP_1)
	v_add_nc_u32_e32 v34, v34, v80
	v_mov_b32_dpp v80, v34 row_shr:4 row_mask:0xf bank_mask:0xf
	s_delay_alu instid0(VALU_DEP_1) | instskip(NEXT) | instid1(VALU_DEP_1)
	v_cndmask_b32_e64 v80, 0, v80, s4
	v_add_nc_u32_e32 v34, v34, v80
	s_delay_alu instid0(VALU_DEP_1) | instskip(NEXT) | instid1(VALU_DEP_1)
	v_mov_b32_dpp v80, v34 row_shr:8 row_mask:0xf bank_mask:0xf
	v_cndmask_b32_e64 v80, 0, v80, s5
	s_delay_alu instid0(VALU_DEP_1) | instskip(SKIP_3) | instid1(VALU_DEP_1)
	v_add_nc_u32_e32 v34, v34, v80
	ds_swizzle_b32 v80, v34 offset:swizzle(BROADCAST,32,15)
	s_waitcnt lgkmcnt(0)
	v_cndmask_b32_e64 v80, v80, 0, s6
	v_add_nc_u32_e32 v34, v34, v80
	s_and_saveexec_b32 s11, s7
	s_cbranch_execz .LBB115_8
; %bb.7:                                ;   in Loop: Header=BB115_4 Depth=2
	ds_store_b32 v45, v34 offset:8192
.LBB115_8:                              ;   in Loop: Header=BB115_4 Depth=2
	s_or_b32 exec_lo, exec_lo, s11
	s_waitcnt lgkmcnt(0)
	s_barrier
	buffer_gl0_inv
	s_and_saveexec_b32 s11, vcc_lo
	s_cbranch_execz .LBB115_10
; %bb.9:                                ;   in Loop: Header=BB115_4 Depth=2
	ds_load_b32 v80, v44 offset:8192
	s_waitcnt lgkmcnt(0)
	v_mov_b32_dpp v81, v80 row_shr:1 row_mask:0xf bank_mask:0xf
	s_delay_alu instid0(VALU_DEP_1) | instskip(NEXT) | instid1(VALU_DEP_1)
	v_cndmask_b32_e64 v81, v81, 0, s8
	v_add_nc_u32_e32 v80, v81, v80
	s_delay_alu instid0(VALU_DEP_1) | instskip(NEXT) | instid1(VALU_DEP_1)
	v_mov_b32_dpp v81, v80 row_shr:2 row_mask:0xf bank_mask:0xf
	v_cndmask_b32_e64 v81, 0, v81, s9
	s_delay_alu instid0(VALU_DEP_1) | instskip(NEXT) | instid1(VALU_DEP_1)
	v_add_nc_u32_e32 v80, v80, v81
	v_mov_b32_dpp v81, v80 row_shr:4 row_mask:0xf bank_mask:0xf
	s_delay_alu instid0(VALU_DEP_1) | instskip(NEXT) | instid1(VALU_DEP_1)
	v_cndmask_b32_e64 v81, 0, v81, s10
	v_add_nc_u32_e32 v80, v80, v81
	ds_store_b32 v44, v80 offset:8192
.LBB115_10:                             ;   in Loop: Header=BB115_4 Depth=2
	s_or_b32 exec_lo, exec_lo, s11
	v_mov_b32_e32 v80, 0
	s_waitcnt lgkmcnt(0)
	s_barrier
	buffer_gl0_inv
	s_and_saveexec_b32 s11, s0
	s_cbranch_execz .LBB115_3
; %bb.11:                               ;   in Loop: Header=BB115_4 Depth=2
	ds_load_b32 v80, v45 offset:8188
	s_branch .LBB115_3
.LBB115_12:
	ds_load_u16 v0, v79
	ds_load_u16 v1, v78
	;; [unrolled: 1-line block ×16, first 2 shown]
	v_and_b32_e32 v8, 0xffff, v51
	v_and_b32_e32 v12, 0xffff, v53
	v_and_b32_e32 v13, 0xffff, v55
	v_and_b32_e32 v14, 0xffff, v57
	v_and_b32_e32 v2, 0xffff, v77
	v_and_b32_e32 v29, 0xffff, v75
	v_and_b32_e32 v30, 0xffff, v73
	v_and_b32_e32 v31, 0xffff, v70
	v_and_b32_e32 v32, 0xffff, v67
	v_and_b32_e32 v16, 0xffff, v58
	v_and_b32_e32 v9, 0xffff, v60
	v_and_b32_e32 v10, 0xffff, v62
	v_and_b32_e32 v11, 0xffff, v64
	v_and_b32_e32 v4, 0xffff, v66
	v_and_b32_e32 v5, 0xffff, v69
	v_and_b32_e32 v6, 0xffff, v71
	s_waitcnt lgkmcnt(15)
	v_add_nc_u32_e32 v3, v0, v2
	s_waitcnt lgkmcnt(14)
	v_add_nc_u32_e32 v2, v1, v29
	;; [unrolled: 2-line block ×9, first 2 shown]
	s_lshl_b64 s[0:1], s[12:13], 2
	v_lshlrev_b32_e32 v17, 2, v41
	v_add_nc_u32_e32 v11, v21, v11
	v_add_nc_u32_e32 v10, v22, v10
	;; [unrolled: 1-line block ×7, first 2 shown]
	s_add_u32 s0, s18, s0
	s_addc_u32 s1, s19, s1
	s_clause 0x3
	global_store_b128 v17, v[12:15], s[0:1]
	global_store_b128 v17, v[8:11], s[0:1] offset:16
	global_store_b128 v17, v[4:7], s[0:1] offset:32
	global_store_b128 v17, v[0:3], s[0:1] offset:48
	s_nop 0
	s_sendmsg sendmsg(MSG_DEALLOC_VGPRS)
	s_endpgm
	.section	.rodata,"a",@progbits
	.p2align	6, 0x0
	.amdhsa_kernel _Z11rank_kernelIxLj4ELb0EL18RadixRankAlgorithm1ELj256ELj16ELj10EEvPKT_Pi
		.amdhsa_group_segment_fixed_size 8224
		.amdhsa_private_segment_fixed_size 0
		.amdhsa_kernarg_size 16
		.amdhsa_user_sgpr_count 15
		.amdhsa_user_sgpr_dispatch_ptr 0
		.amdhsa_user_sgpr_queue_ptr 0
		.amdhsa_user_sgpr_kernarg_segment_ptr 1
		.amdhsa_user_sgpr_dispatch_id 0
		.amdhsa_user_sgpr_private_segment_size 0
		.amdhsa_wavefront_size32 1
		.amdhsa_uses_dynamic_stack 0
		.amdhsa_enable_private_segment 0
		.amdhsa_system_sgpr_workgroup_id_x 1
		.amdhsa_system_sgpr_workgroup_id_y 0
		.amdhsa_system_sgpr_workgroup_id_z 0
		.amdhsa_system_sgpr_workgroup_info 0
		.amdhsa_system_vgpr_workitem_id 0
		.amdhsa_next_free_vgpr 82
		.amdhsa_next_free_sgpr 20
		.amdhsa_reserve_vcc 1
		.amdhsa_float_round_mode_32 0
		.amdhsa_float_round_mode_16_64 0
		.amdhsa_float_denorm_mode_32 3
		.amdhsa_float_denorm_mode_16_64 3
		.amdhsa_dx10_clamp 1
		.amdhsa_ieee_mode 1
		.amdhsa_fp16_overflow 0
		.amdhsa_workgroup_processor_mode 1
		.amdhsa_memory_ordered 1
		.amdhsa_forward_progress 0
		.amdhsa_shared_vgpr_count 0
		.amdhsa_exception_fp_ieee_invalid_op 0
		.amdhsa_exception_fp_denorm_src 0
		.amdhsa_exception_fp_ieee_div_zero 0
		.amdhsa_exception_fp_ieee_overflow 0
		.amdhsa_exception_fp_ieee_underflow 0
		.amdhsa_exception_fp_ieee_inexact 0
		.amdhsa_exception_int_div_zero 0
	.end_amdhsa_kernel
	.section	.text._Z11rank_kernelIxLj4ELb0EL18RadixRankAlgorithm1ELj256ELj16ELj10EEvPKT_Pi,"axG",@progbits,_Z11rank_kernelIxLj4ELb0EL18RadixRankAlgorithm1ELj256ELj16ELj10EEvPKT_Pi,comdat
.Lfunc_end115:
	.size	_Z11rank_kernelIxLj4ELb0EL18RadixRankAlgorithm1ELj256ELj16ELj10EEvPKT_Pi, .Lfunc_end115-_Z11rank_kernelIxLj4ELb0EL18RadixRankAlgorithm1ELj256ELj16ELj10EEvPKT_Pi
                                        ; -- End function
	.section	.AMDGPU.csdata,"",@progbits
; Kernel info:
; codeLenInByte = 2736
; NumSgprs: 22
; NumVgprs: 82
; ScratchSize: 0
; MemoryBound: 0
; FloatMode: 240
; IeeeMode: 1
; LDSByteSize: 8224 bytes/workgroup (compile time only)
; SGPRBlocks: 2
; VGPRBlocks: 10
; NumSGPRsForWavesPerEU: 22
; NumVGPRsForWavesPerEU: 82
; Occupancy: 16
; WaveLimiterHint : 0
; COMPUTE_PGM_RSRC2:SCRATCH_EN: 0
; COMPUTE_PGM_RSRC2:USER_SGPR: 15
; COMPUTE_PGM_RSRC2:TRAP_HANDLER: 0
; COMPUTE_PGM_RSRC2:TGID_X_EN: 1
; COMPUTE_PGM_RSRC2:TGID_Y_EN: 0
; COMPUTE_PGM_RSRC2:TGID_Z_EN: 0
; COMPUTE_PGM_RSRC2:TIDIG_COMP_CNT: 0
	.section	.text._Z11rank_kernelIxLj4ELb0EL18RadixRankAlgorithm2ELj256ELj16ELj10EEvPKT_Pi,"axG",@progbits,_Z11rank_kernelIxLj4ELb0EL18RadixRankAlgorithm2ELj256ELj16ELj10EEvPKT_Pi,comdat
	.protected	_Z11rank_kernelIxLj4ELb0EL18RadixRankAlgorithm2ELj256ELj16ELj10EEvPKT_Pi ; -- Begin function _Z11rank_kernelIxLj4ELb0EL18RadixRankAlgorithm2ELj256ELj16ELj10EEvPKT_Pi
	.globl	_Z11rank_kernelIxLj4ELb0EL18RadixRankAlgorithm2ELj256ELj16ELj10EEvPKT_Pi
	.p2align	8
	.type	_Z11rank_kernelIxLj4ELb0EL18RadixRankAlgorithm2ELj256ELj16ELj10EEvPKT_Pi,@function
_Z11rank_kernelIxLj4ELb0EL18RadixRankAlgorithm2ELj256ELj16ELj10EEvPKT_Pi: ; @_Z11rank_kernelIxLj4ELb0EL18RadixRankAlgorithm2ELj256ELj16ELj10EEvPKT_Pi
; %bb.0:
	s_clause 0x1
	s_load_b128 s[16:19], s[0:1], 0x0
	s_load_b32 s8, s[0:1], 0x1c
	v_and_b32_e32 v35, 0x3ff, v0
	s_mov_b32 s21, 0
	s_lshl_b32 s20, s15, 12
	v_mbcnt_lo_u32_b32 v36, -1, 0
	s_lshl_b64 s[2:3], s[20:21], 3
	v_lshlrev_b32_e32 v29, 7, v35
	v_mov_b32_e32 v33, 0
	v_bfe_u32 v37, v0, 10, 10
	v_and_b32_e32 v40, 16, v36
	v_bfe_u32 v38, v0, 20, 10
	v_add_nc_u32_e32 v41, -1, v36
	v_and_b32_e32 v39, 15, v36
	v_cmp_eq_u32_e32 vcc_lo, 0, v36
	v_cmp_eq_u32_e64 s4, 0, v40
	v_and_b32_e32 v42, 7, v36
	v_lshlrev_b32_e32 v0, 4, v35
	v_lshlrev_b32_e32 v34, 2, v35
	v_cmp_gt_u32_e64 s5, 8, v35
	s_waitcnt lgkmcnt(0)
	s_add_u32 s0, s16, s2
	s_addc_u32 s1, s17, s3
	s_lshr_b32 s7, s8, 16
	s_clause 0x7
	global_load_b128 v[1:4], v29, s[0:1]
	global_load_b128 v[5:8], v29, s[0:1] offset:16
	global_load_b128 v[9:12], v29, s[0:1] offset:32
	;; [unrolled: 1-line block ×7, first 2 shown]
	v_mad_u32_u24 v40, v38, s7, v37
	v_cmp_gt_i32_e64 s7, 0, v41
	v_cmp_eq_u32_e64 s0, 0, v39
	v_cmp_lt_u32_e64 s1, 1, v39
	v_cmp_lt_u32_e64 s2, 3, v39
	;; [unrolled: 1-line block ×3, first 2 shown]
	v_cndmask_b32_e64 v36, v41, v36, s7
	s_and_b32 s7, s8, 0xffff
	v_or_b32_e32 v39, 31, v35
	v_cmp_lt_u32_e64 s6, 31, v35
	v_cmp_lt_u32_e64 s8, 1, v42
	v_mad_u64_u32 v[37:38], null, v40, s7, v[35:36]
	v_lshrrev_b32_e32 v38, 3, v35
	v_cmp_eq_u32_e64 s10, v39, v35
	v_lshlrev_b32_e32 v35, 2, v36
	v_cmp_eq_u32_e64 s7, 0, v42
	v_cmp_lt_u32_e64 s9, 3, v42
	v_and_b32_e32 v36, 28, v38
	v_lshrrev_b32_e32 v37, 5, v37
	s_mov_b32 s13, s21
	s_delay_alu instid0(VALU_DEP_2)
	v_add_nc_u32_e32 v38, -4, v36
	s_waitcnt vmcnt(7)
	v_xor_b32_e32 v2, 0x80000000, v2
	v_xor_b32_e32 v4, 0x80000000, v4
	s_waitcnt vmcnt(6)
	v_xor_b32_e32 v6, 0x80000000, v6
	v_xor_b32_e32 v8, 0x80000000, v8
	;; [unrolled: 3-line block ×8, first 2 shown]
	s_branch .LBB116_2
.LBB116_1:                              ;   in Loop: Header=BB116_2 Depth=1
	s_add_i32 s13, s13, 1
	s_delay_alu instid0(SALU_CYCLE_1)
	s_cmp_eq_u32 s13, 10
	s_cbranch_scc1 .LBB116_42
.LBB116_2:                              ; =>This Loop Header: Depth=1
                                        ;     Child Loop BB116_4 Depth 2
	s_mov_b64 s[14:15], 60
	s_mov_b32 s16, -4
	s_branch .LBB116_4
.LBB116_3:                              ;   in Loop: Header=BB116_4 Depth=2
	s_or_b32 exec_lo, exec_lo, s11
	s_waitcnt lgkmcnt(0)
	v_add_nc_u32_e32 v86, v87, v86
	s_add_i32 s16, s16, 4
	s_add_u32 s14, s14, -4
	s_addc_u32 s15, s15, -1
	s_cmp_lt_u32 s16, 60
	ds_bpermute_b32 v86, v35, v86
	s_waitcnt lgkmcnt(0)
	v_cndmask_b32_e32 v86, v86, v87, vcc_lo
	ds_store_b32 v34, v86 offset:32
	s_waitcnt lgkmcnt(0)
	s_barrier
	buffer_gl0_inv
	s_cbranch_scc0 .LBB116_1
.LBB116_4:                              ;   Parent Loop BB116_2 Depth=1
                                        ; =>  This Inner Loop Header: Depth=2
	v_lshlrev_b64 v[39:40], s14, v[1:2]
	ds_store_b32 v34, v33 offset:32
	s_waitcnt lgkmcnt(0)
	s_barrier
	buffer_gl0_inv
	v_bfe_u32 v39, v40, 28, 1
	v_lshrrev_b32_e32 v42, 28, v40
	v_and_b32_e32 v40, 0xf0000000, v40
	; wave barrier
	s_delay_alu instid0(VALU_DEP_3) | instskip(NEXT) | instid1(VALU_DEP_1)
	v_add_co_u32 v39, s11, v39, -1
	v_cndmask_b32_e64 v41, 0, 1, s11
	s_delay_alu instid0(VALU_DEP_4) | instskip(SKIP_2) | instid1(VALU_DEP_4)
	v_lshlrev_b32_e32 v43, 30, v42
	v_lshlrev_b32_e32 v44, 29, v42
	v_not_b32_e32 v45, v40
	v_cmp_ne_u32_e64 s11, 0, v41
	s_delay_alu instid0(VALU_DEP_4) | instskip(SKIP_2) | instid1(VALU_DEP_4)
	v_not_b32_e32 v41, v43
	v_cmp_gt_i32_e64 s12, 0, v43
	v_not_b32_e32 v43, v44
	v_xor_b32_e32 v39, s11, v39
	s_delay_alu instid0(VALU_DEP_4) | instskip(SKIP_1) | instid1(VALU_DEP_4)
	v_ashrrev_i32_e32 v41, 31, v41
	v_cmp_gt_i32_e64 s11, 0, v44
	v_ashrrev_i32_e32 v43, 31, v43
	s_delay_alu instid0(VALU_DEP_4) | instskip(NEXT) | instid1(VALU_DEP_4)
	v_and_b32_e32 v39, exec_lo, v39
	v_xor_b32_e32 v41, s12, v41
	v_cmp_gt_i32_e64 s12, 0, v40
	v_ashrrev_i32_e32 v40, 31, v45
	v_xor_b32_e32 v43, s11, v43
	s_delay_alu instid0(VALU_DEP_4) | instskip(NEXT) | instid1(VALU_DEP_3)
	v_and_b32_e32 v39, v39, v41
	v_xor_b32_e32 v40, s12, v40
	s_delay_alu instid0(VALU_DEP_2) | instskip(NEXT) | instid1(VALU_DEP_1)
	v_and_b32_e32 v39, v39, v43
	v_and_b32_e32 v41, v39, v40
	v_mad_u32_u24 v40, v42, 9, v37
	s_delay_alu instid0(VALU_DEP_2) | instskip(SKIP_1) | instid1(VALU_DEP_3)
	v_mbcnt_lo_u32_b32 v39, v41, 0
	v_cmp_ne_u32_e64 s12, 0, v41
	v_lshl_add_u32 v40, v40, 2, 32
	s_delay_alu instid0(VALU_DEP_3) | instskip(NEXT) | instid1(VALU_DEP_1)
	v_cmp_eq_u32_e64 s11, 0, v39
	s_and_b32 s12, s12, s11
	s_delay_alu instid0(SALU_CYCLE_1)
	s_and_saveexec_b32 s11, s12
	s_cbranch_execz .LBB116_6
; %bb.5:                                ;   in Loop: Header=BB116_4 Depth=2
	v_bcnt_u32_b32 v41, v41, 0
	ds_store_b32 v40, v41
.LBB116_6:                              ;   in Loop: Header=BB116_4 Depth=2
	s_or_b32 exec_lo, exec_lo, s11
	v_lshlrev_b64 v[41:42], s14, v[3:4]
	; wave barrier
	s_delay_alu instid0(VALU_DEP_1) | instskip(SKIP_2) | instid1(VALU_DEP_3)
	v_bfe_u32 v41, v42, 28, 1
	v_lshrrev_b32_e32 v43, 28, v42
	v_and_b32_e32 v42, 0xf0000000, v42
	v_add_co_u32 v41, s11, v41, -1
	s_delay_alu instid0(VALU_DEP_1) | instskip(NEXT) | instid1(VALU_DEP_4)
	v_cndmask_b32_e64 v44, 0, 1, s11
	v_lshlrev_b32_e32 v45, 30, v43
	v_lshlrev_b32_e32 v46, 29, v43
	v_not_b32_e32 v47, v42
	v_mul_u32_u24_e32 v43, 9, v43
	v_cmp_ne_u32_e64 s11, 0, v44
	v_not_b32_e32 v44, v45
	v_cmp_gt_i32_e64 s12, 0, v45
	v_not_b32_e32 v45, v46
	v_add_lshl_u32 v43, v37, v43, 2
	v_xor_b32_e32 v41, s11, v41
	v_ashrrev_i32_e32 v44, 31, v44
	v_cmp_gt_i32_e64 s11, 0, v46
	v_ashrrev_i32_e32 v45, 31, v45
	s_delay_alu instid0(VALU_DEP_4) | instskip(NEXT) | instid1(VALU_DEP_4)
	v_and_b32_e32 v41, exec_lo, v41
	v_xor_b32_e32 v44, s12, v44
	v_cmp_gt_i32_e64 s12, 0, v42
	v_ashrrev_i32_e32 v42, 31, v47
	v_xor_b32_e32 v45, s11, v45
	s_delay_alu instid0(VALU_DEP_4) | instskip(NEXT) | instid1(VALU_DEP_3)
	v_and_b32_e32 v41, v41, v44
	v_xor_b32_e32 v42, s12, v42
	s_delay_alu instid0(VALU_DEP_2) | instskip(SKIP_3) | instid1(VALU_DEP_1)
	v_and_b32_e32 v44, v41, v45
	ds_load_b32 v41, v43 offset:32
	v_add_nc_u32_e32 v43, 32, v43
	; wave barrier
	v_and_b32_e32 v44, v44, v42
	v_mbcnt_lo_u32_b32 v42, v44, 0
	v_cmp_ne_u32_e64 s12, 0, v44
	s_delay_alu instid0(VALU_DEP_2) | instskip(NEXT) | instid1(VALU_DEP_1)
	v_cmp_eq_u32_e64 s11, 0, v42
	s_and_b32 s12, s12, s11
	s_delay_alu instid0(SALU_CYCLE_1)
	s_and_saveexec_b32 s11, s12
	s_cbranch_execz .LBB116_8
; %bb.7:                                ;   in Loop: Header=BB116_4 Depth=2
	s_waitcnt lgkmcnt(0)
	v_bcnt_u32_b32 v44, v44, v41
	ds_store_b32 v43, v44
.LBB116_8:                              ;   in Loop: Header=BB116_4 Depth=2
	s_or_b32 exec_lo, exec_lo, s11
	v_lshlrev_b64 v[44:45], s14, v[5:6]
	; wave barrier
	s_delay_alu instid0(VALU_DEP_1) | instskip(SKIP_2) | instid1(VALU_DEP_3)
	v_bfe_u32 v44, v45, 28, 1
	v_lshrrev_b32_e32 v46, 28, v45
	v_and_b32_e32 v45, 0xf0000000, v45
	v_add_co_u32 v44, s11, v44, -1
	s_delay_alu instid0(VALU_DEP_1) | instskip(NEXT) | instid1(VALU_DEP_4)
	v_cndmask_b32_e64 v47, 0, 1, s11
	v_lshlrev_b32_e32 v48, 30, v46
	v_lshlrev_b32_e32 v49, 29, v46
	v_not_b32_e32 v50, v45
	v_mul_u32_u24_e32 v46, 9, v46
	v_cmp_ne_u32_e64 s11, 0, v47
	v_not_b32_e32 v47, v48
	v_cmp_gt_i32_e64 s12, 0, v48
	v_not_b32_e32 v48, v49
	v_add_lshl_u32 v46, v37, v46, 2
	v_xor_b32_e32 v44, s11, v44
	v_ashrrev_i32_e32 v47, 31, v47
	v_cmp_gt_i32_e64 s11, 0, v49
	v_ashrrev_i32_e32 v48, 31, v48
	s_delay_alu instid0(VALU_DEP_4) | instskip(NEXT) | instid1(VALU_DEP_4)
	v_and_b32_e32 v44, exec_lo, v44
	v_xor_b32_e32 v47, s12, v47
	v_cmp_gt_i32_e64 s12, 0, v45
	v_ashrrev_i32_e32 v45, 31, v50
	v_xor_b32_e32 v48, s11, v48
	s_delay_alu instid0(VALU_DEP_4) | instskip(NEXT) | instid1(VALU_DEP_3)
	v_and_b32_e32 v44, v44, v47
	v_xor_b32_e32 v45, s12, v45
	s_delay_alu instid0(VALU_DEP_2) | instskip(SKIP_3) | instid1(VALU_DEP_1)
	v_and_b32_e32 v47, v44, v48
	ds_load_b32 v44, v46 offset:32
	v_add_nc_u32_e32 v46, 32, v46
	; wave barrier
	v_and_b32_e32 v47, v47, v45
	v_mbcnt_lo_u32_b32 v45, v47, 0
	v_cmp_ne_u32_e64 s12, 0, v47
	s_delay_alu instid0(VALU_DEP_2) | instskip(NEXT) | instid1(VALU_DEP_1)
	v_cmp_eq_u32_e64 s11, 0, v45
	s_and_b32 s12, s12, s11
	s_delay_alu instid0(SALU_CYCLE_1)
	s_and_saveexec_b32 s11, s12
	s_cbranch_execz .LBB116_10
; %bb.9:                                ;   in Loop: Header=BB116_4 Depth=2
	s_waitcnt lgkmcnt(0)
	v_bcnt_u32_b32 v47, v47, v44
	ds_store_b32 v46, v47
.LBB116_10:                             ;   in Loop: Header=BB116_4 Depth=2
	s_or_b32 exec_lo, exec_lo, s11
	v_lshlrev_b64 v[47:48], s14, v[7:8]
	; wave barrier
	s_delay_alu instid0(VALU_DEP_1) | instskip(SKIP_2) | instid1(VALU_DEP_3)
	v_bfe_u32 v47, v48, 28, 1
	v_lshrrev_b32_e32 v49, 28, v48
	v_and_b32_e32 v48, 0xf0000000, v48
	v_add_co_u32 v47, s11, v47, -1
	s_delay_alu instid0(VALU_DEP_1) | instskip(NEXT) | instid1(VALU_DEP_4)
	v_cndmask_b32_e64 v50, 0, 1, s11
	v_lshlrev_b32_e32 v51, 30, v49
	v_lshlrev_b32_e32 v52, 29, v49
	v_not_b32_e32 v53, v48
	v_mul_u32_u24_e32 v49, 9, v49
	v_cmp_ne_u32_e64 s11, 0, v50
	v_not_b32_e32 v50, v51
	v_cmp_gt_i32_e64 s12, 0, v51
	v_not_b32_e32 v51, v52
	v_add_lshl_u32 v49, v37, v49, 2
	v_xor_b32_e32 v47, s11, v47
	v_ashrrev_i32_e32 v50, 31, v50
	v_cmp_gt_i32_e64 s11, 0, v52
	v_ashrrev_i32_e32 v51, 31, v51
	s_delay_alu instid0(VALU_DEP_4) | instskip(NEXT) | instid1(VALU_DEP_4)
	v_and_b32_e32 v47, exec_lo, v47
	v_xor_b32_e32 v50, s12, v50
	v_cmp_gt_i32_e64 s12, 0, v48
	v_ashrrev_i32_e32 v48, 31, v53
	v_xor_b32_e32 v51, s11, v51
	s_delay_alu instid0(VALU_DEP_4) | instskip(NEXT) | instid1(VALU_DEP_3)
	v_and_b32_e32 v47, v47, v50
	v_xor_b32_e32 v48, s12, v48
	s_delay_alu instid0(VALU_DEP_2) | instskip(SKIP_3) | instid1(VALU_DEP_1)
	v_and_b32_e32 v50, v47, v51
	ds_load_b32 v47, v49 offset:32
	v_add_nc_u32_e32 v49, 32, v49
	; wave barrier
	v_and_b32_e32 v50, v50, v48
	v_mbcnt_lo_u32_b32 v48, v50, 0
	v_cmp_ne_u32_e64 s12, 0, v50
	s_delay_alu instid0(VALU_DEP_2) | instskip(NEXT) | instid1(VALU_DEP_1)
	v_cmp_eq_u32_e64 s11, 0, v48
	s_and_b32 s12, s12, s11
	s_delay_alu instid0(SALU_CYCLE_1)
	s_and_saveexec_b32 s11, s12
	s_cbranch_execz .LBB116_12
; %bb.11:                               ;   in Loop: Header=BB116_4 Depth=2
	s_waitcnt lgkmcnt(0)
	v_bcnt_u32_b32 v50, v50, v47
	ds_store_b32 v49, v50
.LBB116_12:                             ;   in Loop: Header=BB116_4 Depth=2
	s_or_b32 exec_lo, exec_lo, s11
	v_lshlrev_b64 v[50:51], s14, v[9:10]
	; wave barrier
	s_delay_alu instid0(VALU_DEP_1) | instskip(SKIP_2) | instid1(VALU_DEP_3)
	v_bfe_u32 v50, v51, 28, 1
	v_lshrrev_b32_e32 v52, 28, v51
	v_and_b32_e32 v51, 0xf0000000, v51
	v_add_co_u32 v50, s11, v50, -1
	s_delay_alu instid0(VALU_DEP_1) | instskip(NEXT) | instid1(VALU_DEP_4)
	v_cndmask_b32_e64 v53, 0, 1, s11
	v_lshlrev_b32_e32 v54, 30, v52
	v_lshlrev_b32_e32 v55, 29, v52
	v_not_b32_e32 v56, v51
	v_mul_u32_u24_e32 v52, 9, v52
	v_cmp_ne_u32_e64 s11, 0, v53
	v_not_b32_e32 v53, v54
	v_cmp_gt_i32_e64 s12, 0, v54
	v_not_b32_e32 v54, v55
	v_add_lshl_u32 v52, v37, v52, 2
	v_xor_b32_e32 v50, s11, v50
	v_ashrrev_i32_e32 v53, 31, v53
	v_cmp_gt_i32_e64 s11, 0, v55
	v_ashrrev_i32_e32 v54, 31, v54
	s_delay_alu instid0(VALU_DEP_4) | instskip(NEXT) | instid1(VALU_DEP_4)
	v_and_b32_e32 v50, exec_lo, v50
	v_xor_b32_e32 v53, s12, v53
	v_cmp_gt_i32_e64 s12, 0, v51
	v_ashrrev_i32_e32 v51, 31, v56
	v_xor_b32_e32 v54, s11, v54
	s_delay_alu instid0(VALU_DEP_4) | instskip(NEXT) | instid1(VALU_DEP_3)
	v_and_b32_e32 v50, v50, v53
	v_xor_b32_e32 v51, s12, v51
	s_delay_alu instid0(VALU_DEP_2) | instskip(SKIP_3) | instid1(VALU_DEP_1)
	v_and_b32_e32 v53, v50, v54
	ds_load_b32 v50, v52 offset:32
	v_add_nc_u32_e32 v52, 32, v52
	; wave barrier
	v_and_b32_e32 v53, v53, v51
	v_mbcnt_lo_u32_b32 v51, v53, 0
	v_cmp_ne_u32_e64 s12, 0, v53
	s_delay_alu instid0(VALU_DEP_2) | instskip(NEXT) | instid1(VALU_DEP_1)
	v_cmp_eq_u32_e64 s11, 0, v51
	s_and_b32 s12, s12, s11
	s_delay_alu instid0(SALU_CYCLE_1)
	s_and_saveexec_b32 s11, s12
	s_cbranch_execz .LBB116_14
; %bb.13:                               ;   in Loop: Header=BB116_4 Depth=2
	s_waitcnt lgkmcnt(0)
	v_bcnt_u32_b32 v53, v53, v50
	ds_store_b32 v52, v53
.LBB116_14:                             ;   in Loop: Header=BB116_4 Depth=2
	;; [unrolled: 51-line block ×13, first 2 shown]
	s_or_b32 exec_lo, exec_lo, s11
	; wave barrier
	s_waitcnt lgkmcnt(0)
	s_barrier
	buffer_gl0_inv
	ds_load_b32 v86, v34 offset:32
	s_waitcnt lgkmcnt(0)
	v_mov_b32_dpp v87, v86 row_shr:1 row_mask:0xf bank_mask:0xf
	s_delay_alu instid0(VALU_DEP_1) | instskip(NEXT) | instid1(VALU_DEP_1)
	v_cndmask_b32_e64 v87, v87, 0, s0
	v_add_nc_u32_e32 v86, v87, v86
	s_delay_alu instid0(VALU_DEP_1) | instskip(NEXT) | instid1(VALU_DEP_1)
	v_mov_b32_dpp v87, v86 row_shr:2 row_mask:0xf bank_mask:0xf
	v_cndmask_b32_e64 v87, 0, v87, s1
	s_delay_alu instid0(VALU_DEP_1) | instskip(NEXT) | instid1(VALU_DEP_1)
	v_add_nc_u32_e32 v86, v86, v87
	v_mov_b32_dpp v87, v86 row_shr:4 row_mask:0xf bank_mask:0xf
	s_delay_alu instid0(VALU_DEP_1) | instskip(NEXT) | instid1(VALU_DEP_1)
	v_cndmask_b32_e64 v87, 0, v87, s2
	v_add_nc_u32_e32 v86, v86, v87
	s_delay_alu instid0(VALU_DEP_1) | instskip(NEXT) | instid1(VALU_DEP_1)
	v_mov_b32_dpp v87, v86 row_shr:8 row_mask:0xf bank_mask:0xf
	v_cndmask_b32_e64 v87, 0, v87, s3
	s_delay_alu instid0(VALU_DEP_1) | instskip(SKIP_3) | instid1(VALU_DEP_1)
	v_add_nc_u32_e32 v86, v86, v87
	ds_swizzle_b32 v87, v86 offset:swizzle(BROADCAST,32,15)
	s_waitcnt lgkmcnt(0)
	v_cndmask_b32_e64 v87, v87, 0, s4
	v_add_nc_u32_e32 v86, v86, v87
	s_and_saveexec_b32 s11, s10
	s_delay_alu instid0(SALU_CYCLE_1)
	s_xor_b32 s11, exec_lo, s11
	s_cbranch_execz .LBB116_38
; %bb.37:                               ;   in Loop: Header=BB116_4 Depth=2
	ds_store_b32 v36, v86
.LBB116_38:                             ;   in Loop: Header=BB116_4 Depth=2
	s_or_b32 exec_lo, exec_lo, s11
	s_waitcnt lgkmcnt(0)
	s_barrier
	buffer_gl0_inv
	s_and_saveexec_b32 s11, s5
	s_cbranch_execz .LBB116_40
; %bb.39:                               ;   in Loop: Header=BB116_4 Depth=2
	ds_load_b32 v87, v34
	s_waitcnt lgkmcnt(0)
	v_mov_b32_dpp v88, v87 row_shr:1 row_mask:0xf bank_mask:0xf
	s_delay_alu instid0(VALU_DEP_1) | instskip(NEXT) | instid1(VALU_DEP_1)
	v_cndmask_b32_e64 v88, v88, 0, s7
	v_add_nc_u32_e32 v87, v88, v87
	s_delay_alu instid0(VALU_DEP_1) | instskip(NEXT) | instid1(VALU_DEP_1)
	v_mov_b32_dpp v88, v87 row_shr:2 row_mask:0xf bank_mask:0xf
	v_cndmask_b32_e64 v88, 0, v88, s8
	s_delay_alu instid0(VALU_DEP_1) | instskip(NEXT) | instid1(VALU_DEP_1)
	v_add_nc_u32_e32 v87, v87, v88
	v_mov_b32_dpp v88, v87 row_shr:4 row_mask:0xf bank_mask:0xf
	s_delay_alu instid0(VALU_DEP_1) | instskip(NEXT) | instid1(VALU_DEP_1)
	v_cndmask_b32_e64 v88, 0, v88, s9
	v_add_nc_u32_e32 v87, v87, v88
	ds_store_b32 v34, v87
.LBB116_40:                             ;   in Loop: Header=BB116_4 Depth=2
	s_or_b32 exec_lo, exec_lo, s11
	v_mov_b32_e32 v87, 0
	s_waitcnt lgkmcnt(0)
	s_barrier
	buffer_gl0_inv
	s_and_saveexec_b32 s11, s6
	s_cbranch_execz .LBB116_3
; %bb.41:                               ;   in Loop: Header=BB116_4 Depth=2
	ds_load_b32 v87, v38
	s_branch .LBB116_3
.LBB116_42:
	ds_load_b32 v1, v85
	ds_load_b32 v2, v82
	;; [unrolled: 1-line block ×16, first 2 shown]
	s_lshl_b64 s[0:1], s[20:21], 2
	v_lshlrev_b32_e32 v0, 2, v0
	s_add_u32 s0, s18, s0
	s_addc_u32 s1, s19, s1
	s_waitcnt lgkmcnt(15)
	v_add3_u32 v4, v84, v83, v1
	s_waitcnt lgkmcnt(14)
	v_add3_u32 v3, v81, v80, v2
	s_waitcnt lgkmcnt(13)
	v_add3_u32 v2, v78, v77, v5
	s_waitcnt lgkmcnt(12)
	v_add3_u32 v1, v75, v74, v6
	s_waitcnt lgkmcnt(11)
	v_add3_u32 v8, v72, v71, v7
	s_waitcnt lgkmcnt(10)
	v_add3_u32 v7, v69, v68, v9
	s_waitcnt lgkmcnt(9)
	v_add3_u32 v6, v66, v65, v10
	s_waitcnt lgkmcnt(8)
	v_add3_u32 v5, v63, v62, v11
	s_waitcnt lgkmcnt(7)
	v_add3_u32 v12, v60, v59, v12
	s_waitcnt lgkmcnt(6)
	v_add3_u32 v11, v57, v56, v13
	s_waitcnt lgkmcnt(5)
	v_add3_u32 v10, v54, v53, v14
	s_waitcnt lgkmcnt(4)
	v_add3_u32 v16, v48, v47, v15
	s_waitcnt lgkmcnt(3)
	v_add3_u32 v15, v45, v44, v17
	s_waitcnt lgkmcnt(2)
	v_add3_u32 v14, v42, v41, v18
	s_waitcnt lgkmcnt(1)
	v_add_nc_u32_e32 v13, v19, v39
	s_waitcnt lgkmcnt(0)
	v_add3_u32 v9, v51, v50, v20
	s_clause 0x3
	global_store_b128 v0, v[13:16], s[0:1]
	global_store_b128 v0, v[9:12], s[0:1] offset:16
	global_store_b128 v0, v[5:8], s[0:1] offset:32
	;; [unrolled: 1-line block ×3, first 2 shown]
	s_nop 0
	s_sendmsg sendmsg(MSG_DEALLOC_VGPRS)
	s_endpgm
	.section	.rodata,"a",@progbits
	.p2align	6, 0x0
	.amdhsa_kernel _Z11rank_kernelIxLj4ELb0EL18RadixRankAlgorithm2ELj256ELj16ELj10EEvPKT_Pi
		.amdhsa_group_segment_fixed_size 1056
		.amdhsa_private_segment_fixed_size 0
		.amdhsa_kernarg_size 272
		.amdhsa_user_sgpr_count 15
		.amdhsa_user_sgpr_dispatch_ptr 0
		.amdhsa_user_sgpr_queue_ptr 0
		.amdhsa_user_sgpr_kernarg_segment_ptr 1
		.amdhsa_user_sgpr_dispatch_id 0
		.amdhsa_user_sgpr_private_segment_size 0
		.amdhsa_wavefront_size32 1
		.amdhsa_uses_dynamic_stack 0
		.amdhsa_enable_private_segment 0
		.amdhsa_system_sgpr_workgroup_id_x 1
		.amdhsa_system_sgpr_workgroup_id_y 0
		.amdhsa_system_sgpr_workgroup_id_z 0
		.amdhsa_system_sgpr_workgroup_info 0
		.amdhsa_system_vgpr_workitem_id 2
		.amdhsa_next_free_vgpr 90
		.amdhsa_next_free_sgpr 22
		.amdhsa_reserve_vcc 1
		.amdhsa_float_round_mode_32 0
		.amdhsa_float_round_mode_16_64 0
		.amdhsa_float_denorm_mode_32 3
		.amdhsa_float_denorm_mode_16_64 3
		.amdhsa_dx10_clamp 1
		.amdhsa_ieee_mode 1
		.amdhsa_fp16_overflow 0
		.amdhsa_workgroup_processor_mode 1
		.amdhsa_memory_ordered 1
		.amdhsa_forward_progress 0
		.amdhsa_shared_vgpr_count 0
		.amdhsa_exception_fp_ieee_invalid_op 0
		.amdhsa_exception_fp_denorm_src 0
		.amdhsa_exception_fp_ieee_div_zero 0
		.amdhsa_exception_fp_ieee_overflow 0
		.amdhsa_exception_fp_ieee_underflow 0
		.amdhsa_exception_fp_ieee_inexact 0
		.amdhsa_exception_int_div_zero 0
	.end_amdhsa_kernel
	.section	.text._Z11rank_kernelIxLj4ELb0EL18RadixRankAlgorithm2ELj256ELj16ELj10EEvPKT_Pi,"axG",@progbits,_Z11rank_kernelIxLj4ELb0EL18RadixRankAlgorithm2ELj256ELj16ELj10EEvPKT_Pi,comdat
.Lfunc_end116:
	.size	_Z11rank_kernelIxLj4ELb0EL18RadixRankAlgorithm2ELj256ELj16ELj10EEvPKT_Pi, .Lfunc_end116-_Z11rank_kernelIxLj4ELb0EL18RadixRankAlgorithm2ELj256ELj16ELj10EEvPKT_Pi
                                        ; -- End function
	.section	.AMDGPU.csdata,"",@progbits
; Kernel info:
; codeLenInByte = 5392
; NumSgprs: 24
; NumVgprs: 90
; ScratchSize: 0
; MemoryBound: 0
; FloatMode: 240
; IeeeMode: 1
; LDSByteSize: 1056 bytes/workgroup (compile time only)
; SGPRBlocks: 2
; VGPRBlocks: 11
; NumSGPRsForWavesPerEU: 24
; NumVGPRsForWavesPerEU: 90
; Occupancy: 16
; WaveLimiterHint : 0
; COMPUTE_PGM_RSRC2:SCRATCH_EN: 0
; COMPUTE_PGM_RSRC2:USER_SGPR: 15
; COMPUTE_PGM_RSRC2:TRAP_HANDLER: 0
; COMPUTE_PGM_RSRC2:TGID_X_EN: 1
; COMPUTE_PGM_RSRC2:TGID_Y_EN: 0
; COMPUTE_PGM_RSRC2:TGID_Z_EN: 0
; COMPUTE_PGM_RSRC2:TIDIG_COMP_CNT: 2
	.section	.text._Z11rank_kernelIxLj4ELb0EL18RadixRankAlgorithm0ELj256ELj32ELj10EEvPKT_Pi,"axG",@progbits,_Z11rank_kernelIxLj4ELb0EL18RadixRankAlgorithm0ELj256ELj32ELj10EEvPKT_Pi,comdat
	.protected	_Z11rank_kernelIxLj4ELb0EL18RadixRankAlgorithm0ELj256ELj32ELj10EEvPKT_Pi ; -- Begin function _Z11rank_kernelIxLj4ELb0EL18RadixRankAlgorithm0ELj256ELj32ELj10EEvPKT_Pi
	.globl	_Z11rank_kernelIxLj4ELb0EL18RadixRankAlgorithm0ELj256ELj32ELj10EEvPKT_Pi
	.p2align	8
	.type	_Z11rank_kernelIxLj4ELb0EL18RadixRankAlgorithm0ELj256ELj32ELj10EEvPKT_Pi,@function
_Z11rank_kernelIxLj4ELb0EL18RadixRankAlgorithm0ELj256ELj32ELj10EEvPKT_Pi: ; @_Z11rank_kernelIxLj4ELb0EL18RadixRankAlgorithm0ELj256ELj32ELj10EEvPKT_Pi
; %bb.0:
	s_load_b128 s[16:19], s[0:1], 0x0
	s_mov_b32 s13, 0
	s_lshl_b32 s12, s15, 13
	v_dual_mov_b32 v66, 0 :: v_dual_lshlrev_b32 v61, 8, v0
	s_lshl_b64 s[0:1], s[12:13], 3
	v_mbcnt_lo_u32_b32 v68, -1, 0
	v_or_b32_e32 v71, 31, v0
	v_lshrrev_b32_e32 v73, 3, v0
	v_lshlrev_b32_e32 v65, 5, v0
	v_cmp_gt_u32_e32 vcc_lo, 8, v0
	v_add_nc_u32_e32 v72, -1, v68
	v_and_b32_e32 v69, 15, v68
	v_and_b32_e32 v70, 16, v68
	v_and_b32_e32 v74, 7, v68
	v_lshlrev_b32_e32 v67, 2, v0
	v_cmp_gt_i32_e64 s8, 0, v72
	v_cmp_eq_u32_e64 s2, 0, v69
	v_cmp_lt_u32_e64 s3, 1, v69
	v_cmp_lt_u32_e64 s4, 3, v69
	s_waitcnt lgkmcnt(0)
	s_add_u32 s0, s16, s0
	s_addc_u32 s1, s17, s1
	v_cmp_lt_u32_e64 s5, 7, v69
	s_clause 0xf
	global_load_b128 v[1:4], v61, s[0:1]
	global_load_b128 v[5:8], v61, s[0:1] offset:16
	global_load_b128 v[9:12], v61, s[0:1] offset:32
	;; [unrolled: 1-line block ×15, first 2 shown]
	v_cndmask_b32_e64 v69, v72, v68, s8
	v_cmp_lt_u32_e64 s0, 31, v0
	v_cmp_eq_u32_e64 s1, 0, v68
	v_cmp_eq_u32_e64 s6, 0, v70
	;; [unrolled: 1-line block ×3, first 2 shown]
	v_and_b32_e32 v68, 28, v73
	v_cmp_eq_u32_e64 s8, 0, v74
	v_cmp_lt_u32_e64 s9, 1, v74
	v_cmp_lt_u32_e64 s10, 3, v74
	v_lshlrev_b32_e32 v69, 2, v69
	v_or_b32_e32 v70, 0xffffff00, v0
	s_mov_b32 s14, s13
	s_waitcnt vmcnt(15)
	v_xor_b32_e32 v2, 0x80000000, v2
	v_xor_b32_e32 v4, 0x80000000, v4
	s_waitcnt vmcnt(14)
	v_xor_b32_e32 v6, 0x80000000, v6
	v_xor_b32_e32 v8, 0x80000000, v8
	;; [unrolled: 3-line block ×16, first 2 shown]
	s_branch .LBB117_2
.LBB117_1:                              ;   in Loop: Header=BB117_2 Depth=1
	s_add_i32 s14, s14, 1
	s_delay_alu instid0(SALU_CYCLE_1)
	s_cmp_eq_u32 s14, 10
	s_cbranch_scc1 .LBB117_12
.LBB117_2:                              ; =>This Loop Header: Depth=1
                                        ;     Child Loop BB117_4 Depth 2
                                        ;       Child Loop BB117_5 Depth 3
	s_mov_b32 s15, 0
	s_branch .LBB117_4
.LBB117_3:                              ;   in Loop: Header=BB117_4 Depth=2
	s_or_b32 exec_lo, exec_lo, s11
	s_waitcnt lgkmcnt(0)
	v_add_nc_u32_e32 v135, v136, v135
	ds_load_b32 v141, v66 offset:8220
	ds_load_2addr_b32 v[137:138], v65 offset1:1
	s_add_i32 s11, s15, 4
	s_cmp_lt_u32 s15, 60
	s_mov_b32 s15, s11
	ds_bpermute_b32 v135, v69, v135
	s_waitcnt lgkmcnt(0)
	v_cndmask_b32_e64 v142, v135, v136, s1
	ds_load_2addr_b32 v[135:136], v65 offset0:2 offset1:3
	ds_load_2addr_b32 v[139:140], v65 offset0:4 offset1:5
	v_lshl_add_u32 v141, v141, 16, v142
	ds_load_b32 v142, v65 offset:24
	v_add_nc_u32_e32 v137, v141, v137
	s_delay_alu instid0(VALU_DEP_1) | instskip(SKIP_1) | instid1(VALU_DEP_1)
	v_add_nc_u32_e32 v138, v138, v137
	s_waitcnt lgkmcnt(2)
	v_add_nc_u32_e32 v135, v135, v138
	s_delay_alu instid0(VALU_DEP_1) | instskip(SKIP_1) | instid1(VALU_DEP_1)
	v_add_nc_u32_e32 v136, v136, v135
	s_waitcnt lgkmcnt(1)
	v_add_nc_u32_e32 v139, v139, v136
	s_delay_alu instid0(VALU_DEP_1) | instskip(SKIP_1) | instid1(VALU_DEP_1)
	v_add_nc_u32_e32 v140, v140, v139
	s_waitcnt lgkmcnt(0)
	v_add_nc_u32_e32 v142, v142, v140
	ds_store_2addr_b32 v65, v141, v137 offset1:1
	ds_store_2addr_b32 v65, v138, v135 offset0:2 offset1:3
	ds_store_2addr_b32 v65, v136, v139 offset0:4 offset1:5
	;; [unrolled: 1-line block ×3, first 2 shown]
	s_waitcnt lgkmcnt(0)
	s_barrier
	buffer_gl0_inv
	s_cbranch_scc0 .LBB117_1
.LBB117_4:                              ;   Parent Loop BB117_2 Depth=1
                                        ; =>  This Loop Header: Depth=2
                                        ;       Child Loop BB117_5 Depth 3
	v_dual_mov_b32 v71, v70 :: v_dual_mov_b32 v72, v67
	s_mov_b32 s16, 0
.LBB117_5:                              ;   Parent Loop BB117_2 Depth=1
                                        ;     Parent Loop BB117_4 Depth=2
                                        ; =>    This Inner Loop Header: Depth=3
	s_delay_alu instid0(VALU_DEP_1) | instskip(SKIP_3) | instid1(VALU_DEP_1)
	v_add_nc_u32_e32 v71, 0x100, v71
	ds_store_b32 v72, v66
	v_add_nc_u32_e32 v72, 0x400, v72
	v_cmp_lt_u32_e64 s11, 0x6ff, v71
	s_or_b32 s16, s11, s16
	s_delay_alu instid0(SALU_CYCLE_1)
	s_and_not1_b32 exec_lo, exec_lo, s16
	s_cbranch_execnz .LBB117_5
; %bb.6:                                ;   in Loop: Header=BB117_4 Depth=2
	s_or_b32 exec_lo, exec_lo, s16
	s_sub_i32 s11, 60, s15
	s_delay_alu instid0(SALU_CYCLE_1)
	v_lshlrev_b64 v[71:72], s11, v[1:2]
	v_lshlrev_b64 v[73:74], s11, v[3:4]
	;; [unrolled: 1-line block ×6, first 2 shown]
	v_lshrrev_b32_e32 v71, 20, v72
	v_lshrrev_b32_e32 v72, 30, v72
	;; [unrolled: 1-line block ×5, first 2 shown]
	v_and_or_b32 v71, 0x700, v71, v0
	v_and_b32_e32 v72, 2, v72
	v_and_or_b32 v73, 0x700, v73, v0
	v_and_b32_e32 v74, 2, v74
	v_and_b32_e32 v76, 2, v76
	v_lshrrev_b32_e32 v78, 30, v79
	v_lshl_or_b32 v71, v71, 2, v72
	v_lshrrev_b32_e32 v80, 30, v81
	v_lshl_or_b32 v73, v73, 2, v74
	v_lshrrev_b32_e32 v74, 20, v77
	v_and_b32_e32 v78, 2, v78
	ds_load_u16 v72, v71
	v_and_b32_e32 v80, 2, v80
	v_lshrrev_b32_e32 v82, 30, v83
	v_and_or_b32 v74, 0x700, v74, v0
	v_lshlrev_b64 v[84:85], s11, v[13:14]
	v_lshlrev_b64 v[94:95], s11, v[25:26]
	;; [unrolled: 1-line block ×3, first 2 shown]
	v_and_b32_e32 v82, 2, v82
	v_lshl_or_b32 v74, v74, 2, v76
	v_lshrrev_b32_e32 v76, 20, v79
	v_lshrrev_b32_e32 v84, 30, v85
	v_lshlrev_b64 v[123:124], s11, v[47:48]
	v_lshlrev_b64 v[125:126], s11, v[49:50]
	;; [unrolled: 1-line block ×3, first 2 shown]
	v_and_or_b32 v76, 0x700, v76, v0
	v_and_b32_e32 v84, 2, v84
	v_lshlrev_b64 v[129:130], s11, v[53:54]
	s_delay_alu instid0(VALU_DEP_3)
	v_lshl_or_b32 v76, v76, 2, v78
	s_waitcnt lgkmcnt(0)
	v_add_nc_u16 v75, v72, 1
	v_lshrrev_b32_e32 v78, 20, v81
	ds_store_b16 v71, v75
	ds_load_u16 v75, v73
	v_and_or_b32 v78, 0x700, v78, v0
	s_delay_alu instid0(VALU_DEP_1) | instskip(SKIP_1) | instid1(VALU_DEP_1)
	v_lshl_or_b32 v78, v78, 2, v80
	v_lshrrev_b32_e32 v80, 20, v83
	v_and_or_b32 v80, 0x700, v80, v0
	s_delay_alu instid0(VALU_DEP_1) | instskip(SKIP_3) | instid1(VALU_DEP_2)
	v_lshl_or_b32 v80, v80, 2, v82
	v_lshrrev_b32_e32 v82, 20, v85
	s_waitcnt lgkmcnt(0)
	v_add_nc_u16 v77, v75, 1
	v_and_or_b32 v82, 0x700, v82, v0
	ds_store_b16 v73, v77
	ds_load_u16 v77, v74
	v_lshl_or_b32 v82, v82, 2, v84
	s_waitcnt lgkmcnt(0)
	v_add_nc_u16 v79, v77, 1
	ds_store_b16 v74, v79
	ds_load_u16 v79, v76
	s_waitcnt lgkmcnt(0)
	v_add_nc_u16 v81, v79, 1
	ds_store_b16 v76, v81
	ds_load_u16 v81, v78
	;; [unrolled: 4-line block ×4, first 2 shown]
	v_lshlrev_b64 v[84:85], s11, v[15:16]
	s_delay_alu instid0(VALU_DEP_1) | instskip(SKIP_1) | instid1(VALU_DEP_2)
	v_lshrrev_b32_e32 v84, 20, v85
	v_lshrrev_b32_e32 v85, 30, v85
	v_and_or_b32 v84, 0x700, v84, v0
	s_delay_alu instid0(VALU_DEP_2) | instskip(NEXT) | instid1(VALU_DEP_1)
	v_and_b32_e32 v85, 2, v85
	v_lshl_or_b32 v84, v84, 2, v85
	s_waitcnt lgkmcnt(0)
	v_add_nc_u16 v86, v87, 1
	ds_store_b16 v82, v86
	ds_load_u16 v91, v84
	v_lshlrev_b64 v[85:86], s11, v[17:18]
	s_delay_alu instid0(VALU_DEP_1) | instskip(SKIP_1) | instid1(VALU_DEP_2)
	v_lshrrev_b32_e32 v85, 20, v86
	v_lshrrev_b32_e32 v86, 30, v86
	v_and_or_b32 v85, 0x700, v85, v0
	s_delay_alu instid0(VALU_DEP_2) | instskip(NEXT) | instid1(VALU_DEP_1)
	v_and_b32_e32 v86, 2, v86
	v_lshl_or_b32 v85, v85, 2, v86
	s_waitcnt lgkmcnt(0)
	v_add_nc_u16 v88, v91, 1
	ds_store_b16 v84, v88
	ds_load_u16 v93, v85
	;; [unrolled: 12-line block ×4, first 2 shown]
	v_lshlrev_b64 v[89:90], s11, v[23:24]
	s_delay_alu instid0(VALU_DEP_1) | instskip(SKIP_1) | instid1(VALU_DEP_2)
	v_lshrrev_b32_e32 v89, 20, v90
	v_lshrrev_b32_e32 v90, 30, v90
	v_and_or_b32 v89, 0x700, v89, v0
	s_delay_alu instid0(VALU_DEP_2) | instskip(NEXT) | instid1(VALU_DEP_1)
	v_and_b32_e32 v90, 2, v90
	v_lshl_or_b32 v89, v89, 2, v90
	v_lshrrev_b32_e32 v90, 20, v95
	s_waitcnt lgkmcnt(0)
	v_add_nc_u16 v92, v99, 1
	s_delay_alu instid0(VALU_DEP_2) | instskip(SKIP_3) | instid1(VALU_DEP_1)
	v_and_or_b32 v90, 0x700, v90, v0
	ds_store_b16 v88, v92
	ds_load_u16 v101, v89
	v_lshrrev_b32_e32 v92, 30, v95
	v_and_b32_e32 v92, 2, v92
	s_delay_alu instid0(VALU_DEP_1)
	v_lshl_or_b32 v90, v90, 2, v92
	s_waitcnt lgkmcnt(0)
	v_add_nc_u16 v94, v101, 1
	ds_store_b16 v89, v94
	ds_load_u16 v103, v90
	v_lshlrev_b64 v[94:95], s11, v[27:28]
	s_delay_alu instid0(VALU_DEP_1) | instskip(SKIP_1) | instid1(VALU_DEP_2)
	v_lshrrev_b32_e32 v92, 20, v95
	v_lshrrev_b32_e32 v94, 30, v95
	v_and_or_b32 v92, 0x700, v92, v0
	s_delay_alu instid0(VALU_DEP_2) | instskip(NEXT) | instid1(VALU_DEP_1)
	v_and_b32_e32 v94, 2, v94
	v_lshl_or_b32 v92, v92, 2, v94
	s_waitcnt lgkmcnt(0)
	v_add_nc_u16 v95, v103, 1
	ds_store_b16 v90, v95
	ds_load_u16 v105, v92
	v_lshlrev_b64 v[94:95], s11, v[29:30]
	s_delay_alu instid0(VALU_DEP_1) | instskip(SKIP_1) | instid1(VALU_DEP_2)
	v_lshrrev_b32_e32 v94, 20, v95
	v_lshrrev_b32_e32 v95, 30, v95
	v_and_or_b32 v94, 0x700, v94, v0
	s_delay_alu instid0(VALU_DEP_2) | instskip(NEXT) | instid1(VALU_DEP_1)
	v_and_b32_e32 v95, 2, v95
	v_lshl_or_b32 v94, v94, 2, v95
	s_waitcnt lgkmcnt(0)
	v_add_nc_u16 v97, v105, 1
	ds_store_b16 v92, v97
	ds_load_u16 v106, v94
	v_lshlrev_b64 v[97:98], s11, v[31:32]
	s_delay_alu instid0(VALU_DEP_1) | instskip(SKIP_1) | instid1(VALU_DEP_2)
	v_lshrrev_b32_e32 v95, 20, v98
	v_lshrrev_b32_e32 v97, 30, v98
	v_and_or_b32 v95, 0x700, v95, v0
	s_delay_alu instid0(VALU_DEP_2) | instskip(NEXT) | instid1(VALU_DEP_1)
	v_and_b32_e32 v97, 2, v97
	v_lshl_or_b32 v97, v95, 2, v97
	v_lshrrev_b32_e32 v95, 20, v110
	s_waitcnt lgkmcnt(0)
	v_add_nc_u16 v98, v106, 1
	s_delay_alu instid0(VALU_DEP_2) | instskip(SKIP_4) | instid1(VALU_DEP_2)
	v_and_or_b32 v95, 0x700, v95, v0
	ds_store_b16 v94, v98
	ds_load_u16 v108, v97
	v_lshrrev_b32_e32 v98, 30, v110
	v_lshlrev_b64 v[109:110], s11, v[35:36]
	v_and_b32_e32 v98, 2, v98
	s_delay_alu instid0(VALU_DEP_1) | instskip(NEXT) | instid1(VALU_DEP_3)
	v_lshl_or_b32 v95, v95, 2, v98
	v_lshrrev_b32_e32 v98, 20, v110
	s_delay_alu instid0(VALU_DEP_1)
	v_and_or_b32 v98, 0x700, v98, v0
	s_waitcnt lgkmcnt(0)
	v_add_nc_u16 v100, v108, 1
	ds_store_b16 v97, v100
	ds_load_u16 v111, v95
	v_lshrrev_b32_e32 v100, 30, v110
	v_lshlrev_b64 v[109:110], s11, v[37:38]
	s_delay_alu instid0(VALU_DEP_2) | instskip(NEXT) | instid1(VALU_DEP_1)
	v_and_b32_e32 v100, 2, v100
	v_lshl_or_b32 v98, v98, 2, v100
	s_delay_alu instid0(VALU_DEP_3) | instskip(NEXT) | instid1(VALU_DEP_1)
	v_lshrrev_b32_e32 v100, 20, v110
	v_and_or_b32 v100, 0x700, v100, v0
	s_waitcnt lgkmcnt(0)
	v_add_nc_u16 v102, v111, 1
	ds_store_b16 v95, v102
	ds_load_u16 v113, v98
	v_lshrrev_b32_e32 v102, 30, v110
	v_lshlrev_b64 v[109:110], s11, v[39:40]
	s_delay_alu instid0(VALU_DEP_2) | instskip(NEXT) | instid1(VALU_DEP_1)
	v_and_b32_e32 v102, 2, v102
	v_lshl_or_b32 v100, v100, 2, v102
	s_delay_alu instid0(VALU_DEP_3) | instskip(NEXT) | instid1(VALU_DEP_1)
	v_lshrrev_b32_e32 v102, 20, v110
	;; [unrolled: 12-line block ×3, first 2 shown]
	v_and_or_b32 v104, 0x700, v104, v0
	s_waitcnt lgkmcnt(0)
	v_add_nc_u16 v107, v115, 1
	ds_store_b16 v100, v107
	ds_load_u16 v117, v102
	v_lshrrev_b32_e32 v107, 30, v110
	s_delay_alu instid0(VALU_DEP_1) | instskip(NEXT) | instid1(VALU_DEP_1)
	v_and_b32_e32 v107, 2, v107
	v_lshl_or_b32 v104, v104, 2, v107
	s_waitcnt lgkmcnt(0)
	v_add_nc_u16 v109, v117, 1
	ds_store_b16 v102, v109
	ds_load_u16 v119, v104
	v_lshlrev_b64 v[109:110], s11, v[43:44]
	s_delay_alu instid0(VALU_DEP_1) | instskip(SKIP_1) | instid1(VALU_DEP_2)
	v_lshrrev_b32_e32 v107, 20, v110
	v_lshrrev_b32_e32 v109, 30, v110
	v_and_or_b32 v107, 0x700, v107, v0
	s_delay_alu instid0(VALU_DEP_2) | instskip(NEXT) | instid1(VALU_DEP_1)
	v_and_b32_e32 v109, 2, v109
	v_lshl_or_b32 v107, v107, 2, v109
	s_waitcnt lgkmcnt(0)
	v_add_nc_u16 v110, v119, 1
	ds_store_b16 v104, v110
	ds_load_u16 v121, v107
	v_lshlrev_b64 v[109:110], s11, v[45:46]
	s_delay_alu instid0(VALU_DEP_1) | instskip(SKIP_1) | instid1(VALU_DEP_2)
	v_lshrrev_b32_e32 v109, 20, v110
	v_lshrrev_b32_e32 v110, 30, v110
	v_and_or_b32 v109, 0x700, v109, v0
	s_delay_alu instid0(VALU_DEP_2) | instskip(NEXT) | instid1(VALU_DEP_1)
	v_and_b32_e32 v110, 2, v110
	v_lshl_or_b32 v109, v109, 2, v110
	v_lshrrev_b32_e32 v110, 20, v124
	s_waitcnt lgkmcnt(0)
	v_add_nc_u16 v112, v121, 1
	s_delay_alu instid0(VALU_DEP_2) | instskip(SKIP_3) | instid1(VALU_DEP_1)
	v_and_or_b32 v110, 0x700, v110, v0
	ds_store_b16 v107, v112
	ds_load_u16 v122, v109
	v_lshrrev_b32_e32 v112, 30, v124
	v_and_b32_e32 v112, 2, v112
	s_delay_alu instid0(VALU_DEP_1) | instskip(SKIP_1) | instid1(VALU_DEP_1)
	v_lshl_or_b32 v112, v110, 2, v112
	v_lshrrev_b32_e32 v110, 20, v126
	v_and_or_b32 v110, 0x700, v110, v0
	s_waitcnt lgkmcnt(0)
	v_add_nc_u16 v114, v122, 1
	ds_store_b16 v109, v114
	ds_load_u16 v124, v112
	v_lshrrev_b32_e32 v114, 30, v126
	s_delay_alu instid0(VALU_DEP_1) | instskip(NEXT) | instid1(VALU_DEP_1)
	v_and_b32_e32 v114, 2, v114
	v_lshl_or_b32 v110, v110, 2, v114
	v_lshrrev_b32_e32 v114, 20, v128
	s_delay_alu instid0(VALU_DEP_1)
	v_and_or_b32 v114, 0x700, v114, v0
	s_waitcnt lgkmcnt(0)
	v_add_nc_u16 v116, v124, 1
	ds_store_b16 v112, v116
	ds_load_u16 v126, v110
	v_lshrrev_b32_e32 v116, 30, v128
	s_delay_alu instid0(VALU_DEP_1) | instskip(NEXT) | instid1(VALU_DEP_1)
	v_and_b32_e32 v116, 2, v116
	v_lshl_or_b32 v114, v114, 2, v116
	v_lshrrev_b32_e32 v116, 20, v130
	s_delay_alu instid0(VALU_DEP_1)
	v_and_or_b32 v116, 0x700, v116, v0
	s_waitcnt lgkmcnt(0)
	v_add_nc_u16 v118, v126, 1
	ds_store_b16 v110, v118
	ds_load_u16 v128, v114
	v_lshrrev_b32_e32 v118, 30, v130
	v_lshlrev_b64 v[130:131], s11, v[55:56]
	s_delay_alu instid0(VALU_DEP_2) | instskip(NEXT) | instid1(VALU_DEP_1)
	v_and_b32_e32 v118, 2, v118
	v_lshl_or_b32 v116, v116, 2, v118
	s_delay_alu instid0(VALU_DEP_3) | instskip(NEXT) | instid1(VALU_DEP_1)
	v_lshrrev_b32_e32 v118, 20, v131
	v_and_or_b32 v118, 0x700, v118, v0
	s_waitcnt lgkmcnt(0)
	v_add_nc_u16 v120, v128, 1
	ds_store_b16 v114, v120
	ds_load_u16 v129, v116
	v_lshrrev_b32_e32 v120, 30, v131
	v_lshlrev_b64 v[131:132], s11, v[57:58]
	s_delay_alu instid0(VALU_DEP_2) | instskip(NEXT) | instid1(VALU_DEP_1)
	v_and_b32_e32 v120, 2, v120
	v_lshl_or_b32 v118, v118, 2, v120
	s_delay_alu instid0(VALU_DEP_3) | instskip(NEXT) | instid1(VALU_DEP_1)
	v_lshrrev_b32_e32 v120, 20, v132
	;; [unrolled: 12-line block ×4, first 2 shown]
	v_and_or_b32 v125, 0x700, v125, v0
	s_waitcnt lgkmcnt(0)
	v_add_nc_u16 v127, v131, 1
	ds_store_b16 v120, v127
	ds_load_u16 v132, v123
	v_lshrrev_b32_e32 v127, 30, v134
	v_lshlrev_b64 v[134:135], s11, v[63:64]
	s_delay_alu instid0(VALU_DEP_2) | instskip(NEXT) | instid1(VALU_DEP_2)
	v_and_b32_e32 v127, 2, v127
	v_lshrrev_b32_e32 v134, 30, v135
	s_delay_alu instid0(VALU_DEP_2) | instskip(SKIP_1) | instid1(VALU_DEP_3)
	v_lshl_or_b32 v125, v125, 2, v127
	v_lshrrev_b32_e32 v127, 20, v135
	v_and_b32_e32 v134, 2, v134
	s_delay_alu instid0(VALU_DEP_2) | instskip(SKIP_2) | instid1(VALU_DEP_2)
	v_and_or_b32 v127, 0x700, v127, v0
	s_waitcnt lgkmcnt(0)
	v_add_nc_u16 v133, v132, 1
	v_lshl_or_b32 v127, v127, 2, v134
	ds_store_b16 v123, v133
	ds_load_u16 v133, v125
	s_waitcnt lgkmcnt(0)
	v_add_nc_u16 v135, v133, 1
	ds_store_b16 v125, v135
	ds_load_u16 v134, v127
	s_waitcnt lgkmcnt(0)
	v_add_nc_u16 v135, v134, 1
	ds_store_b16 v127, v135
	s_waitcnt lgkmcnt(0)
	s_barrier
	buffer_gl0_inv
	ds_load_2addr_b32 v[135:136], v65 offset1:1
	ds_load_2addr_b32 v[137:138], v65 offset0:2 offset1:3
	ds_load_2addr_b32 v[139:140], v65 offset0:4 offset1:5
	;; [unrolled: 1-line block ×3, first 2 shown]
	s_waitcnt lgkmcnt(3)
	v_add_nc_u32_e32 v135, v136, v135
	s_waitcnt lgkmcnt(2)
	s_delay_alu instid0(VALU_DEP_1) | instskip(SKIP_1) | instid1(VALU_DEP_1)
	v_add3_u32 v135, v135, v137, v138
	s_waitcnt lgkmcnt(1)
	v_add3_u32 v135, v135, v139, v140
	s_waitcnt lgkmcnt(0)
	s_delay_alu instid0(VALU_DEP_1) | instskip(NEXT) | instid1(VALU_DEP_1)
	v_add3_u32 v135, v135, v141, v142
	v_mov_b32_dpp v136, v135 row_shr:1 row_mask:0xf bank_mask:0xf
	s_delay_alu instid0(VALU_DEP_1) | instskip(NEXT) | instid1(VALU_DEP_1)
	v_cndmask_b32_e64 v136, v136, 0, s2
	v_add_nc_u32_e32 v135, v136, v135
	s_delay_alu instid0(VALU_DEP_1) | instskip(NEXT) | instid1(VALU_DEP_1)
	v_mov_b32_dpp v136, v135 row_shr:2 row_mask:0xf bank_mask:0xf
	v_cndmask_b32_e64 v136, 0, v136, s3
	s_delay_alu instid0(VALU_DEP_1) | instskip(NEXT) | instid1(VALU_DEP_1)
	v_add_nc_u32_e32 v135, v135, v136
	v_mov_b32_dpp v136, v135 row_shr:4 row_mask:0xf bank_mask:0xf
	s_delay_alu instid0(VALU_DEP_1) | instskip(NEXT) | instid1(VALU_DEP_1)
	v_cndmask_b32_e64 v136, 0, v136, s4
	v_add_nc_u32_e32 v135, v135, v136
	s_delay_alu instid0(VALU_DEP_1) | instskip(NEXT) | instid1(VALU_DEP_1)
	v_mov_b32_dpp v136, v135 row_shr:8 row_mask:0xf bank_mask:0xf
	v_cndmask_b32_e64 v136, 0, v136, s5
	s_delay_alu instid0(VALU_DEP_1) | instskip(SKIP_3) | instid1(VALU_DEP_1)
	v_add_nc_u32_e32 v135, v135, v136
	ds_swizzle_b32 v136, v135 offset:swizzle(BROADCAST,32,15)
	s_waitcnt lgkmcnt(0)
	v_cndmask_b32_e64 v136, v136, 0, s6
	v_add_nc_u32_e32 v135, v135, v136
	s_and_saveexec_b32 s11, s7
	s_cbranch_execz .LBB117_8
; %bb.7:                                ;   in Loop: Header=BB117_4 Depth=2
	ds_store_b32 v68, v135 offset:8192
.LBB117_8:                              ;   in Loop: Header=BB117_4 Depth=2
	s_or_b32 exec_lo, exec_lo, s11
	s_waitcnt lgkmcnt(0)
	s_barrier
	buffer_gl0_inv
	s_and_saveexec_b32 s11, vcc_lo
	s_cbranch_execz .LBB117_10
; %bb.9:                                ;   in Loop: Header=BB117_4 Depth=2
	ds_load_b32 v136, v67 offset:8192
	s_waitcnt lgkmcnt(0)
	v_mov_b32_dpp v137, v136 row_shr:1 row_mask:0xf bank_mask:0xf
	s_delay_alu instid0(VALU_DEP_1) | instskip(NEXT) | instid1(VALU_DEP_1)
	v_cndmask_b32_e64 v137, v137, 0, s8
	v_add_nc_u32_e32 v136, v137, v136
	s_delay_alu instid0(VALU_DEP_1) | instskip(NEXT) | instid1(VALU_DEP_1)
	v_mov_b32_dpp v137, v136 row_shr:2 row_mask:0xf bank_mask:0xf
	v_cndmask_b32_e64 v137, 0, v137, s9
	s_delay_alu instid0(VALU_DEP_1) | instskip(NEXT) | instid1(VALU_DEP_1)
	v_add_nc_u32_e32 v136, v136, v137
	v_mov_b32_dpp v137, v136 row_shr:4 row_mask:0xf bank_mask:0xf
	s_delay_alu instid0(VALU_DEP_1) | instskip(NEXT) | instid1(VALU_DEP_1)
	v_cndmask_b32_e64 v137, 0, v137, s10
	v_add_nc_u32_e32 v136, v136, v137
	ds_store_b32 v67, v136 offset:8192
.LBB117_10:                             ;   in Loop: Header=BB117_4 Depth=2
	s_or_b32 exec_lo, exec_lo, s11
	v_mov_b32_e32 v136, 0
	s_waitcnt lgkmcnt(0)
	s_barrier
	buffer_gl0_inv
	s_and_saveexec_b32 s11, s0
	s_cbranch_execz .LBB117_3
; %bb.11:                               ;   in Loop: Header=BB117_4 Depth=2
	ds_load_b32 v136, v68 offset:8188
	s_branch .LBB117_3
.LBB117_12:
	ds_load_u16 v32, v84
	ds_load_u16 v33, v82
	;; [unrolled: 1-line block ×32, first 2 shown]
	v_and_b32_e32 v0, 0xffff, v72
	v_and_b32_e32 v1, 0xffff, v75
	;; [unrolled: 1-line block ×32, first 2 shown]
	s_waitcnt lgkmcnt(24)
	v_add_nc_u32_e32 v0, v39, v0
	v_add_nc_u32_e32 v1, v38, v1
	;; [unrolled: 1-line block ×5, first 2 shown]
	s_lshl_b64 s[0:1], s[12:13], 2
	v_lshlrev_b32_e32 v32, 2, v65
	v_add_nc_u32_e32 v4, v35, v4
	v_add_nc_u32_e32 v5, v34, v5
	;; [unrolled: 1-line block ×3, first 2 shown]
	s_waitcnt lgkmcnt(16)
	v_add_nc_u32_e32 v8, v47, v8
	v_add_nc_u32_e32 v9, v46, v9
	;; [unrolled: 1-line block ×4, first 2 shown]
	s_add_u32 s0, s18, s0
	v_add_nc_u32_e32 v12, v43, v12
	v_add_nc_u32_e32 v13, v42, v13
	;; [unrolled: 1-line block ×4, first 2 shown]
	s_addc_u32 s1, s19, s1
	s_waitcnt lgkmcnt(8)
	v_add_nc_u32_e32 v16, v55, v16
	v_add_nc_u32_e32 v17, v54, v17
	v_add_nc_u32_e32 v18, v53, v18
	v_add_nc_u32_e32 v19, v52, v19
	v_add_nc_u32_e32 v20, v51, v20
	v_add_nc_u32_e32 v21, v50, v21
	v_add_nc_u32_e32 v22, v49, v22
	v_add_nc_u32_e32 v23, v48, v23
	s_waitcnt lgkmcnt(0)
	v_add_nc_u32_e32 v24, v63, v24
	v_add_nc_u32_e32 v25, v62, v25
	v_add_nc_u32_e32 v26, v61, v26
	v_add_nc_u32_e32 v27, v60, v27
	v_add_nc_u32_e32 v28, v59, v28
	v_add_nc_u32_e32 v29, v58, v29
	v_add_nc_u32_e32 v30, v57, v30
	v_add_nc_u32_e32 v31, v56, v31
	s_clause 0x7
	global_store_b128 v32, v[0:3], s[0:1]
	global_store_b128 v32, v[4:7], s[0:1] offset:16
	global_store_b128 v32, v[8:11], s[0:1] offset:32
	;; [unrolled: 1-line block ×7, first 2 shown]
	s_nop 0
	s_sendmsg sendmsg(MSG_DEALLOC_VGPRS)
	s_endpgm
	.section	.rodata,"a",@progbits
	.p2align	6, 0x0
	.amdhsa_kernel _Z11rank_kernelIxLj4ELb0EL18RadixRankAlgorithm0ELj256ELj32ELj10EEvPKT_Pi
		.amdhsa_group_segment_fixed_size 8224
		.amdhsa_private_segment_fixed_size 0
		.amdhsa_kernarg_size 16
		.amdhsa_user_sgpr_count 15
		.amdhsa_user_sgpr_dispatch_ptr 0
		.amdhsa_user_sgpr_queue_ptr 0
		.amdhsa_user_sgpr_kernarg_segment_ptr 1
		.amdhsa_user_sgpr_dispatch_id 0
		.amdhsa_user_sgpr_private_segment_size 0
		.amdhsa_wavefront_size32 1
		.amdhsa_uses_dynamic_stack 0
		.amdhsa_enable_private_segment 0
		.amdhsa_system_sgpr_workgroup_id_x 1
		.amdhsa_system_sgpr_workgroup_id_y 0
		.amdhsa_system_sgpr_workgroup_id_z 0
		.amdhsa_system_sgpr_workgroup_info 0
		.amdhsa_system_vgpr_workitem_id 0
		.amdhsa_next_free_vgpr 143
		.amdhsa_next_free_sgpr 20
		.amdhsa_reserve_vcc 1
		.amdhsa_float_round_mode_32 0
		.amdhsa_float_round_mode_16_64 0
		.amdhsa_float_denorm_mode_32 3
		.amdhsa_float_denorm_mode_16_64 3
		.amdhsa_dx10_clamp 1
		.amdhsa_ieee_mode 1
		.amdhsa_fp16_overflow 0
		.amdhsa_workgroup_processor_mode 1
		.amdhsa_memory_ordered 1
		.amdhsa_forward_progress 0
		.amdhsa_shared_vgpr_count 0
		.amdhsa_exception_fp_ieee_invalid_op 0
		.amdhsa_exception_fp_denorm_src 0
		.amdhsa_exception_fp_ieee_div_zero 0
		.amdhsa_exception_fp_ieee_overflow 0
		.amdhsa_exception_fp_ieee_underflow 0
		.amdhsa_exception_fp_ieee_inexact 0
		.amdhsa_exception_int_div_zero 0
	.end_amdhsa_kernel
	.section	.text._Z11rank_kernelIxLj4ELb0EL18RadixRankAlgorithm0ELj256ELj32ELj10EEvPKT_Pi,"axG",@progbits,_Z11rank_kernelIxLj4ELb0EL18RadixRankAlgorithm0ELj256ELj32ELj10EEvPKT_Pi,comdat
.Lfunc_end117:
	.size	_Z11rank_kernelIxLj4ELb0EL18RadixRankAlgorithm0ELj256ELj32ELj10EEvPKT_Pi, .Lfunc_end117-_Z11rank_kernelIxLj4ELb0EL18RadixRankAlgorithm0ELj256ELj32ELj10EEvPKT_Pi
                                        ; -- End function
	.section	.AMDGPU.csdata,"",@progbits
; Kernel info:
; codeLenInByte = 4512
; NumSgprs: 22
; NumVgprs: 143
; ScratchSize: 0
; MemoryBound: 1
; FloatMode: 240
; IeeeMode: 1
; LDSByteSize: 8224 bytes/workgroup (compile time only)
; SGPRBlocks: 2
; VGPRBlocks: 17
; NumSGPRsForWavesPerEU: 22
; NumVGPRsForWavesPerEU: 143
; Occupancy: 10
; WaveLimiterHint : 0
; COMPUTE_PGM_RSRC2:SCRATCH_EN: 0
; COMPUTE_PGM_RSRC2:USER_SGPR: 15
; COMPUTE_PGM_RSRC2:TRAP_HANDLER: 0
; COMPUTE_PGM_RSRC2:TGID_X_EN: 1
; COMPUTE_PGM_RSRC2:TGID_Y_EN: 0
; COMPUTE_PGM_RSRC2:TGID_Z_EN: 0
; COMPUTE_PGM_RSRC2:TIDIG_COMP_CNT: 0
	.section	.text._Z11rank_kernelIxLj4ELb0EL18RadixRankAlgorithm1ELj256ELj32ELj10EEvPKT_Pi,"axG",@progbits,_Z11rank_kernelIxLj4ELb0EL18RadixRankAlgorithm1ELj256ELj32ELj10EEvPKT_Pi,comdat
	.protected	_Z11rank_kernelIxLj4ELb0EL18RadixRankAlgorithm1ELj256ELj32ELj10EEvPKT_Pi ; -- Begin function _Z11rank_kernelIxLj4ELb0EL18RadixRankAlgorithm1ELj256ELj32ELj10EEvPKT_Pi
	.globl	_Z11rank_kernelIxLj4ELb0EL18RadixRankAlgorithm1ELj256ELj32ELj10EEvPKT_Pi
	.p2align	8
	.type	_Z11rank_kernelIxLj4ELb0EL18RadixRankAlgorithm1ELj256ELj32ELj10EEvPKT_Pi,@function
_Z11rank_kernelIxLj4ELb0EL18RadixRankAlgorithm1ELj256ELj32ELj10EEvPKT_Pi: ; @_Z11rank_kernelIxLj4ELb0EL18RadixRankAlgorithm1ELj256ELj32ELj10EEvPKT_Pi
; %bb.0:
	s_load_b128 s[16:19], s[0:1], 0x0
	s_mov_b32 s13, 0
	s_lshl_b32 s12, s15, 13
	v_dual_mov_b32 v74, 0 :: v_dual_lshlrev_b32 v61, 8, v0
	s_lshl_b64 s[0:1], s[12:13], 3
	v_mbcnt_lo_u32_b32 v65, -1, 0
	v_or_b32_e32 v68, 31, v0
	v_lshrrev_b32_e32 v70, 3, v0
	v_lshlrev_b32_e32 v73, 5, v0
	v_cmp_gt_u32_e32 vcc_lo, 8, v0
	v_add_nc_u32_e32 v69, -1, v65
	v_and_b32_e32 v66, 15, v65
	v_and_b32_e32 v67, 16, v65
	;; [unrolled: 1-line block ×3, first 2 shown]
	v_lshlrev_b32_e32 v75, 2, v0
	v_cmp_gt_i32_e64 s8, 0, v69
	v_cmp_eq_u32_e64 s2, 0, v66
	v_cmp_lt_u32_e64 s3, 1, v66
	v_cmp_lt_u32_e64 s4, 3, v66
	s_waitcnt lgkmcnt(0)
	s_add_u32 s0, s16, s0
	s_addc_u32 s1, s17, s1
	v_cmp_lt_u32_e64 s5, 7, v66
	s_clause 0xf
	global_load_b128 v[1:4], v61, s[0:1]
	global_load_b128 v[5:8], v61, s[0:1] offset:16
	global_load_b128 v[9:12], v61, s[0:1] offset:32
	;; [unrolled: 1-line block ×15, first 2 shown]
	v_cmp_eq_u32_e64 s1, 0, v65
	v_cndmask_b32_e64 v65, v69, v65, s8
	v_cmp_lt_u32_e64 s0, 31, v0
	v_cmp_eq_u32_e64 s6, 0, v67
	v_cmp_eq_u32_e64 s7, v68, v0
	v_and_b32_e32 v76, 28, v70
	v_cmp_eq_u32_e64 s8, 0, v71
	v_cmp_lt_u32_e64 s9, 1, v71
	v_cmp_lt_u32_e64 s10, 3, v71
	v_lshlrev_b32_e32 v77, 2, v65
	v_or_b32_e32 v78, 0xffffff00, v0
	s_mov_b32 s14, s13
	s_waitcnt vmcnt(15)
	v_xor_b32_e32 v2, 0x80000000, v2
	v_xor_b32_e32 v4, 0x80000000, v4
	s_waitcnt vmcnt(14)
	v_xor_b32_e32 v6, 0x80000000, v6
	v_xor_b32_e32 v8, 0x80000000, v8
	;; [unrolled: 3-line block ×16, first 2 shown]
	s_branch .LBB118_2
.LBB118_1:                              ;   in Loop: Header=BB118_2 Depth=1
	s_add_i32 s14, s14, 1
	s_delay_alu instid0(SALU_CYCLE_1)
	s_cmp_eq_u32 s14, 10
	s_cbranch_scc1 .LBB118_12
.LBB118_2:                              ; =>This Loop Header: Depth=1
                                        ;     Child Loop BB118_4 Depth 2
                                        ;       Child Loop BB118_5 Depth 3
	s_mov_b32 s15, 0
	s_branch .LBB118_4
.LBB118_3:                              ;   in Loop: Header=BB118_4 Depth=2
	s_or_b32 exec_lo, exec_lo, s11
	s_waitcnt lgkmcnt(0)
	v_add_nc_u32_e32 v66, v143, v66
	ds_load_b32 v144, v74 offset:8220
	s_add_i32 s11, s15, 4
	s_cmp_lt_u32 s15, 60
	s_mov_b32 s15, s11
	ds_bpermute_b32 v66, v77, v66
	s_waitcnt lgkmcnt(0)
	v_cndmask_b32_e64 v66, v66, v143, s1
	s_delay_alu instid0(VALU_DEP_1) | instskip(NEXT) | instid1(VALU_DEP_1)
	v_lshl_add_u32 v66, v144, 16, v66
	v_add_nc_u32_e32 v67, v66, v67
	s_delay_alu instid0(VALU_DEP_1) | instskip(NEXT) | instid1(VALU_DEP_1)
	v_add_nc_u32_e32 v68, v67, v68
	v_add_nc_u32_e32 v69, v68, v69
	s_delay_alu instid0(VALU_DEP_1) | instskip(NEXT) | instid1(VALU_DEP_1)
	v_add_nc_u32_e32 v70, v69, v70
	;; [unrolled: 3-line block ×3, first 2 shown]
	v_add_nc_u32_e32 v65, v72, v65
	ds_store_2addr_b32 v73, v66, v67 offset1:1
	ds_store_2addr_b32 v73, v68, v69 offset0:2 offset1:3
	ds_store_2addr_b32 v73, v70, v71 offset0:4 offset1:5
	;; [unrolled: 1-line block ×3, first 2 shown]
	s_waitcnt lgkmcnt(0)
	s_barrier
	buffer_gl0_inv
	s_cbranch_scc0 .LBB118_1
.LBB118_4:                              ;   Parent Loop BB118_2 Depth=1
                                        ; =>  This Loop Header: Depth=2
                                        ;       Child Loop BB118_5 Depth 3
	v_dual_mov_b32 v65, v78 :: v_dual_mov_b32 v66, v75
	s_mov_b32 s16, 0
.LBB118_5:                              ;   Parent Loop BB118_2 Depth=1
                                        ;     Parent Loop BB118_4 Depth=2
                                        ; =>    This Inner Loop Header: Depth=3
	s_delay_alu instid0(VALU_DEP_1) | instskip(SKIP_3) | instid1(VALU_DEP_1)
	v_add_nc_u32_e32 v65, 0x100, v65
	ds_store_b32 v66, v74
	v_add_nc_u32_e32 v66, 0x400, v66
	v_cmp_lt_u32_e64 s11, 0x6ff, v65
	s_or_b32 s16, s11, s16
	s_delay_alu instid0(SALU_CYCLE_1)
	s_and_not1_b32 exec_lo, exec_lo, s16
	s_cbranch_execnz .LBB118_5
; %bb.6:                                ;   in Loop: Header=BB118_4 Depth=2
	s_or_b32 exec_lo, exec_lo, s16
	s_sub_i32 s11, 60, s15
	s_delay_alu instid0(SALU_CYCLE_1) | instskip(NEXT) | instid1(VALU_DEP_1)
	v_lshlrev_b64 v[65:66], s11, v[1:2]
	v_lshrrev_b32_e32 v65, 20, v66
	v_lshrrev_b32_e32 v66, 30, v66
	s_delay_alu instid0(VALU_DEP_2) | instskip(NEXT) | instid1(VALU_DEP_2)
	v_and_or_b32 v65, 0x700, v65, v0
	v_and_b32_e32 v66, 2, v66
	s_delay_alu instid0(VALU_DEP_1) | instskip(SKIP_4) | instid1(VALU_DEP_2)
	v_lshl_or_b32 v79, v65, 2, v66
	v_lshlrev_b64 v[65:66], s11, v[3:4]
	ds_load_u16 v81, v79
	v_lshrrev_b32_e32 v65, 20, v66
	v_lshrrev_b32_e32 v66, 30, v66
	v_and_or_b32 v65, 0x700, v65, v0
	s_delay_alu instid0(VALU_DEP_2) | instskip(NEXT) | instid1(VALU_DEP_1)
	v_and_b32_e32 v66, 2, v66
	v_lshl_or_b32 v80, v65, 2, v66
	v_lshlrev_b64 v[65:66], s11, v[5:6]
	s_delay_alu instid0(VALU_DEP_1) | instskip(SKIP_3) | instid1(VALU_DEP_3)
	v_lshrrev_b32_e32 v65, 20, v66
	s_waitcnt lgkmcnt(0)
	v_add_nc_u16 v67, v81, 1
	v_lshrrev_b32_e32 v66, 30, v66
	v_and_or_b32 v65, 0x700, v65, v0
	ds_store_b16 v79, v67
	ds_load_u16 v82, v80
	v_and_b32_e32 v66, 2, v66
	s_delay_alu instid0(VALU_DEP_1) | instskip(SKIP_1) | instid1(VALU_DEP_1)
	v_lshl_or_b32 v83, v65, 2, v66
	v_lshlrev_b64 v[65:66], s11, v[7:8]
	v_lshrrev_b32_e32 v65, 20, v66
	v_lshrrev_b32_e32 v66, 30, v66
	s_delay_alu instid0(VALU_DEP_2) | instskip(NEXT) | instid1(VALU_DEP_2)
	v_and_or_b32 v65, 0x700, v65, v0
	v_and_b32_e32 v66, 2, v66
	s_waitcnt lgkmcnt(0)
	v_add_nc_u16 v67, v82, 1
	s_delay_alu instid0(VALU_DEP_2) | instskip(SKIP_3) | instid1(VALU_DEP_1)
	v_lshl_or_b32 v84, v65, 2, v66
	ds_store_b16 v80, v67
	ds_load_u16 v85, v83
	v_lshlrev_b64 v[65:66], s11, v[9:10]
	v_lshrrev_b32_e32 v65, 20, v66
	v_lshrrev_b32_e32 v66, 30, v66
	s_delay_alu instid0(VALU_DEP_2) | instskip(NEXT) | instid1(VALU_DEP_2)
	v_and_or_b32 v65, 0x700, v65, v0
	v_and_b32_e32 v66, 2, v66
	s_delay_alu instid0(VALU_DEP_1) | instskip(SKIP_3) | instid1(VALU_DEP_2)
	v_lshl_or_b32 v86, v65, 2, v66
	v_lshlrev_b64 v[65:66], s11, v[11:12]
	s_waitcnt lgkmcnt(0)
	v_add_nc_u16 v67, v85, 1
	v_lshrrev_b32_e32 v65, 20, v66
	ds_store_b16 v83, v67
	ds_load_u16 v88, v84
	v_lshrrev_b32_e32 v66, 30, v66
	v_and_or_b32 v65, 0x700, v65, v0
	s_delay_alu instid0(VALU_DEP_2) | instskip(NEXT) | instid1(VALU_DEP_1)
	v_and_b32_e32 v66, 2, v66
	v_lshl_or_b32 v87, v65, 2, v66
	v_lshlrev_b64 v[65:66], s11, v[13:14]
	s_delay_alu instid0(VALU_DEP_1) | instskip(SKIP_3) | instid1(VALU_DEP_3)
	v_lshrrev_b32_e32 v65, 20, v66
	v_lshrrev_b32_e32 v66, 30, v66
	s_waitcnt lgkmcnt(0)
	v_add_nc_u16 v67, v88, 1
	v_and_or_b32 v65, 0x700, v65, v0
	s_delay_alu instid0(VALU_DEP_3) | instskip(SKIP_4) | instid1(VALU_DEP_1)
	v_and_b32_e32 v66, 2, v66
	ds_store_b16 v84, v67
	ds_load_u16 v89, v86
	v_lshl_or_b32 v90, v65, 2, v66
	v_lshlrev_b64 v[65:66], s11, v[15:16]
	v_lshrrev_b32_e32 v65, 20, v66
	v_lshrrev_b32_e32 v66, 30, v66
	s_delay_alu instid0(VALU_DEP_2) | instskip(NEXT) | instid1(VALU_DEP_2)
	v_and_or_b32 v65, 0x700, v65, v0
	v_and_b32_e32 v66, 2, v66
	s_waitcnt lgkmcnt(0)
	v_add_nc_u16 v67, v89, 1
	s_delay_alu instid0(VALU_DEP_2)
	v_lshl_or_b32 v92, v65, 2, v66
	v_lshlrev_b64 v[65:66], s11, v[17:18]
	ds_store_b16 v86, v67
	ds_load_u16 v91, v87
	v_lshrrev_b32_e32 v65, 20, v66
	v_lshrrev_b32_e32 v66, 30, v66
	s_delay_alu instid0(VALU_DEP_2) | instskip(NEXT) | instid1(VALU_DEP_2)
	v_and_or_b32 v65, 0x700, v65, v0
	v_and_b32_e32 v66, 2, v66
	s_delay_alu instid0(VALU_DEP_1) | instskip(SKIP_1) | instid1(VALU_DEP_1)
	v_lshl_or_b32 v93, v65, 2, v66
	v_lshlrev_b64 v[65:66], s11, v[19:20]
	v_lshrrev_b32_e32 v65, 20, v66
	s_waitcnt lgkmcnt(0)
	v_add_nc_u16 v67, v91, 1
	v_lshrrev_b32_e32 v66, 30, v66
	s_delay_alu instid0(VALU_DEP_3) | instskip(SKIP_3) | instid1(VALU_DEP_1)
	v_and_or_b32 v65, 0x700, v65, v0
	ds_store_b16 v87, v67
	ds_load_u16 v97, v90
	v_and_b32_e32 v66, 2, v66
	v_lshl_or_b32 v94, v65, 2, v66
	v_lshlrev_b64 v[65:66], s11, v[21:22]
	s_delay_alu instid0(VALU_DEP_1) | instskip(SKIP_1) | instid1(VALU_DEP_2)
	v_lshrrev_b32_e32 v65, 20, v66
	v_lshrrev_b32_e32 v66, 30, v66
	v_and_or_b32 v65, 0x700, v65, v0
	s_delay_alu instid0(VALU_DEP_2) | instskip(SKIP_2) | instid1(VALU_DEP_2)
	v_and_b32_e32 v66, 2, v66
	s_waitcnt lgkmcnt(0)
	v_add_nc_u16 v67, v97, 1
	v_lshl_or_b32 v95, v65, 2, v66
	ds_store_b16 v90, v67
	ds_load_u16 v100, v92
	v_lshlrev_b64 v[65:66], s11, v[23:24]
	s_delay_alu instid0(VALU_DEP_1) | instskip(SKIP_1) | instid1(VALU_DEP_2)
	v_lshrrev_b32_e32 v65, 20, v66
	v_lshrrev_b32_e32 v66, 30, v66
	v_and_or_b32 v65, 0x700, v65, v0
	s_delay_alu instid0(VALU_DEP_2) | instskip(NEXT) | instid1(VALU_DEP_1)
	v_and_b32_e32 v66, 2, v66
	v_lshl_or_b32 v96, v65, 2, v66
	v_lshlrev_b64 v[65:66], s11, v[25:26]
	s_waitcnt lgkmcnt(0)
	v_add_nc_u16 v67, v100, 1
	ds_store_b16 v92, v67
	ds_load_u16 v103, v93
	v_lshrrev_b32_e32 v65, 20, v66
	v_lshrrev_b32_e32 v66, 30, v66
	s_delay_alu instid0(VALU_DEP_2) | instskip(NEXT) | instid1(VALU_DEP_2)
	v_and_or_b32 v65, 0x700, v65, v0
	v_and_b32_e32 v66, 2, v66
	s_delay_alu instid0(VALU_DEP_1) | instskip(SKIP_1) | instid1(VALU_DEP_1)
	v_lshl_or_b32 v98, v65, 2, v66
	v_lshlrev_b64 v[65:66], s11, v[27:28]
	v_lshrrev_b32_e32 v65, 20, v66
	s_waitcnt lgkmcnt(0)
	v_add_nc_u16 v67, v103, 1
	v_lshrrev_b32_e32 v66, 30, v66
	s_delay_alu instid0(VALU_DEP_3) | instskip(SKIP_3) | instid1(VALU_DEP_1)
	v_and_or_b32 v65, 0x700, v65, v0
	ds_store_b16 v93, v67
	ds_load_u16 v105, v94
	v_and_b32_e32 v66, 2, v66
	v_lshl_or_b32 v99, v65, 2, v66
	v_lshlrev_b64 v[65:66], s11, v[29:30]
	s_delay_alu instid0(VALU_DEP_1) | instskip(SKIP_1) | instid1(VALU_DEP_2)
	v_lshrrev_b32_e32 v65, 20, v66
	v_lshrrev_b32_e32 v66, 30, v66
	v_and_or_b32 v65, 0x700, v65, v0
	s_delay_alu instid0(VALU_DEP_2) | instskip(SKIP_2) | instid1(VALU_DEP_2)
	v_and_b32_e32 v66, 2, v66
	s_waitcnt lgkmcnt(0)
	v_add_nc_u16 v67, v105, 1
	v_lshl_or_b32 v101, v65, 2, v66
	ds_store_b16 v94, v67
	ds_load_u16 v107, v95
	v_lshlrev_b64 v[65:66], s11, v[31:32]
	s_delay_alu instid0(VALU_DEP_1) | instskip(SKIP_1) | instid1(VALU_DEP_2)
	v_lshrrev_b32_e32 v65, 20, v66
	v_lshrrev_b32_e32 v66, 30, v66
	v_and_or_b32 v65, 0x700, v65, v0
	s_delay_alu instid0(VALU_DEP_2) | instskip(NEXT) | instid1(VALU_DEP_1)
	v_and_b32_e32 v66, 2, v66
	v_lshl_or_b32 v104, v65, 2, v66
	v_lshlrev_b64 v[65:66], s11, v[33:34]
	s_waitcnt lgkmcnt(0)
	v_add_nc_u16 v67, v107, 1
	;; [unrolled: 43-line block ×5, first 2 shown]
	ds_store_b16 v110, v67
	ds_load_u16 v127, v112
	v_lshrrev_b32_e32 v65, 20, v66
	v_lshrrev_b32_e32 v66, 30, v66
	s_delay_alu instid0(VALU_DEP_2) | instskip(NEXT) | instid1(VALU_DEP_2)
	v_and_or_b32 v65, 0x700, v65, v0
	v_and_b32_e32 v66, 2, v66
	s_delay_alu instid0(VALU_DEP_1) | instskip(SKIP_1) | instid1(VALU_DEP_1)
	v_lshl_or_b32 v128, v65, 2, v66
	v_lshlrev_b64 v[65:66], s11, v[59:60]
	v_lshrrev_b32_e32 v65, 20, v66
	s_waitcnt lgkmcnt(0)
	v_add_nc_u16 v67, v127, 1
	v_lshrrev_b32_e32 v66, 30, v66
	s_delay_alu instid0(VALU_DEP_3) | instskip(SKIP_3) | instid1(VALU_DEP_1)
	v_and_or_b32 v65, 0x700, v65, v0
	ds_store_b16 v112, v67
	ds_load_u16 v129, v115
	v_and_b32_e32 v66, 2, v66
	v_lshl_or_b32 v131, v65, 2, v66
	v_lshlrev_b64 v[65:66], s11, v[61:62]
	s_delay_alu instid0(VALU_DEP_1) | instskip(SKIP_1) | instid1(VALU_DEP_2)
	v_lshrrev_b32_e32 v65, 20, v66
	v_lshrrev_b32_e32 v66, 30, v66
	v_and_or_b32 v65, 0x700, v65, v0
	s_delay_alu instid0(VALU_DEP_2) | instskip(SKIP_2) | instid1(VALU_DEP_2)
	v_and_b32_e32 v66, 2, v66
	s_waitcnt lgkmcnt(0)
	v_add_nc_u16 v67, v129, 1
	v_lshl_or_b32 v133, v65, 2, v66
	ds_store_b16 v115, v67
	ds_load_u16 v130, v117
	v_lshlrev_b64 v[65:66], s11, v[63:64]
	s_delay_alu instid0(VALU_DEP_1) | instskip(SKIP_1) | instid1(VALU_DEP_2)
	v_lshrrev_b32_e32 v65, 20, v66
	v_lshrrev_b32_e32 v66, 30, v66
	v_and_or_b32 v65, 0x700, v65, v0
	s_delay_alu instid0(VALU_DEP_2) | instskip(NEXT) | instid1(VALU_DEP_1)
	v_and_b32_e32 v66, 2, v66
	v_lshl_or_b32 v135, v65, 2, v66
	s_waitcnt lgkmcnt(0)
	v_add_nc_u16 v67, v130, 1
	ds_store_b16 v117, v67
	ds_load_u16 v132, v120
	s_waitcnt lgkmcnt(0)
	v_add_nc_u16 v67, v132, 1
	ds_store_b16 v120, v67
	ds_load_u16 v134, v118
	;; [unrolled: 4-line block ×9, first 2 shown]
	s_waitcnt lgkmcnt(0)
	v_add_nc_u16 v65, v142, 1
	ds_store_b16 v135, v65
	s_waitcnt lgkmcnt(0)
	s_barrier
	buffer_gl0_inv
	ds_load_2addr_b32 v[67:68], v73 offset1:1
	ds_load_2addr_b32 v[69:70], v73 offset0:2 offset1:3
	ds_load_2addr_b32 v[71:72], v73 offset0:4 offset1:5
	;; [unrolled: 1-line block ×3, first 2 shown]
	s_waitcnt lgkmcnt(3)
	v_add_nc_u32_e32 v143, v68, v67
	s_waitcnt lgkmcnt(2)
	s_delay_alu instid0(VALU_DEP_1) | instskip(SKIP_1) | instid1(VALU_DEP_1)
	v_add3_u32 v143, v143, v69, v70
	s_waitcnt lgkmcnt(1)
	v_add3_u32 v143, v143, v71, v72
	s_waitcnt lgkmcnt(0)
	s_delay_alu instid0(VALU_DEP_1) | instskip(NEXT) | instid1(VALU_DEP_1)
	v_add3_u32 v66, v143, v65, v66
	v_mov_b32_dpp v143, v66 row_shr:1 row_mask:0xf bank_mask:0xf
	s_delay_alu instid0(VALU_DEP_1) | instskip(NEXT) | instid1(VALU_DEP_1)
	v_cndmask_b32_e64 v143, v143, 0, s2
	v_add_nc_u32_e32 v66, v143, v66
	s_delay_alu instid0(VALU_DEP_1) | instskip(NEXT) | instid1(VALU_DEP_1)
	v_mov_b32_dpp v143, v66 row_shr:2 row_mask:0xf bank_mask:0xf
	v_cndmask_b32_e64 v143, 0, v143, s3
	s_delay_alu instid0(VALU_DEP_1) | instskip(NEXT) | instid1(VALU_DEP_1)
	v_add_nc_u32_e32 v66, v66, v143
	v_mov_b32_dpp v143, v66 row_shr:4 row_mask:0xf bank_mask:0xf
	s_delay_alu instid0(VALU_DEP_1) | instskip(NEXT) | instid1(VALU_DEP_1)
	v_cndmask_b32_e64 v143, 0, v143, s4
	v_add_nc_u32_e32 v66, v66, v143
	s_delay_alu instid0(VALU_DEP_1) | instskip(NEXT) | instid1(VALU_DEP_1)
	v_mov_b32_dpp v143, v66 row_shr:8 row_mask:0xf bank_mask:0xf
	v_cndmask_b32_e64 v143, 0, v143, s5
	s_delay_alu instid0(VALU_DEP_1) | instskip(SKIP_3) | instid1(VALU_DEP_1)
	v_add_nc_u32_e32 v66, v66, v143
	ds_swizzle_b32 v143, v66 offset:swizzle(BROADCAST,32,15)
	s_waitcnt lgkmcnt(0)
	v_cndmask_b32_e64 v143, v143, 0, s6
	v_add_nc_u32_e32 v66, v66, v143
	s_and_saveexec_b32 s11, s7
	s_cbranch_execz .LBB118_8
; %bb.7:                                ;   in Loop: Header=BB118_4 Depth=2
	ds_store_b32 v76, v66 offset:8192
.LBB118_8:                              ;   in Loop: Header=BB118_4 Depth=2
	s_or_b32 exec_lo, exec_lo, s11
	s_waitcnt lgkmcnt(0)
	s_barrier
	buffer_gl0_inv
	s_and_saveexec_b32 s11, vcc_lo
	s_cbranch_execz .LBB118_10
; %bb.9:                                ;   in Loop: Header=BB118_4 Depth=2
	ds_load_b32 v143, v75 offset:8192
	s_waitcnt lgkmcnt(0)
	v_mov_b32_dpp v144, v143 row_shr:1 row_mask:0xf bank_mask:0xf
	s_delay_alu instid0(VALU_DEP_1) | instskip(NEXT) | instid1(VALU_DEP_1)
	v_cndmask_b32_e64 v144, v144, 0, s8
	v_add_nc_u32_e32 v143, v144, v143
	s_delay_alu instid0(VALU_DEP_1) | instskip(NEXT) | instid1(VALU_DEP_1)
	v_mov_b32_dpp v144, v143 row_shr:2 row_mask:0xf bank_mask:0xf
	v_cndmask_b32_e64 v144, 0, v144, s9
	s_delay_alu instid0(VALU_DEP_1) | instskip(NEXT) | instid1(VALU_DEP_1)
	v_add_nc_u32_e32 v143, v143, v144
	v_mov_b32_dpp v144, v143 row_shr:4 row_mask:0xf bank_mask:0xf
	s_delay_alu instid0(VALU_DEP_1) | instskip(NEXT) | instid1(VALU_DEP_1)
	v_cndmask_b32_e64 v144, 0, v144, s10
	v_add_nc_u32_e32 v143, v143, v144
	ds_store_b32 v75, v143 offset:8192
.LBB118_10:                             ;   in Loop: Header=BB118_4 Depth=2
	s_or_b32 exec_lo, exec_lo, s11
	v_mov_b32_e32 v143, 0
	s_waitcnt lgkmcnt(0)
	s_barrier
	buffer_gl0_inv
	s_and_saveexec_b32 s11, s0
	s_cbranch_execz .LBB118_3
; %bb.11:                               ;   in Loop: Header=BB118_4 Depth=2
	ds_load_b32 v143, v76 offset:8188
	s_branch .LBB118_3
.LBB118_12:
	ds_load_u16 v32, v92
	ds_load_u16 v33, v90
	;; [unrolled: 1-line block ×32, first 2 shown]
	v_and_b32_e32 v0, 0xffff, v81
	v_and_b32_e32 v1, 0xffff, v82
	;; [unrolled: 1-line block ×32, first 2 shown]
	s_waitcnt lgkmcnt(24)
	v_add_nc_u32_e32 v0, v39, v0
	v_add_nc_u32_e32 v1, v38, v1
	;; [unrolled: 1-line block ×5, first 2 shown]
	s_lshl_b64 s[0:1], s[12:13], 2
	v_lshlrev_b32_e32 v32, 2, v73
	v_add_nc_u32_e32 v4, v35, v4
	v_add_nc_u32_e32 v5, v34, v5
	;; [unrolled: 1-line block ×3, first 2 shown]
	s_waitcnt lgkmcnt(16)
	v_add_nc_u32_e32 v8, v47, v8
	v_add_nc_u32_e32 v9, v46, v9
	;; [unrolled: 1-line block ×4, first 2 shown]
	s_add_u32 s0, s18, s0
	v_add_nc_u32_e32 v12, v43, v12
	v_add_nc_u32_e32 v13, v42, v13
	;; [unrolled: 1-line block ×4, first 2 shown]
	s_addc_u32 s1, s19, s1
	s_waitcnt lgkmcnt(8)
	v_add_nc_u32_e32 v16, v55, v16
	v_add_nc_u32_e32 v17, v54, v17
	;; [unrolled: 1-line block ×8, first 2 shown]
	s_waitcnt lgkmcnt(0)
	v_add_nc_u32_e32 v24, v63, v24
	v_add_nc_u32_e32 v25, v62, v25
	;; [unrolled: 1-line block ×8, first 2 shown]
	s_clause 0x7
	global_store_b128 v32, v[0:3], s[0:1]
	global_store_b128 v32, v[4:7], s[0:1] offset:16
	global_store_b128 v32, v[8:11], s[0:1] offset:32
	;; [unrolled: 1-line block ×7, first 2 shown]
	s_nop 0
	s_sendmsg sendmsg(MSG_DEALLOC_VGPRS)
	s_endpgm
	.section	.rodata,"a",@progbits
	.p2align	6, 0x0
	.amdhsa_kernel _Z11rank_kernelIxLj4ELb0EL18RadixRankAlgorithm1ELj256ELj32ELj10EEvPKT_Pi
		.amdhsa_group_segment_fixed_size 8224
		.amdhsa_private_segment_fixed_size 0
		.amdhsa_kernarg_size 16
		.amdhsa_user_sgpr_count 15
		.amdhsa_user_sgpr_dispatch_ptr 0
		.amdhsa_user_sgpr_queue_ptr 0
		.amdhsa_user_sgpr_kernarg_segment_ptr 1
		.amdhsa_user_sgpr_dispatch_id 0
		.amdhsa_user_sgpr_private_segment_size 0
		.amdhsa_wavefront_size32 1
		.amdhsa_uses_dynamic_stack 0
		.amdhsa_enable_private_segment 0
		.amdhsa_system_sgpr_workgroup_id_x 1
		.amdhsa_system_sgpr_workgroup_id_y 0
		.amdhsa_system_sgpr_workgroup_id_z 0
		.amdhsa_system_sgpr_workgroup_info 0
		.amdhsa_system_vgpr_workitem_id 0
		.amdhsa_next_free_vgpr 145
		.amdhsa_next_free_sgpr 20
		.amdhsa_reserve_vcc 1
		.amdhsa_float_round_mode_32 0
		.amdhsa_float_round_mode_16_64 0
		.amdhsa_float_denorm_mode_32 3
		.amdhsa_float_denorm_mode_16_64 3
		.amdhsa_dx10_clamp 1
		.amdhsa_ieee_mode 1
		.amdhsa_fp16_overflow 0
		.amdhsa_workgroup_processor_mode 1
		.amdhsa_memory_ordered 1
		.amdhsa_forward_progress 0
		.amdhsa_shared_vgpr_count 0
		.amdhsa_exception_fp_ieee_invalid_op 0
		.amdhsa_exception_fp_denorm_src 0
		.amdhsa_exception_fp_ieee_div_zero 0
		.amdhsa_exception_fp_ieee_overflow 0
		.amdhsa_exception_fp_ieee_underflow 0
		.amdhsa_exception_fp_ieee_inexact 0
		.amdhsa_exception_int_div_zero 0
	.end_amdhsa_kernel
	.section	.text._Z11rank_kernelIxLj4ELb0EL18RadixRankAlgorithm1ELj256ELj32ELj10EEvPKT_Pi,"axG",@progbits,_Z11rank_kernelIxLj4ELb0EL18RadixRankAlgorithm1ELj256ELj32ELj10EEvPKT_Pi,comdat
.Lfunc_end118:
	.size	_Z11rank_kernelIxLj4ELb0EL18RadixRankAlgorithm1ELj256ELj32ELj10EEvPKT_Pi, .Lfunc_end118-_Z11rank_kernelIxLj4ELb0EL18RadixRankAlgorithm1ELj256ELj32ELj10EEvPKT_Pi
                                        ; -- End function
	.section	.AMDGPU.csdata,"",@progbits
; Kernel info:
; codeLenInByte = 4488
; NumSgprs: 22
; NumVgprs: 145
; ScratchSize: 0
; MemoryBound: 1
; FloatMode: 240
; IeeeMode: 1
; LDSByteSize: 8224 bytes/workgroup (compile time only)
; SGPRBlocks: 2
; VGPRBlocks: 18
; NumSGPRsForWavesPerEU: 22
; NumVGPRsForWavesPerEU: 145
; Occupancy: 9
; WaveLimiterHint : 0
; COMPUTE_PGM_RSRC2:SCRATCH_EN: 0
; COMPUTE_PGM_RSRC2:USER_SGPR: 15
; COMPUTE_PGM_RSRC2:TRAP_HANDLER: 0
; COMPUTE_PGM_RSRC2:TGID_X_EN: 1
; COMPUTE_PGM_RSRC2:TGID_Y_EN: 0
; COMPUTE_PGM_RSRC2:TGID_Z_EN: 0
; COMPUTE_PGM_RSRC2:TIDIG_COMP_CNT: 0
	.section	.text._Z11rank_kernelIxLj4ELb0EL18RadixRankAlgorithm2ELj256ELj32ELj10EEvPKT_Pi,"axG",@progbits,_Z11rank_kernelIxLj4ELb0EL18RadixRankAlgorithm2ELj256ELj32ELj10EEvPKT_Pi,comdat
	.protected	_Z11rank_kernelIxLj4ELb0EL18RadixRankAlgorithm2ELj256ELj32ELj10EEvPKT_Pi ; -- Begin function _Z11rank_kernelIxLj4ELb0EL18RadixRankAlgorithm2ELj256ELj32ELj10EEvPKT_Pi
	.globl	_Z11rank_kernelIxLj4ELb0EL18RadixRankAlgorithm2ELj256ELj32ELj10EEvPKT_Pi
	.p2align	8
	.type	_Z11rank_kernelIxLj4ELb0EL18RadixRankAlgorithm2ELj256ELj32ELj10EEvPKT_Pi,@function
_Z11rank_kernelIxLj4ELb0EL18RadixRankAlgorithm2ELj256ELj32ELj10EEvPKT_Pi: ; @_Z11rank_kernelIxLj4ELb0EL18RadixRankAlgorithm2ELj256ELj32ELj10EEvPKT_Pi
; %bb.0:
	s_clause 0x1
	s_load_b128 s[16:19], s[0:1], 0x0
	s_load_b32 s8, s[0:1], 0x1c
	v_and_b32_e32 v67, 0x3ff, v0
	s_mov_b32 s21, 0
	s_lshl_b32 s20, s15, 13
	v_mbcnt_lo_u32_b32 v68, -1, 0
	s_lshl_b64 s[2:3], s[20:21], 3
	v_lshlrev_b32_e32 v61, 8, v67
	v_mov_b32_e32 v65, 0
	v_bfe_u32 v69, v0, 10, 10
	v_and_b32_e32 v72, 16, v68
	v_bfe_u32 v70, v0, 20, 10
	v_add_nc_u32_e32 v73, -1, v68
	v_and_b32_e32 v71, 15, v68
	v_cmp_eq_u32_e32 vcc_lo, 0, v68
	v_cmp_eq_u32_e64 s4, 0, v72
	v_and_b32_e32 v74, 7, v68
	v_lshlrev_b32_e32 v0, 5, v67
	v_lshlrev_b32_e32 v66, 2, v67
	v_cmp_gt_u32_e64 s5, 8, v67
	s_waitcnt lgkmcnt(0)
	s_add_u32 s0, s16, s2
	s_addc_u32 s1, s17, s3
	s_lshr_b32 s7, s8, 16
	s_clause 0xf
	global_load_b128 v[1:4], v61, s[0:1]
	global_load_b128 v[5:8], v61, s[0:1] offset:16
	global_load_b128 v[9:12], v61, s[0:1] offset:32
	;; [unrolled: 1-line block ×15, first 2 shown]
	v_mad_u32_u24 v72, v70, s7, v69
	v_cmp_gt_i32_e64 s7, 0, v73
	v_cmp_eq_u32_e64 s0, 0, v71
	v_cmp_lt_u32_e64 s1, 1, v71
	v_cmp_lt_u32_e64 s2, 3, v71
	;; [unrolled: 1-line block ×3, first 2 shown]
	v_cndmask_b32_e64 v68, v73, v68, s7
	s_and_b32 s7, s8, 0xffff
	v_or_b32_e32 v71, 31, v67
	v_cmp_lt_u32_e64 s6, 31, v67
	v_cmp_lt_u32_e64 s8, 1, v74
	v_mad_u64_u32 v[69:70], null, v72, s7, v[67:68]
	v_lshrrev_b32_e32 v70, 3, v67
	v_cmp_eq_u32_e64 s10, v71, v67
	v_lshlrev_b32_e32 v67, 2, v68
	v_cmp_eq_u32_e64 s7, 0, v74
	v_cmp_lt_u32_e64 s9, 3, v74
	v_and_b32_e32 v68, 28, v70
	v_lshrrev_b32_e32 v69, 5, v69
	s_mov_b32 s13, s21
	s_delay_alu instid0(VALU_DEP_2)
	v_add_nc_u32_e32 v70, -4, v68
	s_waitcnt vmcnt(15)
	v_xor_b32_e32 v2, 0x80000000, v2
	v_xor_b32_e32 v4, 0x80000000, v4
	s_waitcnt vmcnt(14)
	v_xor_b32_e32 v6, 0x80000000, v6
	v_xor_b32_e32 v8, 0x80000000, v8
	;; [unrolled: 3-line block ×16, first 2 shown]
	s_branch .LBB119_2
.LBB119_1:                              ;   in Loop: Header=BB119_2 Depth=1
	s_add_i32 s13, s13, 1
	s_delay_alu instid0(SALU_CYCLE_1)
	s_cmp_eq_u32 s13, 10
	s_cbranch_scc1 .LBB119_74
.LBB119_2:                              ; =>This Loop Header: Depth=1
                                        ;     Child Loop BB119_4 Depth 2
	s_mov_b64 s[14:15], 60
	s_mov_b32 s16, -4
	s_branch .LBB119_4
.LBB119_3:                              ;   in Loop: Header=BB119_4 Depth=2
	s_or_b32 exec_lo, exec_lo, s11
	s_waitcnt lgkmcnt(0)
	v_add_nc_u32_e32 v166, v167, v166
	s_add_i32 s16, s16, 4
	s_add_u32 s14, s14, -4
	s_addc_u32 s15, s15, -1
	s_cmp_lt_u32 s16, 60
	ds_bpermute_b32 v166, v67, v166
	s_waitcnt lgkmcnt(0)
	v_cndmask_b32_e32 v166, v166, v167, vcc_lo
	ds_store_b32 v66, v166 offset:32
	s_waitcnt lgkmcnt(0)
	s_barrier
	buffer_gl0_inv
	s_cbranch_scc0 .LBB119_1
.LBB119_4:                              ;   Parent Loop BB119_2 Depth=1
                                        ; =>  This Inner Loop Header: Depth=2
	v_lshlrev_b64 v[71:72], s14, v[1:2]
	ds_store_b32 v66, v65 offset:32
	s_waitcnt lgkmcnt(0)
	s_barrier
	buffer_gl0_inv
	v_bfe_u32 v71, v72, 28, 1
	v_lshrrev_b32_e32 v74, 28, v72
	v_and_b32_e32 v72, 0xf0000000, v72
	; wave barrier
	s_delay_alu instid0(VALU_DEP_3) | instskip(NEXT) | instid1(VALU_DEP_1)
	v_add_co_u32 v71, s11, v71, -1
	v_cndmask_b32_e64 v73, 0, 1, s11
	s_delay_alu instid0(VALU_DEP_4) | instskip(SKIP_2) | instid1(VALU_DEP_4)
	v_lshlrev_b32_e32 v75, 30, v74
	v_lshlrev_b32_e32 v76, 29, v74
	v_not_b32_e32 v77, v72
	v_cmp_ne_u32_e64 s11, 0, v73
	s_delay_alu instid0(VALU_DEP_4) | instskip(SKIP_2) | instid1(VALU_DEP_4)
	v_not_b32_e32 v73, v75
	v_cmp_gt_i32_e64 s12, 0, v75
	v_not_b32_e32 v75, v76
	v_xor_b32_e32 v71, s11, v71
	s_delay_alu instid0(VALU_DEP_4) | instskip(SKIP_1) | instid1(VALU_DEP_4)
	v_ashrrev_i32_e32 v73, 31, v73
	v_cmp_gt_i32_e64 s11, 0, v76
	v_ashrrev_i32_e32 v75, 31, v75
	s_delay_alu instid0(VALU_DEP_4) | instskip(NEXT) | instid1(VALU_DEP_4)
	v_and_b32_e32 v71, exec_lo, v71
	v_xor_b32_e32 v73, s12, v73
	v_cmp_gt_i32_e64 s12, 0, v72
	v_ashrrev_i32_e32 v72, 31, v77
	v_xor_b32_e32 v75, s11, v75
	s_delay_alu instid0(VALU_DEP_4) | instskip(NEXT) | instid1(VALU_DEP_3)
	v_and_b32_e32 v71, v71, v73
	v_xor_b32_e32 v72, s12, v72
	s_delay_alu instid0(VALU_DEP_2) | instskip(NEXT) | instid1(VALU_DEP_1)
	v_and_b32_e32 v71, v71, v75
	v_and_b32_e32 v73, v71, v72
	v_mad_u32_u24 v72, v74, 9, v69
	s_delay_alu instid0(VALU_DEP_2) | instskip(SKIP_1) | instid1(VALU_DEP_3)
	v_mbcnt_lo_u32_b32 v71, v73, 0
	v_cmp_ne_u32_e64 s12, 0, v73
	v_lshl_add_u32 v72, v72, 2, 32
	s_delay_alu instid0(VALU_DEP_3) | instskip(NEXT) | instid1(VALU_DEP_1)
	v_cmp_eq_u32_e64 s11, 0, v71
	s_and_b32 s12, s11, s12
	s_delay_alu instid0(SALU_CYCLE_1)
	s_and_saveexec_b32 s11, s12
	s_cbranch_execz .LBB119_6
; %bb.5:                                ;   in Loop: Header=BB119_4 Depth=2
	v_bcnt_u32_b32 v73, v73, 0
	ds_store_b32 v72, v73
.LBB119_6:                              ;   in Loop: Header=BB119_4 Depth=2
	s_or_b32 exec_lo, exec_lo, s11
	v_lshlrev_b64 v[73:74], s14, v[3:4]
	; wave barrier
	s_delay_alu instid0(VALU_DEP_1) | instskip(SKIP_2) | instid1(VALU_DEP_3)
	v_bfe_u32 v73, v74, 28, 1
	v_lshrrev_b32_e32 v75, 28, v74
	v_and_b32_e32 v74, 0xf0000000, v74
	v_add_co_u32 v73, s11, v73, -1
	s_delay_alu instid0(VALU_DEP_1) | instskip(NEXT) | instid1(VALU_DEP_4)
	v_cndmask_b32_e64 v76, 0, 1, s11
	v_lshlrev_b32_e32 v77, 30, v75
	v_lshlrev_b32_e32 v78, 29, v75
	v_not_b32_e32 v79, v74
	v_mul_u32_u24_e32 v75, 9, v75
	v_cmp_ne_u32_e64 s11, 0, v76
	v_not_b32_e32 v76, v77
	v_cmp_gt_i32_e64 s12, 0, v77
	v_not_b32_e32 v77, v78
	v_add_lshl_u32 v75, v75, v69, 2
	v_xor_b32_e32 v73, s11, v73
	v_ashrrev_i32_e32 v76, 31, v76
	v_cmp_gt_i32_e64 s11, 0, v78
	v_ashrrev_i32_e32 v77, 31, v77
	s_delay_alu instid0(VALU_DEP_4) | instskip(NEXT) | instid1(VALU_DEP_4)
	v_and_b32_e32 v73, exec_lo, v73
	v_xor_b32_e32 v76, s12, v76
	v_cmp_gt_i32_e64 s12, 0, v74
	v_ashrrev_i32_e32 v74, 31, v79
	v_xor_b32_e32 v77, s11, v77
	s_delay_alu instid0(VALU_DEP_4) | instskip(NEXT) | instid1(VALU_DEP_3)
	v_and_b32_e32 v73, v73, v76
	v_xor_b32_e32 v74, s12, v74
	s_delay_alu instid0(VALU_DEP_2) | instskip(SKIP_3) | instid1(VALU_DEP_1)
	v_and_b32_e32 v76, v73, v77
	ds_load_b32 v73, v75 offset:32
	v_add_nc_u32_e32 v75, 32, v75
	; wave barrier
	v_and_b32_e32 v76, v76, v74
	v_mbcnt_lo_u32_b32 v74, v76, 0
	v_cmp_ne_u32_e64 s12, 0, v76
	s_delay_alu instid0(VALU_DEP_2) | instskip(NEXT) | instid1(VALU_DEP_1)
	v_cmp_eq_u32_e64 s11, 0, v74
	s_and_b32 s12, s12, s11
	s_delay_alu instid0(SALU_CYCLE_1)
	s_and_saveexec_b32 s11, s12
	s_cbranch_execz .LBB119_8
; %bb.7:                                ;   in Loop: Header=BB119_4 Depth=2
	s_waitcnt lgkmcnt(0)
	v_bcnt_u32_b32 v76, v76, v73
	ds_store_b32 v75, v76
.LBB119_8:                              ;   in Loop: Header=BB119_4 Depth=2
	s_or_b32 exec_lo, exec_lo, s11
	v_lshlrev_b64 v[76:77], s14, v[5:6]
	; wave barrier
	s_delay_alu instid0(VALU_DEP_1) | instskip(SKIP_2) | instid1(VALU_DEP_3)
	v_bfe_u32 v76, v77, 28, 1
	v_lshrrev_b32_e32 v78, 28, v77
	v_and_b32_e32 v77, 0xf0000000, v77
	v_add_co_u32 v76, s11, v76, -1
	s_delay_alu instid0(VALU_DEP_1) | instskip(NEXT) | instid1(VALU_DEP_4)
	v_cndmask_b32_e64 v79, 0, 1, s11
	v_lshlrev_b32_e32 v80, 30, v78
	v_lshlrev_b32_e32 v81, 29, v78
	v_not_b32_e32 v82, v77
	v_mul_u32_u24_e32 v78, 9, v78
	v_cmp_ne_u32_e64 s11, 0, v79
	v_not_b32_e32 v79, v80
	v_cmp_gt_i32_e64 s12, 0, v80
	v_not_b32_e32 v80, v81
	v_add_lshl_u32 v78, v78, v69, 2
	v_xor_b32_e32 v76, s11, v76
	v_ashrrev_i32_e32 v79, 31, v79
	v_cmp_gt_i32_e64 s11, 0, v81
	v_ashrrev_i32_e32 v80, 31, v80
	s_delay_alu instid0(VALU_DEP_4) | instskip(NEXT) | instid1(VALU_DEP_4)
	v_and_b32_e32 v76, exec_lo, v76
	v_xor_b32_e32 v79, s12, v79
	v_cmp_gt_i32_e64 s12, 0, v77
	v_ashrrev_i32_e32 v77, 31, v82
	v_xor_b32_e32 v80, s11, v80
	s_delay_alu instid0(VALU_DEP_4) | instskip(NEXT) | instid1(VALU_DEP_3)
	v_and_b32_e32 v76, v76, v79
	v_xor_b32_e32 v77, s12, v77
	s_delay_alu instid0(VALU_DEP_2) | instskip(SKIP_3) | instid1(VALU_DEP_1)
	v_and_b32_e32 v79, v76, v80
	ds_load_b32 v76, v78 offset:32
	v_add_nc_u32_e32 v78, 32, v78
	; wave barrier
	v_and_b32_e32 v79, v79, v77
	v_mbcnt_lo_u32_b32 v77, v79, 0
	v_cmp_ne_u32_e64 s12, 0, v79
	s_delay_alu instid0(VALU_DEP_2) | instskip(NEXT) | instid1(VALU_DEP_1)
	v_cmp_eq_u32_e64 s11, 0, v77
	s_and_b32 s12, s12, s11
	s_delay_alu instid0(SALU_CYCLE_1)
	s_and_saveexec_b32 s11, s12
	s_cbranch_execz .LBB119_10
; %bb.9:                                ;   in Loop: Header=BB119_4 Depth=2
	s_waitcnt lgkmcnt(0)
	v_bcnt_u32_b32 v79, v79, v76
	ds_store_b32 v78, v79
.LBB119_10:                             ;   in Loop: Header=BB119_4 Depth=2
	s_or_b32 exec_lo, exec_lo, s11
	v_lshlrev_b64 v[79:80], s14, v[7:8]
	; wave barrier
	s_delay_alu instid0(VALU_DEP_1) | instskip(SKIP_2) | instid1(VALU_DEP_3)
	v_bfe_u32 v79, v80, 28, 1
	v_lshrrev_b32_e32 v81, 28, v80
	v_and_b32_e32 v80, 0xf0000000, v80
	v_add_co_u32 v79, s11, v79, -1
	s_delay_alu instid0(VALU_DEP_1) | instskip(NEXT) | instid1(VALU_DEP_4)
	v_cndmask_b32_e64 v82, 0, 1, s11
	v_lshlrev_b32_e32 v83, 30, v81
	v_lshlrev_b32_e32 v84, 29, v81
	v_not_b32_e32 v85, v80
	v_mul_u32_u24_e32 v81, 9, v81
	v_cmp_ne_u32_e64 s11, 0, v82
	v_not_b32_e32 v82, v83
	v_cmp_gt_i32_e64 s12, 0, v83
	v_not_b32_e32 v83, v84
	v_add_lshl_u32 v81, v81, v69, 2
	v_xor_b32_e32 v79, s11, v79
	v_ashrrev_i32_e32 v82, 31, v82
	v_cmp_gt_i32_e64 s11, 0, v84
	v_ashrrev_i32_e32 v83, 31, v83
	s_delay_alu instid0(VALU_DEP_4) | instskip(NEXT) | instid1(VALU_DEP_4)
	v_and_b32_e32 v79, exec_lo, v79
	v_xor_b32_e32 v82, s12, v82
	v_cmp_gt_i32_e64 s12, 0, v80
	v_ashrrev_i32_e32 v80, 31, v85
	v_xor_b32_e32 v83, s11, v83
	s_delay_alu instid0(VALU_DEP_4) | instskip(NEXT) | instid1(VALU_DEP_3)
	v_and_b32_e32 v79, v79, v82
	v_xor_b32_e32 v80, s12, v80
	s_delay_alu instid0(VALU_DEP_2) | instskip(SKIP_3) | instid1(VALU_DEP_1)
	v_and_b32_e32 v82, v79, v83
	ds_load_b32 v79, v81 offset:32
	v_add_nc_u32_e32 v81, 32, v81
	; wave barrier
	v_and_b32_e32 v82, v82, v80
	v_mbcnt_lo_u32_b32 v80, v82, 0
	v_cmp_ne_u32_e64 s12, 0, v82
	s_delay_alu instid0(VALU_DEP_2) | instskip(NEXT) | instid1(VALU_DEP_1)
	v_cmp_eq_u32_e64 s11, 0, v80
	s_and_b32 s12, s12, s11
	s_delay_alu instid0(SALU_CYCLE_1)
	s_and_saveexec_b32 s11, s12
	s_cbranch_execz .LBB119_12
; %bb.11:                               ;   in Loop: Header=BB119_4 Depth=2
	s_waitcnt lgkmcnt(0)
	v_bcnt_u32_b32 v82, v82, v79
	ds_store_b32 v81, v82
.LBB119_12:                             ;   in Loop: Header=BB119_4 Depth=2
	s_or_b32 exec_lo, exec_lo, s11
	v_lshlrev_b64 v[82:83], s14, v[9:10]
	; wave barrier
	s_delay_alu instid0(VALU_DEP_1) | instskip(SKIP_2) | instid1(VALU_DEP_3)
	v_bfe_u32 v82, v83, 28, 1
	v_lshrrev_b32_e32 v84, 28, v83
	v_and_b32_e32 v83, 0xf0000000, v83
	v_add_co_u32 v82, s11, v82, -1
	s_delay_alu instid0(VALU_DEP_1) | instskip(NEXT) | instid1(VALU_DEP_4)
	v_cndmask_b32_e64 v85, 0, 1, s11
	v_lshlrev_b32_e32 v86, 30, v84
	v_lshlrev_b32_e32 v87, 29, v84
	v_not_b32_e32 v88, v83
	v_mul_u32_u24_e32 v84, 9, v84
	v_cmp_ne_u32_e64 s11, 0, v85
	v_not_b32_e32 v85, v86
	v_cmp_gt_i32_e64 s12, 0, v86
	v_not_b32_e32 v86, v87
	v_add_lshl_u32 v84, v84, v69, 2
	v_xor_b32_e32 v82, s11, v82
	v_ashrrev_i32_e32 v85, 31, v85
	v_cmp_gt_i32_e64 s11, 0, v87
	v_ashrrev_i32_e32 v86, 31, v86
	s_delay_alu instid0(VALU_DEP_4) | instskip(NEXT) | instid1(VALU_DEP_4)
	v_and_b32_e32 v82, exec_lo, v82
	v_xor_b32_e32 v85, s12, v85
	v_cmp_gt_i32_e64 s12, 0, v83
	v_ashrrev_i32_e32 v83, 31, v88
	v_xor_b32_e32 v86, s11, v86
	s_delay_alu instid0(VALU_DEP_4) | instskip(NEXT) | instid1(VALU_DEP_3)
	v_and_b32_e32 v82, v82, v85
	v_xor_b32_e32 v83, s12, v83
	s_delay_alu instid0(VALU_DEP_2) | instskip(SKIP_3) | instid1(VALU_DEP_1)
	v_and_b32_e32 v85, v82, v86
	ds_load_b32 v82, v84 offset:32
	v_add_nc_u32_e32 v84, 32, v84
	; wave barrier
	v_and_b32_e32 v85, v85, v83
	v_mbcnt_lo_u32_b32 v83, v85, 0
	v_cmp_ne_u32_e64 s12, 0, v85
	s_delay_alu instid0(VALU_DEP_2) | instskip(NEXT) | instid1(VALU_DEP_1)
	v_cmp_eq_u32_e64 s11, 0, v83
	s_and_b32 s12, s12, s11
	s_delay_alu instid0(SALU_CYCLE_1)
	s_and_saveexec_b32 s11, s12
	s_cbranch_execz .LBB119_14
; %bb.13:                               ;   in Loop: Header=BB119_4 Depth=2
	s_waitcnt lgkmcnt(0)
	v_bcnt_u32_b32 v85, v85, v82
	ds_store_b32 v84, v85
.LBB119_14:                             ;   in Loop: Header=BB119_4 Depth=2
	;; [unrolled: 51-line block ×29, first 2 shown]
	s_or_b32 exec_lo, exec_lo, s11
	; wave barrier
	s_waitcnt lgkmcnt(0)
	s_barrier
	buffer_gl0_inv
	ds_load_b32 v166, v66 offset:32
	s_waitcnt lgkmcnt(0)
	v_mov_b32_dpp v167, v166 row_shr:1 row_mask:0xf bank_mask:0xf
	s_delay_alu instid0(VALU_DEP_1) | instskip(NEXT) | instid1(VALU_DEP_1)
	v_cndmask_b32_e64 v167, v167, 0, s0
	v_add_nc_u32_e32 v166, v167, v166
	s_delay_alu instid0(VALU_DEP_1) | instskip(NEXT) | instid1(VALU_DEP_1)
	v_mov_b32_dpp v167, v166 row_shr:2 row_mask:0xf bank_mask:0xf
	v_cndmask_b32_e64 v167, 0, v167, s1
	s_delay_alu instid0(VALU_DEP_1) | instskip(NEXT) | instid1(VALU_DEP_1)
	v_add_nc_u32_e32 v166, v166, v167
	v_mov_b32_dpp v167, v166 row_shr:4 row_mask:0xf bank_mask:0xf
	s_delay_alu instid0(VALU_DEP_1) | instskip(NEXT) | instid1(VALU_DEP_1)
	v_cndmask_b32_e64 v167, 0, v167, s2
	v_add_nc_u32_e32 v166, v166, v167
	s_delay_alu instid0(VALU_DEP_1) | instskip(NEXT) | instid1(VALU_DEP_1)
	v_mov_b32_dpp v167, v166 row_shr:8 row_mask:0xf bank_mask:0xf
	v_cndmask_b32_e64 v167, 0, v167, s3
	s_delay_alu instid0(VALU_DEP_1) | instskip(SKIP_3) | instid1(VALU_DEP_1)
	v_add_nc_u32_e32 v166, v166, v167
	ds_swizzle_b32 v167, v166 offset:swizzle(BROADCAST,32,15)
	s_waitcnt lgkmcnt(0)
	v_cndmask_b32_e64 v167, v167, 0, s4
	v_add_nc_u32_e32 v166, v166, v167
	s_and_saveexec_b32 s11, s10
	s_delay_alu instid0(SALU_CYCLE_1)
	s_xor_b32 s11, exec_lo, s11
	s_cbranch_execz .LBB119_70
; %bb.69:                               ;   in Loop: Header=BB119_4 Depth=2
	ds_store_b32 v68, v166
.LBB119_70:                             ;   in Loop: Header=BB119_4 Depth=2
	s_or_b32 exec_lo, exec_lo, s11
	s_waitcnt lgkmcnt(0)
	s_barrier
	buffer_gl0_inv
	s_and_saveexec_b32 s11, s5
	s_cbranch_execz .LBB119_72
; %bb.71:                               ;   in Loop: Header=BB119_4 Depth=2
	ds_load_b32 v167, v66
	s_waitcnt lgkmcnt(0)
	v_mov_b32_dpp v168, v167 row_shr:1 row_mask:0xf bank_mask:0xf
	s_delay_alu instid0(VALU_DEP_1) | instskip(NEXT) | instid1(VALU_DEP_1)
	v_cndmask_b32_e64 v168, v168, 0, s7
	v_add_nc_u32_e32 v167, v168, v167
	s_delay_alu instid0(VALU_DEP_1) | instskip(NEXT) | instid1(VALU_DEP_1)
	v_mov_b32_dpp v168, v167 row_shr:2 row_mask:0xf bank_mask:0xf
	v_cndmask_b32_e64 v168, 0, v168, s8
	s_delay_alu instid0(VALU_DEP_1) | instskip(NEXT) | instid1(VALU_DEP_1)
	v_add_nc_u32_e32 v167, v167, v168
	v_mov_b32_dpp v168, v167 row_shr:4 row_mask:0xf bank_mask:0xf
	s_delay_alu instid0(VALU_DEP_1) | instskip(NEXT) | instid1(VALU_DEP_1)
	v_cndmask_b32_e64 v168, 0, v168, s9
	v_add_nc_u32_e32 v167, v167, v168
	ds_store_b32 v66, v167
.LBB119_72:                             ;   in Loop: Header=BB119_4 Depth=2
	s_or_b32 exec_lo, exec_lo, s11
	v_mov_b32_e32 v167, 0
	s_waitcnt lgkmcnt(0)
	s_barrier
	buffer_gl0_inv
	s_and_saveexec_b32 s11, s6
	s_cbranch_execz .LBB119_3
; %bb.73:                               ;   in Loop: Header=BB119_4 Depth=2
	ds_load_b32 v167, v70
	s_branch .LBB119_3
.LBB119_74:
	ds_load_b32 v1, v75
	ds_load_b32 v3, v78
	;; [unrolled: 1-line block ×32, first 2 shown]
	s_lshl_b64 s[0:1], s[20:21], 2
	v_lshlrev_b32_e32 v0, 2, v0
	s_add_u32 s0, s18, s0
	s_waitcnt lgkmcnt(31)
	v_add3_u32 v2, v74, v73, v1
	s_waitcnt lgkmcnt(30)
	v_add3_u32 v3, v77, v76, v3
	s_waitcnt lgkmcnt(29)
	v_add3_u32 v4, v80, v79, v4
	s_waitcnt lgkmcnt(28)
	v_add_nc_u32_e32 v1, v5, v71
	s_waitcnt lgkmcnt(27)
	v_add3_u32 v8, v92, v91, v8
	s_waitcnt lgkmcnt(26)
	v_add3_u32 v7, v89, v88, v7
	;; [unrolled: 2-line block ×12, first 2 shown]
	s_addc_u32 s1, s19, s1
	s_waitcnt lgkmcnt(8)
	v_add3_u32 v17, v119, v118, v25
	v_add3_u32 v18, v122, v121, v18
	;; [unrolled: 1-line block ×8, first 2 shown]
	s_waitcnt lgkmcnt(0)
	v_add3_u32 v25, v143, v142, v33
	v_add3_u32 v26, v146, v145, v26
	;; [unrolled: 1-line block ×8, first 2 shown]
	s_clause 0x7
	global_store_b128 v0, v[1:4], s[0:1]
	global_store_b128 v0, v[5:8], s[0:1] offset:16
	global_store_b128 v0, v[9:12], s[0:1] offset:32
	;; [unrolled: 1-line block ×7, first 2 shown]
	s_nop 0
	s_sendmsg sendmsg(MSG_DEALLOC_VGPRS)
	s_endpgm
	.section	.rodata,"a",@progbits
	.p2align	6, 0x0
	.amdhsa_kernel _Z11rank_kernelIxLj4ELb0EL18RadixRankAlgorithm2ELj256ELj32ELj10EEvPKT_Pi
		.amdhsa_group_segment_fixed_size 1056
		.amdhsa_private_segment_fixed_size 0
		.amdhsa_kernarg_size 272
		.amdhsa_user_sgpr_count 15
		.amdhsa_user_sgpr_dispatch_ptr 0
		.amdhsa_user_sgpr_queue_ptr 0
		.amdhsa_user_sgpr_kernarg_segment_ptr 1
		.amdhsa_user_sgpr_dispatch_id 0
		.amdhsa_user_sgpr_private_segment_size 0
		.amdhsa_wavefront_size32 1
		.amdhsa_uses_dynamic_stack 0
		.amdhsa_enable_private_segment 0
		.amdhsa_system_sgpr_workgroup_id_x 1
		.amdhsa_system_sgpr_workgroup_id_y 0
		.amdhsa_system_sgpr_workgroup_id_z 0
		.amdhsa_system_sgpr_workgroup_info 0
		.amdhsa_system_vgpr_workitem_id 2
		.amdhsa_next_free_vgpr 170
		.amdhsa_next_free_sgpr 22
		.amdhsa_reserve_vcc 1
		.amdhsa_float_round_mode_32 0
		.amdhsa_float_round_mode_16_64 0
		.amdhsa_float_denorm_mode_32 3
		.amdhsa_float_denorm_mode_16_64 3
		.amdhsa_dx10_clamp 1
		.amdhsa_ieee_mode 1
		.amdhsa_fp16_overflow 0
		.amdhsa_workgroup_processor_mode 1
		.amdhsa_memory_ordered 1
		.amdhsa_forward_progress 0
		.amdhsa_shared_vgpr_count 0
		.amdhsa_exception_fp_ieee_invalid_op 0
		.amdhsa_exception_fp_denorm_src 0
		.amdhsa_exception_fp_ieee_div_zero 0
		.amdhsa_exception_fp_ieee_overflow 0
		.amdhsa_exception_fp_ieee_underflow 0
		.amdhsa_exception_fp_ieee_inexact 0
		.amdhsa_exception_int_div_zero 0
	.end_amdhsa_kernel
	.section	.text._Z11rank_kernelIxLj4ELb0EL18RadixRankAlgorithm2ELj256ELj32ELj10EEvPKT_Pi,"axG",@progbits,_Z11rank_kernelIxLj4ELb0EL18RadixRankAlgorithm2ELj256ELj32ELj10EEvPKT_Pi,comdat
.Lfunc_end119:
	.size	_Z11rank_kernelIxLj4ELb0EL18RadixRankAlgorithm2ELj256ELj32ELj10EEvPKT_Pi, .Lfunc_end119-_Z11rank_kernelIxLj4ELb0EL18RadixRankAlgorithm2ELj256ELj32ELj10EEvPKT_Pi
                                        ; -- End function
	.section	.AMDGPU.csdata,"",@progbits
; Kernel info:
; codeLenInByte = 9944
; NumSgprs: 24
; NumVgprs: 170
; ScratchSize: 0
; MemoryBound: 0
; FloatMode: 240
; IeeeMode: 1
; LDSByteSize: 1056 bytes/workgroup (compile time only)
; SGPRBlocks: 2
; VGPRBlocks: 21
; NumSGPRsForWavesPerEU: 24
; NumVGPRsForWavesPerEU: 170
; Occupancy: 8
; WaveLimiterHint : 0
; COMPUTE_PGM_RSRC2:SCRATCH_EN: 0
; COMPUTE_PGM_RSRC2:USER_SGPR: 15
; COMPUTE_PGM_RSRC2:TRAP_HANDLER: 0
; COMPUTE_PGM_RSRC2:TGID_X_EN: 1
; COMPUTE_PGM_RSRC2:TGID_Y_EN: 0
; COMPUTE_PGM_RSRC2:TGID_Z_EN: 0
; COMPUTE_PGM_RSRC2:TIDIG_COMP_CNT: 2
	.section	.text._Z11rank_kernelIxLj4ELb0EL18RadixRankAlgorithm0ELj512ELj1ELj10EEvPKT_Pi,"axG",@progbits,_Z11rank_kernelIxLj4ELb0EL18RadixRankAlgorithm0ELj512ELj1ELj10EEvPKT_Pi,comdat
	.protected	_Z11rank_kernelIxLj4ELb0EL18RadixRankAlgorithm0ELj512ELj1ELj10EEvPKT_Pi ; -- Begin function _Z11rank_kernelIxLj4ELb0EL18RadixRankAlgorithm0ELj512ELj1ELj10EEvPKT_Pi
	.globl	_Z11rank_kernelIxLj4ELb0EL18RadixRankAlgorithm0ELj512ELj1ELj10EEvPKT_Pi
	.p2align	8
	.type	_Z11rank_kernelIxLj4ELb0EL18RadixRankAlgorithm0ELj512ELj1ELj10EEvPKT_Pi,@function
_Z11rank_kernelIxLj4ELb0EL18RadixRankAlgorithm0ELj512ELj1ELj10EEvPKT_Pi: ; @_Z11rank_kernelIxLj4ELb0EL18RadixRankAlgorithm0ELj512ELj1ELj10EEvPKT_Pi
; %bb.0:
	s_load_b128 s[8:11], s[0:1], 0x0
	s_mov_b32 s13, 0
	s_lshl_b32 s12, s15, 9
	v_lshlrev_b32_e32 v1, 3, v0
	s_lshl_b64 s[0:1], s[12:13], 3
	v_mbcnt_lo_u32_b32 v6, -1, 0
	v_or_b32_e32 v9, 31, v0
	v_lshrrev_b32_e32 v11, 3, v0
	v_dual_mov_b32 v3, 0 :: v_dual_lshlrev_b32 v4, 5, v0
	s_delay_alu instid0(VALU_DEP_4)
	v_add_nc_u32_e32 v10, -1, v6
	v_and_b32_e32 v7, 15, v6
	v_and_b32_e32 v8, 16, v6
	v_cmp_gt_u32_e32 vcc_lo, 16, v0
	v_lshlrev_b32_e32 v5, 2, v0
	v_cmp_gt_i32_e64 s5, 0, v10
	v_cmp_eq_u32_e64 s2, 0, v7
	v_cmp_lt_u32_e64 s3, 1, v7
	v_cmp_lt_u32_e64 s4, 3, v7
	v_cmp_eq_u32_e64 s6, 0, v8
	s_waitcnt lgkmcnt(0)
	s_add_u32 s0, s8, s0
	s_addc_u32 s1, s9, s1
	v_cndmask_b32_e64 v10, v10, v6, s5
	global_load_b64 v[1:2], v1, s[0:1]
	v_cmp_lt_u32_e64 s0, 31, v0
	v_cmp_eq_u32_e64 s1, 0, v6
	v_cmp_lt_u32_e64 s5, 7, v7
	v_cmp_eq_u32_e64 s7, v9, v0
	v_and_b32_e32 v6, 60, v11
	v_lshlrev_b32_e32 v7, 2, v10
	v_or_b32_e32 v8, 0xfffffe00, v0
	s_mov_b32 s9, s13
	s_waitcnt vmcnt(0)
	v_xor_b32_e32 v2, 0x80000000, v2
	s_branch .LBB120_2
.LBB120_1:                              ;   in Loop: Header=BB120_2 Depth=1
	s_add_i32 s9, s9, 1
	s_delay_alu instid0(SALU_CYCLE_1)
	s_cmp_eq_u32 s9, 10
	s_cbranch_scc1 .LBB120_12
.LBB120_2:                              ; =>This Loop Header: Depth=1
                                        ;     Child Loop BB120_4 Depth 2
                                        ;       Child Loop BB120_5 Depth 3
	s_mov_b32 s14, 0
	s_branch .LBB120_4
.LBB120_3:                              ;   in Loop: Header=BB120_4 Depth=2
	s_or_b32 exec_lo, exec_lo, s8
	s_waitcnt lgkmcnt(0)
	v_add_nc_u32_e32 v11, v12, v11
	ds_load_b32 v15, v3 offset:16444
	ds_load_2addr_b32 v[13:14], v4 offset1:1
	s_add_i32 s8, s14, 4
	s_cmp_lt_u32 s14, 60
	s_mov_b32 s14, s8
	ds_bpermute_b32 v11, v7, v11
	s_waitcnt lgkmcnt(0)
	v_cndmask_b32_e64 v16, v11, v12, s1
	ds_load_2addr_b32 v[11:12], v4 offset0:2 offset1:3
	v_lshl_add_u32 v17, v15, 16, v16
	ds_load_2addr_b32 v[15:16], v4 offset0:4 offset1:5
	ds_load_b32 v18, v4 offset:24
	v_add_nc_u32_e32 v13, v17, v13
	s_delay_alu instid0(VALU_DEP_1) | instskip(SKIP_1) | instid1(VALU_DEP_1)
	v_add_nc_u32_e32 v14, v14, v13
	s_waitcnt lgkmcnt(2)
	v_add_nc_u32_e32 v11, v11, v14
	s_delay_alu instid0(VALU_DEP_1) | instskip(SKIP_1) | instid1(VALU_DEP_1)
	v_add_nc_u32_e32 v12, v12, v11
	s_waitcnt lgkmcnt(1)
	;; [unrolled: 4-line block ×3, first 2 shown]
	v_add_nc_u32_e32 v18, v18, v16
	ds_store_2addr_b32 v4, v17, v13 offset1:1
	ds_store_2addr_b32 v4, v14, v11 offset0:2 offset1:3
	ds_store_2addr_b32 v4, v12, v15 offset0:4 offset1:5
	;; [unrolled: 1-line block ×3, first 2 shown]
	s_waitcnt lgkmcnt(0)
	s_barrier
	buffer_gl0_inv
	s_cbranch_scc0 .LBB120_1
.LBB120_4:                              ;   Parent Loop BB120_2 Depth=1
                                        ; =>  This Loop Header: Depth=2
                                        ;       Child Loop BB120_5 Depth 3
	v_dual_mov_b32 v9, v8 :: v_dual_mov_b32 v10, v5
	s_mov_b32 s15, 0
.LBB120_5:                              ;   Parent Loop BB120_2 Depth=1
                                        ;     Parent Loop BB120_4 Depth=2
                                        ; =>    This Inner Loop Header: Depth=3
	s_delay_alu instid0(VALU_DEP_1) | instskip(SKIP_3) | instid1(VALU_DEP_1)
	v_add_nc_u32_e32 v9, 0x200, v9
	ds_store_b32 v10, v3
	v_add_nc_u32_e32 v10, 0x800, v10
	v_cmp_lt_u32_e64 s8, 0xdff, v9
	s_or_b32 s15, s8, s15
	s_delay_alu instid0(SALU_CYCLE_1)
	s_and_not1_b32 exec_lo, exec_lo, s15
	s_cbranch_execnz .LBB120_5
; %bb.6:                                ;   in Loop: Header=BB120_4 Depth=2
	s_or_b32 exec_lo, exec_lo, s15
	s_sub_i32 s8, 60, s14
	s_delay_alu instid0(SALU_CYCLE_1) | instskip(NEXT) | instid1(VALU_DEP_1)
	v_lshlrev_b64 v[9:10], s8, v[1:2]
	v_lshrrev_b32_e32 v9, 19, v10
	v_lshrrev_b32_e32 v10, 30, v10
	s_delay_alu instid0(VALU_DEP_2) | instskip(NEXT) | instid1(VALU_DEP_2)
	v_and_or_b32 v9, 0xe00, v9, v0
	v_and_b32_e32 v10, 2, v10
	s_delay_alu instid0(VALU_DEP_1)
	v_lshl_or_b32 v9, v9, 2, v10
	ds_load_u16 v10, v9
	s_waitcnt lgkmcnt(0)
	v_add_nc_u16 v11, v10, 1
	ds_store_b16 v9, v11
	s_waitcnt lgkmcnt(0)
	s_barrier
	buffer_gl0_inv
	ds_load_2addr_b32 v[11:12], v4 offset1:1
	ds_load_2addr_b32 v[13:14], v4 offset0:2 offset1:3
	ds_load_2addr_b32 v[15:16], v4 offset0:4 offset1:5
	;; [unrolled: 1-line block ×3, first 2 shown]
	s_waitcnt lgkmcnt(3)
	v_add_nc_u32_e32 v11, v12, v11
	s_waitcnt lgkmcnt(2)
	s_delay_alu instid0(VALU_DEP_1) | instskip(SKIP_1) | instid1(VALU_DEP_1)
	v_add3_u32 v11, v11, v13, v14
	s_waitcnt lgkmcnt(1)
	v_add3_u32 v11, v11, v15, v16
	s_waitcnt lgkmcnt(0)
	s_delay_alu instid0(VALU_DEP_1) | instskip(NEXT) | instid1(VALU_DEP_1)
	v_add3_u32 v11, v11, v17, v18
	v_mov_b32_dpp v12, v11 row_shr:1 row_mask:0xf bank_mask:0xf
	s_delay_alu instid0(VALU_DEP_1) | instskip(NEXT) | instid1(VALU_DEP_1)
	v_cndmask_b32_e64 v12, v12, 0, s2
	v_add_nc_u32_e32 v11, v12, v11
	s_delay_alu instid0(VALU_DEP_1) | instskip(NEXT) | instid1(VALU_DEP_1)
	v_mov_b32_dpp v12, v11 row_shr:2 row_mask:0xf bank_mask:0xf
	v_cndmask_b32_e64 v12, 0, v12, s3
	s_delay_alu instid0(VALU_DEP_1) | instskip(NEXT) | instid1(VALU_DEP_1)
	v_add_nc_u32_e32 v11, v11, v12
	v_mov_b32_dpp v12, v11 row_shr:4 row_mask:0xf bank_mask:0xf
	s_delay_alu instid0(VALU_DEP_1) | instskip(NEXT) | instid1(VALU_DEP_1)
	v_cndmask_b32_e64 v12, 0, v12, s4
	v_add_nc_u32_e32 v11, v11, v12
	s_delay_alu instid0(VALU_DEP_1) | instskip(NEXT) | instid1(VALU_DEP_1)
	v_mov_b32_dpp v12, v11 row_shr:8 row_mask:0xf bank_mask:0xf
	v_cndmask_b32_e64 v12, 0, v12, s5
	s_delay_alu instid0(VALU_DEP_1) | instskip(SKIP_3) | instid1(VALU_DEP_1)
	v_add_nc_u32_e32 v11, v11, v12
	ds_swizzle_b32 v12, v11 offset:swizzle(BROADCAST,32,15)
	s_waitcnt lgkmcnt(0)
	v_cndmask_b32_e64 v12, v12, 0, s6
	v_add_nc_u32_e32 v11, v11, v12
	s_and_saveexec_b32 s8, s7
	s_cbranch_execz .LBB120_8
; %bb.7:                                ;   in Loop: Header=BB120_4 Depth=2
	ds_store_b32 v6, v11 offset:16384
.LBB120_8:                              ;   in Loop: Header=BB120_4 Depth=2
	s_or_b32 exec_lo, exec_lo, s8
	s_waitcnt lgkmcnt(0)
	s_barrier
	buffer_gl0_inv
	s_and_saveexec_b32 s8, vcc_lo
	s_cbranch_execz .LBB120_10
; %bb.9:                                ;   in Loop: Header=BB120_4 Depth=2
	ds_load_b32 v12, v5 offset:16384
	s_waitcnt lgkmcnt(0)
	v_mov_b32_dpp v13, v12 row_shr:1 row_mask:0xf bank_mask:0xf
	s_delay_alu instid0(VALU_DEP_1) | instskip(NEXT) | instid1(VALU_DEP_1)
	v_cndmask_b32_e64 v13, v13, 0, s2
	v_add_nc_u32_e32 v12, v13, v12
	s_delay_alu instid0(VALU_DEP_1) | instskip(NEXT) | instid1(VALU_DEP_1)
	v_mov_b32_dpp v13, v12 row_shr:2 row_mask:0xf bank_mask:0xf
	v_cndmask_b32_e64 v13, 0, v13, s3
	s_delay_alu instid0(VALU_DEP_1) | instskip(NEXT) | instid1(VALU_DEP_1)
	v_add_nc_u32_e32 v12, v12, v13
	v_mov_b32_dpp v13, v12 row_shr:4 row_mask:0xf bank_mask:0xf
	s_delay_alu instid0(VALU_DEP_1) | instskip(NEXT) | instid1(VALU_DEP_1)
	v_cndmask_b32_e64 v13, 0, v13, s4
	v_add_nc_u32_e32 v12, v12, v13
	s_delay_alu instid0(VALU_DEP_1) | instskip(NEXT) | instid1(VALU_DEP_1)
	v_mov_b32_dpp v13, v12 row_shr:8 row_mask:0xf bank_mask:0xf
	v_cndmask_b32_e64 v13, 0, v13, s5
	s_delay_alu instid0(VALU_DEP_1)
	v_add_nc_u32_e32 v12, v12, v13
	ds_store_b32 v5, v12 offset:16384
.LBB120_10:                             ;   in Loop: Header=BB120_4 Depth=2
	s_or_b32 exec_lo, exec_lo, s8
	v_mov_b32_e32 v12, 0
	s_waitcnt lgkmcnt(0)
	s_barrier
	buffer_gl0_inv
	s_and_saveexec_b32 s8, s0
	s_cbranch_execz .LBB120_3
; %bb.11:                               ;   in Loop: Header=BB120_4 Depth=2
	ds_load_b32 v12, v6 offset:16380
	s_branch .LBB120_3
.LBB120_12:
	ds_load_u16 v1, v9
	v_and_b32_e32 v2, 0xffff, v10
	s_lshl_b64 s[0:1], s[12:13], 2
	v_lshlrev_b32_e32 v0, 2, v0
	s_add_u32 s0, s10, s0
	s_addc_u32 s1, s11, s1
	s_waitcnt lgkmcnt(0)
	v_add_nc_u32_e32 v1, v1, v2
	global_store_b32 v0, v1, s[0:1]
	s_nop 0
	s_sendmsg sendmsg(MSG_DEALLOC_VGPRS)
	s_endpgm
	.section	.rodata,"a",@progbits
	.p2align	6, 0x0
	.amdhsa_kernel _Z11rank_kernelIxLj4ELb0EL18RadixRankAlgorithm0ELj512ELj1ELj10EEvPKT_Pi
		.amdhsa_group_segment_fixed_size 16448
		.amdhsa_private_segment_fixed_size 0
		.amdhsa_kernarg_size 16
		.amdhsa_user_sgpr_count 15
		.amdhsa_user_sgpr_dispatch_ptr 0
		.amdhsa_user_sgpr_queue_ptr 0
		.amdhsa_user_sgpr_kernarg_segment_ptr 1
		.amdhsa_user_sgpr_dispatch_id 0
		.amdhsa_user_sgpr_private_segment_size 0
		.amdhsa_wavefront_size32 1
		.amdhsa_uses_dynamic_stack 0
		.amdhsa_enable_private_segment 0
		.amdhsa_system_sgpr_workgroup_id_x 1
		.amdhsa_system_sgpr_workgroup_id_y 0
		.amdhsa_system_sgpr_workgroup_id_z 0
		.amdhsa_system_sgpr_workgroup_info 0
		.amdhsa_system_vgpr_workitem_id 0
		.amdhsa_next_free_vgpr 19
		.amdhsa_next_free_sgpr 16
		.amdhsa_reserve_vcc 1
		.amdhsa_float_round_mode_32 0
		.amdhsa_float_round_mode_16_64 0
		.amdhsa_float_denorm_mode_32 3
		.amdhsa_float_denorm_mode_16_64 3
		.amdhsa_dx10_clamp 1
		.amdhsa_ieee_mode 1
		.amdhsa_fp16_overflow 0
		.amdhsa_workgroup_processor_mode 1
		.amdhsa_memory_ordered 1
		.amdhsa_forward_progress 0
		.amdhsa_shared_vgpr_count 0
		.amdhsa_exception_fp_ieee_invalid_op 0
		.amdhsa_exception_fp_denorm_src 0
		.amdhsa_exception_fp_ieee_div_zero 0
		.amdhsa_exception_fp_ieee_overflow 0
		.amdhsa_exception_fp_ieee_underflow 0
		.amdhsa_exception_fp_ieee_inexact 0
		.amdhsa_exception_int_div_zero 0
	.end_amdhsa_kernel
	.section	.text._Z11rank_kernelIxLj4ELb0EL18RadixRankAlgorithm0ELj512ELj1ELj10EEvPKT_Pi,"axG",@progbits,_Z11rank_kernelIxLj4ELb0EL18RadixRankAlgorithm0ELj512ELj1ELj10EEvPKT_Pi,comdat
.Lfunc_end120:
	.size	_Z11rank_kernelIxLj4ELb0EL18RadixRankAlgorithm0ELj512ELj1ELj10EEvPKT_Pi, .Lfunc_end120-_Z11rank_kernelIxLj4ELb0EL18RadixRankAlgorithm0ELj512ELj1ELj10EEvPKT_Pi
                                        ; -- End function
	.section	.AMDGPU.csdata,"",@progbits
; Kernel info:
; codeLenInByte = 1084
; NumSgprs: 18
; NumVgprs: 19
; ScratchSize: 0
; MemoryBound: 0
; FloatMode: 240
; IeeeMode: 1
; LDSByteSize: 16448 bytes/workgroup (compile time only)
; SGPRBlocks: 2
; VGPRBlocks: 2
; NumSGPRsForWavesPerEU: 18
; NumVGPRsForWavesPerEU: 19
; Occupancy: 16
; WaveLimiterHint : 0
; COMPUTE_PGM_RSRC2:SCRATCH_EN: 0
; COMPUTE_PGM_RSRC2:USER_SGPR: 15
; COMPUTE_PGM_RSRC2:TRAP_HANDLER: 0
; COMPUTE_PGM_RSRC2:TGID_X_EN: 1
; COMPUTE_PGM_RSRC2:TGID_Y_EN: 0
; COMPUTE_PGM_RSRC2:TGID_Z_EN: 0
; COMPUTE_PGM_RSRC2:TIDIG_COMP_CNT: 0
	.section	.text._Z11rank_kernelIxLj4ELb0EL18RadixRankAlgorithm1ELj512ELj1ELj10EEvPKT_Pi,"axG",@progbits,_Z11rank_kernelIxLj4ELb0EL18RadixRankAlgorithm1ELj512ELj1ELj10EEvPKT_Pi,comdat
	.protected	_Z11rank_kernelIxLj4ELb0EL18RadixRankAlgorithm1ELj512ELj1ELj10EEvPKT_Pi ; -- Begin function _Z11rank_kernelIxLj4ELb0EL18RadixRankAlgorithm1ELj512ELj1ELj10EEvPKT_Pi
	.globl	_Z11rank_kernelIxLj4ELb0EL18RadixRankAlgorithm1ELj512ELj1ELj10EEvPKT_Pi
	.p2align	8
	.type	_Z11rank_kernelIxLj4ELb0EL18RadixRankAlgorithm1ELj512ELj1ELj10EEvPKT_Pi,@function
_Z11rank_kernelIxLj4ELb0EL18RadixRankAlgorithm1ELj512ELj1ELj10EEvPKT_Pi: ; @_Z11rank_kernelIxLj4ELb0EL18RadixRankAlgorithm1ELj512ELj1ELj10EEvPKT_Pi
; %bb.0:
	s_load_b128 s[8:11], s[0:1], 0x0
	s_mov_b32 s13, 0
	s_lshl_b32 s12, s15, 9
	v_lshlrev_b32_e32 v1, 3, v0
	s_lshl_b64 s[0:1], s[12:13], 3
	v_mbcnt_lo_u32_b32 v3, -1, 0
	v_or_b32_e32 v6, 31, v0
	v_lshrrev_b32_e32 v8, 3, v0
	v_dual_mov_b32 v11, 0 :: v_dual_lshlrev_b32 v12, 5, v0
	s_delay_alu instid0(VALU_DEP_4)
	v_add_nc_u32_e32 v7, -1, v3
	v_and_b32_e32 v4, 15, v3
	v_and_b32_e32 v5, 16, v3
	v_cmp_gt_u32_e32 vcc_lo, 16, v0
	v_lshlrev_b32_e32 v13, 2, v0
	v_cmp_gt_i32_e64 s5, 0, v7
	v_cmp_eq_u32_e64 s2, 0, v4
	v_cmp_lt_u32_e64 s3, 1, v4
	v_cmp_lt_u32_e64 s4, 3, v4
	v_cmp_eq_u32_e64 s6, 0, v5
	s_waitcnt lgkmcnt(0)
	s_add_u32 s0, s8, s0
	s_addc_u32 s1, s9, s1
	v_cmp_eq_u32_e64 s7, v6, v0
	global_load_b64 v[1:2], v1, s[0:1]
	v_cmp_eq_u32_e64 s1, 0, v3
	v_cndmask_b32_e64 v3, v7, v3, s5
	v_cmp_lt_u32_e64 s0, 31, v0
	v_cmp_lt_u32_e64 s5, 7, v4
	v_and_b32_e32 v14, 60, v8
	v_or_b32_e32 v16, 0xfffffe00, v0
	v_lshlrev_b32_e32 v15, 2, v3
	s_mov_b32 s9, s13
	s_waitcnt vmcnt(0)
	v_xor_b32_e32 v2, 0x80000000, v2
	s_branch .LBB121_2
.LBB121_1:                              ;   in Loop: Header=BB121_2 Depth=1
	s_add_i32 s9, s9, 1
	s_delay_alu instid0(SALU_CYCLE_1)
	s_cmp_eq_u32 s9, 10
	s_cbranch_scc1 .LBB121_12
.LBB121_2:                              ; =>This Loop Header: Depth=1
                                        ;     Child Loop BB121_4 Depth 2
                                        ;       Child Loop BB121_5 Depth 3
	s_mov_b32 s14, 0
	s_branch .LBB121_4
.LBB121_3:                              ;   in Loop: Header=BB121_4 Depth=2
	s_or_b32 exec_lo, exec_lo, s8
	s_waitcnt lgkmcnt(0)
	v_add_nc_u32_e32 v4, v19, v4
	ds_load_b32 v20, v11 offset:16444
	s_add_i32 s8, s14, 4
	s_cmp_lt_u32 s14, 60
	s_mov_b32 s14, s8
	ds_bpermute_b32 v4, v15, v4
	s_waitcnt lgkmcnt(0)
	v_cndmask_b32_e64 v4, v4, v19, s1
	s_delay_alu instid0(VALU_DEP_1) | instskip(NEXT) | instid1(VALU_DEP_1)
	v_lshl_add_u32 v4, v20, 16, v4
	v_add_nc_u32_e32 v9, v4, v9
	s_delay_alu instid0(VALU_DEP_1) | instskip(NEXT) | instid1(VALU_DEP_1)
	v_add_nc_u32_e32 v10, v9, v10
	v_add_nc_u32_e32 v7, v10, v7
	s_delay_alu instid0(VALU_DEP_1) | instskip(NEXT) | instid1(VALU_DEP_1)
	v_add_nc_u32_e32 v8, v7, v8
	;; [unrolled: 3-line block ×3, first 2 shown]
	v_add_nc_u32_e32 v3, v6, v3
	ds_store_2addr_b32 v12, v4, v9 offset1:1
	ds_store_2addr_b32 v12, v10, v7 offset0:2 offset1:3
	ds_store_2addr_b32 v12, v8, v5 offset0:4 offset1:5
	;; [unrolled: 1-line block ×3, first 2 shown]
	s_waitcnt lgkmcnt(0)
	s_barrier
	buffer_gl0_inv
	s_cbranch_scc0 .LBB121_1
.LBB121_4:                              ;   Parent Loop BB121_2 Depth=1
                                        ; =>  This Loop Header: Depth=2
                                        ;       Child Loop BB121_5 Depth 3
	v_dual_mov_b32 v3, v16 :: v_dual_mov_b32 v4, v13
	s_mov_b32 s15, 0
.LBB121_5:                              ;   Parent Loop BB121_2 Depth=1
                                        ;     Parent Loop BB121_4 Depth=2
                                        ; =>    This Inner Loop Header: Depth=3
	s_delay_alu instid0(VALU_DEP_1) | instskip(SKIP_3) | instid1(VALU_DEP_1)
	v_add_nc_u32_e32 v3, 0x200, v3
	ds_store_b32 v4, v11
	v_add_nc_u32_e32 v4, 0x800, v4
	v_cmp_lt_u32_e64 s8, 0xdff, v3
	s_or_b32 s15, s8, s15
	s_delay_alu instid0(SALU_CYCLE_1)
	s_and_not1_b32 exec_lo, exec_lo, s15
	s_cbranch_execnz .LBB121_5
; %bb.6:                                ;   in Loop: Header=BB121_4 Depth=2
	s_or_b32 exec_lo, exec_lo, s15
	s_sub_i32 s8, 60, s14
	s_delay_alu instid0(SALU_CYCLE_1) | instskip(NEXT) | instid1(VALU_DEP_1)
	v_lshlrev_b64 v[3:4], s8, v[1:2]
	v_lshrrev_b32_e32 v3, 19, v4
	v_lshrrev_b32_e32 v4, 30, v4
	s_delay_alu instid0(VALU_DEP_2) | instskip(NEXT) | instid1(VALU_DEP_2)
	v_and_or_b32 v3, 0xe00, v3, v0
	v_and_b32_e32 v4, 2, v4
	s_delay_alu instid0(VALU_DEP_1)
	v_lshl_or_b32 v17, v3, 2, v4
	ds_load_u16 v18, v17
	s_waitcnt lgkmcnt(0)
	v_add_nc_u16 v3, v18, 1
	ds_store_b16 v17, v3
	s_waitcnt lgkmcnt(0)
	s_barrier
	buffer_gl0_inv
	ds_load_2addr_b32 v[9:10], v12 offset1:1
	ds_load_2addr_b32 v[7:8], v12 offset0:2 offset1:3
	ds_load_2addr_b32 v[5:6], v12 offset0:4 offset1:5
	ds_load_2addr_b32 v[3:4], v12 offset0:6 offset1:7
	s_waitcnt lgkmcnt(3)
	v_add_nc_u32_e32 v19, v10, v9
	s_waitcnt lgkmcnt(2)
	s_delay_alu instid0(VALU_DEP_1) | instskip(SKIP_1) | instid1(VALU_DEP_1)
	v_add3_u32 v19, v19, v7, v8
	s_waitcnt lgkmcnt(1)
	v_add3_u32 v19, v19, v5, v6
	s_waitcnt lgkmcnt(0)
	s_delay_alu instid0(VALU_DEP_1) | instskip(NEXT) | instid1(VALU_DEP_1)
	v_add3_u32 v4, v19, v3, v4
	v_mov_b32_dpp v19, v4 row_shr:1 row_mask:0xf bank_mask:0xf
	s_delay_alu instid0(VALU_DEP_1) | instskip(NEXT) | instid1(VALU_DEP_1)
	v_cndmask_b32_e64 v19, v19, 0, s2
	v_add_nc_u32_e32 v4, v19, v4
	s_delay_alu instid0(VALU_DEP_1) | instskip(NEXT) | instid1(VALU_DEP_1)
	v_mov_b32_dpp v19, v4 row_shr:2 row_mask:0xf bank_mask:0xf
	v_cndmask_b32_e64 v19, 0, v19, s3
	s_delay_alu instid0(VALU_DEP_1) | instskip(NEXT) | instid1(VALU_DEP_1)
	v_add_nc_u32_e32 v4, v4, v19
	v_mov_b32_dpp v19, v4 row_shr:4 row_mask:0xf bank_mask:0xf
	s_delay_alu instid0(VALU_DEP_1) | instskip(NEXT) | instid1(VALU_DEP_1)
	v_cndmask_b32_e64 v19, 0, v19, s4
	v_add_nc_u32_e32 v4, v4, v19
	s_delay_alu instid0(VALU_DEP_1) | instskip(NEXT) | instid1(VALU_DEP_1)
	v_mov_b32_dpp v19, v4 row_shr:8 row_mask:0xf bank_mask:0xf
	v_cndmask_b32_e64 v19, 0, v19, s5
	s_delay_alu instid0(VALU_DEP_1) | instskip(SKIP_3) | instid1(VALU_DEP_1)
	v_add_nc_u32_e32 v4, v4, v19
	ds_swizzle_b32 v19, v4 offset:swizzle(BROADCAST,32,15)
	s_waitcnt lgkmcnt(0)
	v_cndmask_b32_e64 v19, v19, 0, s6
	v_add_nc_u32_e32 v4, v4, v19
	s_and_saveexec_b32 s8, s7
	s_cbranch_execz .LBB121_8
; %bb.7:                                ;   in Loop: Header=BB121_4 Depth=2
	ds_store_b32 v14, v4 offset:16384
.LBB121_8:                              ;   in Loop: Header=BB121_4 Depth=2
	s_or_b32 exec_lo, exec_lo, s8
	s_waitcnt lgkmcnt(0)
	s_barrier
	buffer_gl0_inv
	s_and_saveexec_b32 s8, vcc_lo
	s_cbranch_execz .LBB121_10
; %bb.9:                                ;   in Loop: Header=BB121_4 Depth=2
	ds_load_b32 v19, v13 offset:16384
	s_waitcnt lgkmcnt(0)
	v_mov_b32_dpp v20, v19 row_shr:1 row_mask:0xf bank_mask:0xf
	s_delay_alu instid0(VALU_DEP_1) | instskip(NEXT) | instid1(VALU_DEP_1)
	v_cndmask_b32_e64 v20, v20, 0, s2
	v_add_nc_u32_e32 v19, v20, v19
	s_delay_alu instid0(VALU_DEP_1) | instskip(NEXT) | instid1(VALU_DEP_1)
	v_mov_b32_dpp v20, v19 row_shr:2 row_mask:0xf bank_mask:0xf
	v_cndmask_b32_e64 v20, 0, v20, s3
	s_delay_alu instid0(VALU_DEP_1) | instskip(NEXT) | instid1(VALU_DEP_1)
	v_add_nc_u32_e32 v19, v19, v20
	v_mov_b32_dpp v20, v19 row_shr:4 row_mask:0xf bank_mask:0xf
	s_delay_alu instid0(VALU_DEP_1) | instskip(NEXT) | instid1(VALU_DEP_1)
	v_cndmask_b32_e64 v20, 0, v20, s4
	v_add_nc_u32_e32 v19, v19, v20
	s_delay_alu instid0(VALU_DEP_1) | instskip(NEXT) | instid1(VALU_DEP_1)
	v_mov_b32_dpp v20, v19 row_shr:8 row_mask:0xf bank_mask:0xf
	v_cndmask_b32_e64 v20, 0, v20, s5
	s_delay_alu instid0(VALU_DEP_1)
	v_add_nc_u32_e32 v19, v19, v20
	ds_store_b32 v13, v19 offset:16384
.LBB121_10:                             ;   in Loop: Header=BB121_4 Depth=2
	s_or_b32 exec_lo, exec_lo, s8
	v_mov_b32_e32 v19, 0
	s_waitcnt lgkmcnt(0)
	s_barrier
	buffer_gl0_inv
	s_and_saveexec_b32 s8, s0
	s_cbranch_execz .LBB121_3
; %bb.11:                               ;   in Loop: Header=BB121_4 Depth=2
	ds_load_b32 v19, v14 offset:16380
	s_branch .LBB121_3
.LBB121_12:
	ds_load_u16 v1, v17
	v_and_b32_e32 v2, 0xffff, v18
	s_lshl_b64 s[0:1], s[12:13], 2
	v_lshlrev_b32_e32 v0, 2, v0
	s_add_u32 s0, s10, s0
	s_addc_u32 s1, s11, s1
	s_waitcnt lgkmcnt(0)
	v_add_nc_u32_e32 v1, v1, v2
	global_store_b32 v0, v1, s[0:1]
	s_nop 0
	s_sendmsg sendmsg(MSG_DEALLOC_VGPRS)
	s_endpgm
	.section	.rodata,"a",@progbits
	.p2align	6, 0x0
	.amdhsa_kernel _Z11rank_kernelIxLj4ELb0EL18RadixRankAlgorithm1ELj512ELj1ELj10EEvPKT_Pi
		.amdhsa_group_segment_fixed_size 16448
		.amdhsa_private_segment_fixed_size 0
		.amdhsa_kernarg_size 16
		.amdhsa_user_sgpr_count 15
		.amdhsa_user_sgpr_dispatch_ptr 0
		.amdhsa_user_sgpr_queue_ptr 0
		.amdhsa_user_sgpr_kernarg_segment_ptr 1
		.amdhsa_user_sgpr_dispatch_id 0
		.amdhsa_user_sgpr_private_segment_size 0
		.amdhsa_wavefront_size32 1
		.amdhsa_uses_dynamic_stack 0
		.amdhsa_enable_private_segment 0
		.amdhsa_system_sgpr_workgroup_id_x 1
		.amdhsa_system_sgpr_workgroup_id_y 0
		.amdhsa_system_sgpr_workgroup_id_z 0
		.amdhsa_system_sgpr_workgroup_info 0
		.amdhsa_system_vgpr_workitem_id 0
		.amdhsa_next_free_vgpr 21
		.amdhsa_next_free_sgpr 16
		.amdhsa_reserve_vcc 1
		.amdhsa_float_round_mode_32 0
		.amdhsa_float_round_mode_16_64 0
		.amdhsa_float_denorm_mode_32 3
		.amdhsa_float_denorm_mode_16_64 3
		.amdhsa_dx10_clamp 1
		.amdhsa_ieee_mode 1
		.amdhsa_fp16_overflow 0
		.amdhsa_workgroup_processor_mode 1
		.amdhsa_memory_ordered 1
		.amdhsa_forward_progress 0
		.amdhsa_shared_vgpr_count 0
		.amdhsa_exception_fp_ieee_invalid_op 0
		.amdhsa_exception_fp_denorm_src 0
		.amdhsa_exception_fp_ieee_div_zero 0
		.amdhsa_exception_fp_ieee_overflow 0
		.amdhsa_exception_fp_ieee_underflow 0
		.amdhsa_exception_fp_ieee_inexact 0
		.amdhsa_exception_int_div_zero 0
	.end_amdhsa_kernel
	.section	.text._Z11rank_kernelIxLj4ELb0EL18RadixRankAlgorithm1ELj512ELj1ELj10EEvPKT_Pi,"axG",@progbits,_Z11rank_kernelIxLj4ELb0EL18RadixRankAlgorithm1ELj512ELj1ELj10EEvPKT_Pi,comdat
.Lfunc_end121:
	.size	_Z11rank_kernelIxLj4ELb0EL18RadixRankAlgorithm1ELj512ELj1ELj10EEvPKT_Pi, .Lfunc_end121-_Z11rank_kernelIxLj4ELb0EL18RadixRankAlgorithm1ELj512ELj1ELj10EEvPKT_Pi
                                        ; -- End function
	.section	.AMDGPU.csdata,"",@progbits
; Kernel info:
; codeLenInByte = 1044
; NumSgprs: 18
; NumVgprs: 21
; ScratchSize: 0
; MemoryBound: 0
; FloatMode: 240
; IeeeMode: 1
; LDSByteSize: 16448 bytes/workgroup (compile time only)
; SGPRBlocks: 2
; VGPRBlocks: 2
; NumSGPRsForWavesPerEU: 18
; NumVGPRsForWavesPerEU: 21
; Occupancy: 16
; WaveLimiterHint : 0
; COMPUTE_PGM_RSRC2:SCRATCH_EN: 0
; COMPUTE_PGM_RSRC2:USER_SGPR: 15
; COMPUTE_PGM_RSRC2:TRAP_HANDLER: 0
; COMPUTE_PGM_RSRC2:TGID_X_EN: 1
; COMPUTE_PGM_RSRC2:TGID_Y_EN: 0
; COMPUTE_PGM_RSRC2:TGID_Z_EN: 0
; COMPUTE_PGM_RSRC2:TIDIG_COMP_CNT: 0
	.section	.text._Z11rank_kernelIxLj4ELb0EL18RadixRankAlgorithm2ELj512ELj1ELj10EEvPKT_Pi,"axG",@progbits,_Z11rank_kernelIxLj4ELb0EL18RadixRankAlgorithm2ELj512ELj1ELj10EEvPKT_Pi,comdat
	.protected	_Z11rank_kernelIxLj4ELb0EL18RadixRankAlgorithm2ELj512ELj1ELj10EEvPKT_Pi ; -- Begin function _Z11rank_kernelIxLj4ELb0EL18RadixRankAlgorithm2ELj512ELj1ELj10EEvPKT_Pi
	.globl	_Z11rank_kernelIxLj4ELb0EL18RadixRankAlgorithm2ELj512ELj1ELj10EEvPKT_Pi
	.p2align	8
	.type	_Z11rank_kernelIxLj4ELb0EL18RadixRankAlgorithm2ELj512ELj1ELj10EEvPKT_Pi,@function
_Z11rank_kernelIxLj4ELb0EL18RadixRankAlgorithm2ELj512ELj1ELj10EEvPKT_Pi: ; @_Z11rank_kernelIxLj4ELb0EL18RadixRankAlgorithm2ELj512ELj1ELj10EEvPKT_Pi
; %bb.0:
	s_clause 0x1
	s_load_b128 s[8:11], s[0:1], 0x0
	s_load_b32 s5, s[0:1], 0x1c
	v_dual_mov_b32 v4, 0 :: v_dual_and_b32 v1, 0x3ff, v0
	s_mov_b32 s13, 0
	s_lshl_b32 s12, s15, 9
	v_mbcnt_lo_u32_b32 v5, -1, 0
	s_lshl_b64 s[2:3], s[12:13], 3
	v_lshlrev_b32_e32 v2, 3, v1
	v_bfe_u32 v6, v0, 10, 10
	v_bfe_u32 v7, v0, 20, 10
	v_and_b32_e32 v8, 15, v5
	v_add_nc_u32_e32 v10, -1, v5
	v_and_b32_e32 v9, 16, v5
	v_lshrrev_b32_e32 v11, 3, v1
	v_cmp_eq_u32_e32 vcc_lo, 0, v5
	v_lshlrev_b32_e32 v0, 2, v1
	s_mov_b32 s16, s13
	v_cmp_eq_u32_e64 s4, 0, v9
	v_or_b32_e32 v9, 31, v1
	s_waitcnt lgkmcnt(0)
	s_add_u32 s0, s8, s2
	s_addc_u32 s1, s9, s3
	s_lshr_b32 s6, s5, 16
	global_load_b64 v[2:3], v2, s[0:1]
	v_mad_u32_u24 v6, v7, s6, v6
	s_and_b32 s5, s5, 0xffff
	v_cmp_eq_u32_e64 s0, 0, v8
	v_cmp_lt_u32_e64 s1, 1, v8
	v_cmp_lt_u32_e64 s2, 3, v8
	;; [unrolled: 1-line block ×4, first 2 shown]
	v_cmp_eq_u32_e64 s7, v9, v1
	s_waitcnt vmcnt(0)
	v_mad_u64_u32 v[7:8], null, v6, s5, v[1:2]
	v_cmp_gt_i32_e64 s5, 0, v10
	v_xor_b32_e32 v3, 0x80000000, v3
	s_delay_alu instid0(VALU_DEP_2) | instskip(SKIP_3) | instid1(VALU_DEP_4)
	v_cndmask_b32_e64 v6, v10, v5, s5
	v_and_b32_e32 v5, 60, v11
	v_cmp_gt_u32_e64 s5, 16, v1
	v_lshrrev_b32_e32 v7, 5, v7
	v_lshlrev_b32_e32 v6, 2, v6
	s_delay_alu instid0(VALU_DEP_4)
	v_add_nc_u32_e32 v8, -4, v5
	s_branch .LBB122_2
.LBB122_1:                              ;   in Loop: Header=BB122_2 Depth=1
	s_add_i32 s16, s16, 1
	s_delay_alu instid0(SALU_CYCLE_1)
	s_cmp_eq_u32 s16, 10
	s_cbranch_scc1 .LBB122_12
.LBB122_2:                              ; =>This Loop Header: Depth=1
                                        ;     Child Loop BB122_4 Depth 2
	s_mov_b64 s[14:15], 60
	s_mov_b32 s17, -4
	s_branch .LBB122_4
.LBB122_3:                              ;   in Loop: Header=BB122_4 Depth=2
	s_or_b32 exec_lo, exec_lo, s8
	s_waitcnt lgkmcnt(0)
	v_add_nc_u32_e32 v11, v12, v11
	s_add_i32 s17, s17, 4
	s_add_u32 s14, s14, -4
	s_addc_u32 s15, s15, -1
	s_cmp_lt_u32 s17, 60
	ds_bpermute_b32 v11, v6, v11
	s_waitcnt lgkmcnt(0)
	v_cndmask_b32_e32 v11, v11, v12, vcc_lo
	ds_store_b32 v0, v11 offset:64
	s_waitcnt lgkmcnt(0)
	s_barrier
	buffer_gl0_inv
	s_cbranch_scc0 .LBB122_1
.LBB122_4:                              ;   Parent Loop BB122_2 Depth=1
                                        ; =>  This Inner Loop Header: Depth=2
	v_lshlrev_b64 v[9:10], s14, v[2:3]
	ds_store_b32 v0, v4 offset:64
	s_waitcnt lgkmcnt(0)
	s_barrier
	buffer_gl0_inv
	v_bfe_u32 v9, v10, 28, 1
	v_lshrrev_b32_e32 v12, 28, v10
	v_and_b32_e32 v10, 0xf0000000, v10
	; wave barrier
	s_delay_alu instid0(VALU_DEP_3) | instskip(NEXT) | instid1(VALU_DEP_1)
	v_add_co_u32 v9, s8, v9, -1
	v_cndmask_b32_e64 v11, 0, 1, s8
	s_delay_alu instid0(VALU_DEP_4) | instskip(SKIP_2) | instid1(VALU_DEP_4)
	v_lshlrev_b32_e32 v13, 30, v12
	v_lshlrev_b32_e32 v14, 29, v12
	v_not_b32_e32 v15, v10
	v_cmp_ne_u32_e64 s8, 0, v11
	s_delay_alu instid0(VALU_DEP_4) | instskip(SKIP_2) | instid1(VALU_DEP_4)
	v_not_b32_e32 v11, v13
	v_cmp_gt_i32_e64 s9, 0, v13
	v_not_b32_e32 v13, v14
	v_xor_b32_e32 v9, s8, v9
	s_delay_alu instid0(VALU_DEP_4) | instskip(SKIP_1) | instid1(VALU_DEP_4)
	v_ashrrev_i32_e32 v11, 31, v11
	v_cmp_gt_i32_e64 s8, 0, v14
	v_ashrrev_i32_e32 v13, 31, v13
	s_delay_alu instid0(VALU_DEP_4) | instskip(NEXT) | instid1(VALU_DEP_4)
	v_and_b32_e32 v9, exec_lo, v9
	v_xor_b32_e32 v11, s9, v11
	v_cmp_gt_i32_e64 s9, 0, v10
	v_ashrrev_i32_e32 v10, 31, v15
	v_xor_b32_e32 v13, s8, v13
	s_delay_alu instid0(VALU_DEP_4) | instskip(NEXT) | instid1(VALU_DEP_3)
	v_and_b32_e32 v9, v9, v11
	v_xor_b32_e32 v10, s9, v10
	s_delay_alu instid0(VALU_DEP_2) | instskip(NEXT) | instid1(VALU_DEP_1)
	v_and_b32_e32 v9, v9, v13
	v_and_b32_e32 v11, v9, v10
	v_mad_u32_u24 v10, v12, 17, v7
	s_delay_alu instid0(VALU_DEP_2) | instskip(SKIP_1) | instid1(VALU_DEP_3)
	v_mbcnt_lo_u32_b32 v9, v11, 0
	v_cmp_ne_u32_e64 s9, 0, v11
	v_lshl_add_u32 v10, v10, 2, 64
	s_delay_alu instid0(VALU_DEP_3) | instskip(NEXT) | instid1(VALU_DEP_1)
	v_cmp_eq_u32_e64 s8, 0, v9
	s_and_b32 s9, s9, s8
	s_delay_alu instid0(SALU_CYCLE_1)
	s_and_saveexec_b32 s8, s9
	s_cbranch_execz .LBB122_6
; %bb.5:                                ;   in Loop: Header=BB122_4 Depth=2
	v_bcnt_u32_b32 v11, v11, 0
	ds_store_b32 v10, v11
.LBB122_6:                              ;   in Loop: Header=BB122_4 Depth=2
	s_or_b32 exec_lo, exec_lo, s8
	; wave barrier
	s_waitcnt lgkmcnt(0)
	s_barrier
	buffer_gl0_inv
	ds_load_b32 v11, v0 offset:64
	s_waitcnt lgkmcnt(0)
	v_mov_b32_dpp v12, v11 row_shr:1 row_mask:0xf bank_mask:0xf
	s_delay_alu instid0(VALU_DEP_1) | instskip(NEXT) | instid1(VALU_DEP_1)
	v_cndmask_b32_e64 v12, v12, 0, s0
	v_add_nc_u32_e32 v11, v12, v11
	s_delay_alu instid0(VALU_DEP_1) | instskip(NEXT) | instid1(VALU_DEP_1)
	v_mov_b32_dpp v12, v11 row_shr:2 row_mask:0xf bank_mask:0xf
	v_cndmask_b32_e64 v12, 0, v12, s1
	s_delay_alu instid0(VALU_DEP_1) | instskip(NEXT) | instid1(VALU_DEP_1)
	v_add_nc_u32_e32 v11, v11, v12
	v_mov_b32_dpp v12, v11 row_shr:4 row_mask:0xf bank_mask:0xf
	s_delay_alu instid0(VALU_DEP_1) | instskip(NEXT) | instid1(VALU_DEP_1)
	v_cndmask_b32_e64 v12, 0, v12, s2
	v_add_nc_u32_e32 v11, v11, v12
	s_delay_alu instid0(VALU_DEP_1) | instskip(NEXT) | instid1(VALU_DEP_1)
	v_mov_b32_dpp v12, v11 row_shr:8 row_mask:0xf bank_mask:0xf
	v_cndmask_b32_e64 v12, 0, v12, s3
	s_delay_alu instid0(VALU_DEP_1) | instskip(SKIP_3) | instid1(VALU_DEP_1)
	v_add_nc_u32_e32 v11, v11, v12
	ds_swizzle_b32 v12, v11 offset:swizzle(BROADCAST,32,15)
	s_waitcnt lgkmcnt(0)
	v_cndmask_b32_e64 v12, v12, 0, s4
	v_add_nc_u32_e32 v11, v11, v12
	s_and_saveexec_b32 s8, s7
	s_cbranch_execz .LBB122_8
; %bb.7:                                ;   in Loop: Header=BB122_4 Depth=2
	ds_store_b32 v5, v11
.LBB122_8:                              ;   in Loop: Header=BB122_4 Depth=2
	s_or_b32 exec_lo, exec_lo, s8
	s_waitcnt lgkmcnt(0)
	s_barrier
	buffer_gl0_inv
	s_and_saveexec_b32 s8, s5
	s_cbranch_execz .LBB122_10
; %bb.9:                                ;   in Loop: Header=BB122_4 Depth=2
	ds_load_b32 v12, v0
	s_waitcnt lgkmcnt(0)
	v_mov_b32_dpp v13, v12 row_shr:1 row_mask:0xf bank_mask:0xf
	s_delay_alu instid0(VALU_DEP_1) | instskip(NEXT) | instid1(VALU_DEP_1)
	v_cndmask_b32_e64 v13, v13, 0, s0
	v_add_nc_u32_e32 v12, v13, v12
	s_delay_alu instid0(VALU_DEP_1) | instskip(NEXT) | instid1(VALU_DEP_1)
	v_mov_b32_dpp v13, v12 row_shr:2 row_mask:0xf bank_mask:0xf
	v_cndmask_b32_e64 v13, 0, v13, s1
	s_delay_alu instid0(VALU_DEP_1) | instskip(NEXT) | instid1(VALU_DEP_1)
	v_add_nc_u32_e32 v12, v12, v13
	v_mov_b32_dpp v13, v12 row_shr:4 row_mask:0xf bank_mask:0xf
	s_delay_alu instid0(VALU_DEP_1) | instskip(NEXT) | instid1(VALU_DEP_1)
	v_cndmask_b32_e64 v13, 0, v13, s2
	v_add_nc_u32_e32 v12, v12, v13
	s_delay_alu instid0(VALU_DEP_1) | instskip(NEXT) | instid1(VALU_DEP_1)
	v_mov_b32_dpp v13, v12 row_shr:8 row_mask:0xf bank_mask:0xf
	v_cndmask_b32_e64 v13, 0, v13, s3
	s_delay_alu instid0(VALU_DEP_1)
	v_add_nc_u32_e32 v12, v12, v13
	ds_store_b32 v0, v12
.LBB122_10:                             ;   in Loop: Header=BB122_4 Depth=2
	s_or_b32 exec_lo, exec_lo, s8
	v_mov_b32_e32 v12, 0
	s_waitcnt lgkmcnt(0)
	s_barrier
	buffer_gl0_inv
	s_and_saveexec_b32 s8, s6
	s_cbranch_execz .LBB122_3
; %bb.11:                               ;   in Loop: Header=BB122_4 Depth=2
	ds_load_b32 v12, v8
	s_branch .LBB122_3
.LBB122_12:
	ds_load_b32 v0, v10
	s_lshl_b64 s[0:1], s[12:13], 2
	v_lshlrev_b32_e32 v1, 2, v1
	s_add_u32 s0, s10, s0
	s_addc_u32 s1, s11, s1
	s_waitcnt lgkmcnt(0)
	v_add_nc_u32_e32 v0, v0, v9
	global_store_b32 v1, v0, s[0:1]
	s_nop 0
	s_sendmsg sendmsg(MSG_DEALLOC_VGPRS)
	s_endpgm
	.section	.rodata,"a",@progbits
	.p2align	6, 0x0
	.amdhsa_kernel _Z11rank_kernelIxLj4ELb0EL18RadixRankAlgorithm2ELj512ELj1ELj10EEvPKT_Pi
		.amdhsa_group_segment_fixed_size 2112
		.amdhsa_private_segment_fixed_size 0
		.amdhsa_kernarg_size 272
		.amdhsa_user_sgpr_count 15
		.amdhsa_user_sgpr_dispatch_ptr 0
		.amdhsa_user_sgpr_queue_ptr 0
		.amdhsa_user_sgpr_kernarg_segment_ptr 1
		.amdhsa_user_sgpr_dispatch_id 0
		.amdhsa_user_sgpr_private_segment_size 0
		.amdhsa_wavefront_size32 1
		.amdhsa_uses_dynamic_stack 0
		.amdhsa_enable_private_segment 0
		.amdhsa_system_sgpr_workgroup_id_x 1
		.amdhsa_system_sgpr_workgroup_id_y 0
		.amdhsa_system_sgpr_workgroup_id_z 0
		.amdhsa_system_sgpr_workgroup_info 0
		.amdhsa_system_vgpr_workitem_id 2
		.amdhsa_next_free_vgpr 16
		.amdhsa_next_free_sgpr 18
		.amdhsa_reserve_vcc 1
		.amdhsa_float_round_mode_32 0
		.amdhsa_float_round_mode_16_64 0
		.amdhsa_float_denorm_mode_32 3
		.amdhsa_float_denorm_mode_16_64 3
		.amdhsa_dx10_clamp 1
		.amdhsa_ieee_mode 1
		.amdhsa_fp16_overflow 0
		.amdhsa_workgroup_processor_mode 1
		.amdhsa_memory_ordered 1
		.amdhsa_forward_progress 0
		.amdhsa_shared_vgpr_count 0
		.amdhsa_exception_fp_ieee_invalid_op 0
		.amdhsa_exception_fp_denorm_src 0
		.amdhsa_exception_fp_ieee_div_zero 0
		.amdhsa_exception_fp_ieee_overflow 0
		.amdhsa_exception_fp_ieee_underflow 0
		.amdhsa_exception_fp_ieee_inexact 0
		.amdhsa_exception_int_div_zero 0
	.end_amdhsa_kernel
	.section	.text._Z11rank_kernelIxLj4ELb0EL18RadixRankAlgorithm2ELj512ELj1ELj10EEvPKT_Pi,"axG",@progbits,_Z11rank_kernelIxLj4ELb0EL18RadixRankAlgorithm2ELj512ELj1ELj10EEvPKT_Pi,comdat
.Lfunc_end122:
	.size	_Z11rank_kernelIxLj4ELb0EL18RadixRankAlgorithm2ELj512ELj1ELj10EEvPKT_Pi, .Lfunc_end122-_Z11rank_kernelIxLj4ELb0EL18RadixRankAlgorithm2ELj512ELj1ELj10EEvPKT_Pi
                                        ; -- End function
	.section	.AMDGPU.csdata,"",@progbits
; Kernel info:
; codeLenInByte = 1068
; NumSgprs: 20
; NumVgprs: 16
; ScratchSize: 0
; MemoryBound: 0
; FloatMode: 240
; IeeeMode: 1
; LDSByteSize: 2112 bytes/workgroup (compile time only)
; SGPRBlocks: 2
; VGPRBlocks: 1
; NumSGPRsForWavesPerEU: 20
; NumVGPRsForWavesPerEU: 16
; Occupancy: 16
; WaveLimiterHint : 0
; COMPUTE_PGM_RSRC2:SCRATCH_EN: 0
; COMPUTE_PGM_RSRC2:USER_SGPR: 15
; COMPUTE_PGM_RSRC2:TRAP_HANDLER: 0
; COMPUTE_PGM_RSRC2:TGID_X_EN: 1
; COMPUTE_PGM_RSRC2:TGID_Y_EN: 0
; COMPUTE_PGM_RSRC2:TGID_Z_EN: 0
; COMPUTE_PGM_RSRC2:TIDIG_COMP_CNT: 2
	.section	.text._Z11rank_kernelIxLj4ELb0EL18RadixRankAlgorithm0ELj512ELj4ELj10EEvPKT_Pi,"axG",@progbits,_Z11rank_kernelIxLj4ELb0EL18RadixRankAlgorithm0ELj512ELj4ELj10EEvPKT_Pi,comdat
	.protected	_Z11rank_kernelIxLj4ELb0EL18RadixRankAlgorithm0ELj512ELj4ELj10EEvPKT_Pi ; -- Begin function _Z11rank_kernelIxLj4ELb0EL18RadixRankAlgorithm0ELj512ELj4ELj10EEvPKT_Pi
	.globl	_Z11rank_kernelIxLj4ELb0EL18RadixRankAlgorithm0ELj512ELj4ELj10EEvPKT_Pi
	.p2align	8
	.type	_Z11rank_kernelIxLj4ELb0EL18RadixRankAlgorithm0ELj512ELj4ELj10EEvPKT_Pi,@function
_Z11rank_kernelIxLj4ELb0EL18RadixRankAlgorithm0ELj512ELj4ELj10EEvPKT_Pi: ; @_Z11rank_kernelIxLj4ELb0EL18RadixRankAlgorithm0ELj512ELj4ELj10EEvPKT_Pi
; %bb.0:
	s_load_b128 s[8:11], s[0:1], 0x0
	s_mov_b32 s13, 0
	s_lshl_b32 s12, s15, 11
	v_dual_mov_b32 v11, 0 :: v_dual_lshlrev_b32 v10, 5, v0
	s_lshl_b64 s[0:1], s[12:13], 3
	v_mbcnt_lo_u32_b32 v12, -1, 0
	v_or_b32_e32 v15, 31, v0
	v_lshrrev_b32_e32 v17, 3, v0
	v_lshlrev_b32_e32 v9, 2, v0
	v_cmp_gt_u32_e32 vcc_lo, 16, v0
	v_add_nc_u32_e32 v16, -1, v12
	v_and_b32_e32 v13, 15, v12
	v_and_b32_e32 v14, 16, v12
	v_cmp_eq_u32_e64 s7, v15, v0
	s_delay_alu instid0(VALU_DEP_4) | instskip(NEXT) | instid1(VALU_DEP_4)
	v_cmp_gt_i32_e64 s5, 0, v16
	v_cmp_eq_u32_e64 s2, 0, v13
	v_cmp_lt_u32_e64 s3, 1, v13
	v_cmp_lt_u32_e64 s4, 3, v13
	s_waitcnt lgkmcnt(0)
	s_add_u32 s0, s8, s0
	s_addc_u32 s1, s9, s1
	v_cndmask_b32_e64 v16, v16, v12, s5
	s_clause 0x1
	global_load_b128 v[1:4], v10, s[0:1]
	global_load_b128 v[5:8], v10, s[0:1] offset:16
	v_cmp_lt_u32_e64 s0, 31, v0
	v_cmp_eq_u32_e64 s1, 0, v12
	v_cmp_lt_u32_e64 s5, 7, v13
	v_cmp_eq_u32_e64 s6, 0, v14
	v_and_b32_e32 v12, 60, v17
	v_lshlrev_b32_e32 v13, 2, v16
	v_or_b32_e32 v14, 0xfffffe00, v0
	s_mov_b32 s9, s13
	s_waitcnt vmcnt(1)
	v_xor_b32_e32 v2, 0x80000000, v2
	v_xor_b32_e32 v4, 0x80000000, v4
	s_waitcnt vmcnt(0)
	v_xor_b32_e32 v6, 0x80000000, v6
	v_xor_b32_e32 v8, 0x80000000, v8
	s_branch .LBB123_2
.LBB123_1:                              ;   in Loop: Header=BB123_2 Depth=1
	s_add_i32 s9, s9, 1
	s_delay_alu instid0(SALU_CYCLE_1)
	s_cmp_eq_u32 s9, 10
	s_cbranch_scc1 .LBB123_12
.LBB123_2:                              ; =>This Loop Header: Depth=1
                                        ;     Child Loop BB123_4 Depth 2
                                        ;       Child Loop BB123_5 Depth 3
	s_mov_b32 s14, 0
	s_branch .LBB123_4
.LBB123_3:                              ;   in Loop: Header=BB123_4 Depth=2
	s_or_b32 exec_lo, exec_lo, s8
	s_waitcnt lgkmcnt(0)
	v_add_nc_u32_e32 v23, v24, v23
	ds_load_b32 v27, v11 offset:16444
	ds_load_2addr_b32 v[25:26], v10 offset1:1
	s_add_i32 s8, s14, 4
	s_cmp_lt_u32 s14, 60
	s_mov_b32 s14, s8
	ds_bpermute_b32 v23, v13, v23
	s_waitcnt lgkmcnt(0)
	v_cndmask_b32_e64 v28, v23, v24, s1
	ds_load_2addr_b32 v[23:24], v10 offset0:2 offset1:3
	v_lshl_add_u32 v29, v27, 16, v28
	ds_load_2addr_b32 v[27:28], v10 offset0:4 offset1:5
	ds_load_b32 v30, v10 offset:24
	v_add_nc_u32_e32 v25, v29, v25
	s_delay_alu instid0(VALU_DEP_1) | instskip(SKIP_1) | instid1(VALU_DEP_1)
	v_add_nc_u32_e32 v26, v26, v25
	s_waitcnt lgkmcnt(2)
	v_add_nc_u32_e32 v23, v23, v26
	s_delay_alu instid0(VALU_DEP_1) | instskip(SKIP_1) | instid1(VALU_DEP_1)
	v_add_nc_u32_e32 v24, v24, v23
	s_waitcnt lgkmcnt(1)
	;; [unrolled: 4-line block ×3, first 2 shown]
	v_add_nc_u32_e32 v30, v30, v28
	ds_store_2addr_b32 v10, v29, v25 offset1:1
	ds_store_2addr_b32 v10, v26, v23 offset0:2 offset1:3
	ds_store_2addr_b32 v10, v24, v27 offset0:4 offset1:5
	;; [unrolled: 1-line block ×3, first 2 shown]
	s_waitcnt lgkmcnt(0)
	s_barrier
	buffer_gl0_inv
	s_cbranch_scc0 .LBB123_1
.LBB123_4:                              ;   Parent Loop BB123_2 Depth=1
                                        ; =>  This Loop Header: Depth=2
                                        ;       Child Loop BB123_5 Depth 3
	v_dual_mov_b32 v15, v14 :: v_dual_mov_b32 v16, v9
	s_mov_b32 s15, 0
.LBB123_5:                              ;   Parent Loop BB123_2 Depth=1
                                        ;     Parent Loop BB123_4 Depth=2
                                        ; =>    This Inner Loop Header: Depth=3
	s_delay_alu instid0(VALU_DEP_1) | instskip(SKIP_3) | instid1(VALU_DEP_1)
	v_add_nc_u32_e32 v15, 0x200, v15
	ds_store_b32 v16, v11
	v_add_nc_u32_e32 v16, 0x800, v16
	v_cmp_lt_u32_e64 s8, 0xdff, v15
	s_or_b32 s15, s8, s15
	s_delay_alu instid0(SALU_CYCLE_1)
	s_and_not1_b32 exec_lo, exec_lo, s15
	s_cbranch_execnz .LBB123_5
; %bb.6:                                ;   in Loop: Header=BB123_4 Depth=2
	s_or_b32 exec_lo, exec_lo, s15
	s_sub_i32 s8, 60, s14
	s_delay_alu instid0(SALU_CYCLE_1) | instskip(SKIP_1) | instid1(VALU_DEP_2)
	v_lshlrev_b64 v[15:16], s8, v[1:2]
	v_lshlrev_b64 v[17:18], s8, v[3:4]
	v_lshrrev_b32_e32 v15, 19, v16
	v_lshrrev_b32_e32 v16, 30, v16
	s_delay_alu instid0(VALU_DEP_3) | instskip(SKIP_1) | instid1(VALU_DEP_4)
	v_lshrrev_b32_e32 v17, 19, v18
	v_lshrrev_b32_e32 v18, 30, v18
	v_and_or_b32 v15, 0xe00, v15, v0
	s_delay_alu instid0(VALU_DEP_4) | instskip(NEXT) | instid1(VALU_DEP_4)
	v_and_b32_e32 v16, 2, v16
	v_and_or_b32 v17, 0xe00, v17, v0
	s_delay_alu instid0(VALU_DEP_4) | instskip(NEXT) | instid1(VALU_DEP_3)
	v_and_b32_e32 v18, 2, v18
	v_lshl_or_b32 v16, v15, 2, v16
	s_delay_alu instid0(VALU_DEP_2)
	v_lshl_or_b32 v18, v17, 2, v18
	ds_load_u16 v15, v16
	s_waitcnt lgkmcnt(0)
	v_add_nc_u16 v19, v15, 1
	ds_store_b16 v16, v19
	ds_load_u16 v17, v18
	v_lshlrev_b64 v[19:20], s8, v[5:6]
	s_delay_alu instid0(VALU_DEP_1) | instskip(SKIP_1) | instid1(VALU_DEP_2)
	v_lshrrev_b32_e32 v19, 19, v20
	v_lshrrev_b32_e32 v20, 30, v20
	v_and_or_b32 v19, 0xe00, v19, v0
	s_delay_alu instid0(VALU_DEP_2) | instskip(NEXT) | instid1(VALU_DEP_1)
	v_and_b32_e32 v20, 2, v20
	v_lshl_or_b32 v20, v19, 2, v20
	s_waitcnt lgkmcnt(0)
	v_add_nc_u16 v21, v17, 1
	ds_store_b16 v18, v21
	ds_load_u16 v19, v20
	v_lshlrev_b64 v[21:22], s8, v[7:8]
	s_delay_alu instid0(VALU_DEP_1) | instskip(SKIP_1) | instid1(VALU_DEP_2)
	v_lshrrev_b32_e32 v21, 19, v22
	v_lshrrev_b32_e32 v22, 30, v22
	v_and_or_b32 v21, 0xe00, v21, v0
	s_delay_alu instid0(VALU_DEP_2) | instskip(NEXT) | instid1(VALU_DEP_1)
	v_and_b32_e32 v22, 2, v22
	v_lshl_or_b32 v22, v21, 2, v22
	s_waitcnt lgkmcnt(0)
	v_add_nc_u16 v23, v19, 1
	ds_store_b16 v20, v23
	ds_load_u16 v21, v22
	s_waitcnt lgkmcnt(0)
	v_add_nc_u16 v23, v21, 1
	ds_store_b16 v22, v23
	s_waitcnt lgkmcnt(0)
	s_barrier
	buffer_gl0_inv
	ds_load_2addr_b32 v[23:24], v10 offset1:1
	ds_load_2addr_b32 v[25:26], v10 offset0:2 offset1:3
	ds_load_2addr_b32 v[27:28], v10 offset0:4 offset1:5
	;; [unrolled: 1-line block ×3, first 2 shown]
	s_waitcnt lgkmcnt(3)
	v_add_nc_u32_e32 v23, v24, v23
	s_waitcnt lgkmcnt(2)
	s_delay_alu instid0(VALU_DEP_1) | instskip(SKIP_1) | instid1(VALU_DEP_1)
	v_add3_u32 v23, v23, v25, v26
	s_waitcnt lgkmcnt(1)
	v_add3_u32 v23, v23, v27, v28
	s_waitcnt lgkmcnt(0)
	s_delay_alu instid0(VALU_DEP_1) | instskip(NEXT) | instid1(VALU_DEP_1)
	v_add3_u32 v23, v23, v29, v30
	v_mov_b32_dpp v24, v23 row_shr:1 row_mask:0xf bank_mask:0xf
	s_delay_alu instid0(VALU_DEP_1) | instskip(NEXT) | instid1(VALU_DEP_1)
	v_cndmask_b32_e64 v24, v24, 0, s2
	v_add_nc_u32_e32 v23, v24, v23
	s_delay_alu instid0(VALU_DEP_1) | instskip(NEXT) | instid1(VALU_DEP_1)
	v_mov_b32_dpp v24, v23 row_shr:2 row_mask:0xf bank_mask:0xf
	v_cndmask_b32_e64 v24, 0, v24, s3
	s_delay_alu instid0(VALU_DEP_1) | instskip(NEXT) | instid1(VALU_DEP_1)
	v_add_nc_u32_e32 v23, v23, v24
	v_mov_b32_dpp v24, v23 row_shr:4 row_mask:0xf bank_mask:0xf
	s_delay_alu instid0(VALU_DEP_1) | instskip(NEXT) | instid1(VALU_DEP_1)
	v_cndmask_b32_e64 v24, 0, v24, s4
	v_add_nc_u32_e32 v23, v23, v24
	s_delay_alu instid0(VALU_DEP_1) | instskip(NEXT) | instid1(VALU_DEP_1)
	v_mov_b32_dpp v24, v23 row_shr:8 row_mask:0xf bank_mask:0xf
	v_cndmask_b32_e64 v24, 0, v24, s5
	s_delay_alu instid0(VALU_DEP_1) | instskip(SKIP_3) | instid1(VALU_DEP_1)
	v_add_nc_u32_e32 v23, v23, v24
	ds_swizzle_b32 v24, v23 offset:swizzle(BROADCAST,32,15)
	s_waitcnt lgkmcnt(0)
	v_cndmask_b32_e64 v24, v24, 0, s6
	v_add_nc_u32_e32 v23, v23, v24
	s_and_saveexec_b32 s8, s7
	s_cbranch_execz .LBB123_8
; %bb.7:                                ;   in Loop: Header=BB123_4 Depth=2
	ds_store_b32 v12, v23 offset:16384
.LBB123_8:                              ;   in Loop: Header=BB123_4 Depth=2
	s_or_b32 exec_lo, exec_lo, s8
	s_waitcnt lgkmcnt(0)
	s_barrier
	buffer_gl0_inv
	s_and_saveexec_b32 s8, vcc_lo
	s_cbranch_execz .LBB123_10
; %bb.9:                                ;   in Loop: Header=BB123_4 Depth=2
	ds_load_b32 v24, v9 offset:16384
	s_waitcnt lgkmcnt(0)
	v_mov_b32_dpp v25, v24 row_shr:1 row_mask:0xf bank_mask:0xf
	s_delay_alu instid0(VALU_DEP_1) | instskip(NEXT) | instid1(VALU_DEP_1)
	v_cndmask_b32_e64 v25, v25, 0, s2
	v_add_nc_u32_e32 v24, v25, v24
	s_delay_alu instid0(VALU_DEP_1) | instskip(NEXT) | instid1(VALU_DEP_1)
	v_mov_b32_dpp v25, v24 row_shr:2 row_mask:0xf bank_mask:0xf
	v_cndmask_b32_e64 v25, 0, v25, s3
	s_delay_alu instid0(VALU_DEP_1) | instskip(NEXT) | instid1(VALU_DEP_1)
	v_add_nc_u32_e32 v24, v24, v25
	v_mov_b32_dpp v25, v24 row_shr:4 row_mask:0xf bank_mask:0xf
	s_delay_alu instid0(VALU_DEP_1) | instskip(NEXT) | instid1(VALU_DEP_1)
	v_cndmask_b32_e64 v25, 0, v25, s4
	v_add_nc_u32_e32 v24, v24, v25
	s_delay_alu instid0(VALU_DEP_1) | instskip(NEXT) | instid1(VALU_DEP_1)
	v_mov_b32_dpp v25, v24 row_shr:8 row_mask:0xf bank_mask:0xf
	v_cndmask_b32_e64 v25, 0, v25, s5
	s_delay_alu instid0(VALU_DEP_1)
	v_add_nc_u32_e32 v24, v24, v25
	ds_store_b32 v9, v24 offset:16384
.LBB123_10:                             ;   in Loop: Header=BB123_4 Depth=2
	s_or_b32 exec_lo, exec_lo, s8
	v_mov_b32_e32 v24, 0
	s_waitcnt lgkmcnt(0)
	s_barrier
	buffer_gl0_inv
	s_and_saveexec_b32 s8, s0
	s_cbranch_execz .LBB123_3
; %bb.11:                               ;   in Loop: Header=BB123_4 Depth=2
	ds_load_b32 v24, v12 offset:16380
	s_branch .LBB123_3
.LBB123_12:
	ds_load_u16 v0, v16
	ds_load_u16 v1, v18
	;; [unrolled: 1-line block ×4, first 2 shown]
	v_and_b32_e32 v4, 0xffff, v15
	v_and_b32_e32 v5, 0xffff, v17
	;; [unrolled: 1-line block ×4, first 2 shown]
	s_lshl_b64 s[0:1], s[12:13], 2
	s_delay_alu instid0(SALU_CYCLE_1)
	s_add_u32 s0, s10, s0
	s_addc_u32 s1, s11, s1
	s_waitcnt lgkmcnt(3)
	v_add_nc_u32_e32 v0, v0, v4
	s_waitcnt lgkmcnt(2)
	v_add_nc_u32_e32 v1, v1, v5
	;; [unrolled: 2-line block ×4, first 2 shown]
	v_lshlrev_b32_e32 v4, 2, v9
	global_store_b128 v4, v[0:3], s[0:1]
	s_nop 0
	s_sendmsg sendmsg(MSG_DEALLOC_VGPRS)
	s_endpgm
	.section	.rodata,"a",@progbits
	.p2align	6, 0x0
	.amdhsa_kernel _Z11rank_kernelIxLj4ELb0EL18RadixRankAlgorithm0ELj512ELj4ELj10EEvPKT_Pi
		.amdhsa_group_segment_fixed_size 16448
		.amdhsa_private_segment_fixed_size 0
		.amdhsa_kernarg_size 16
		.amdhsa_user_sgpr_count 15
		.amdhsa_user_sgpr_dispatch_ptr 0
		.amdhsa_user_sgpr_queue_ptr 0
		.amdhsa_user_sgpr_kernarg_segment_ptr 1
		.amdhsa_user_sgpr_dispatch_id 0
		.amdhsa_user_sgpr_private_segment_size 0
		.amdhsa_wavefront_size32 1
		.amdhsa_uses_dynamic_stack 0
		.amdhsa_enable_private_segment 0
		.amdhsa_system_sgpr_workgroup_id_x 1
		.amdhsa_system_sgpr_workgroup_id_y 0
		.amdhsa_system_sgpr_workgroup_id_z 0
		.amdhsa_system_sgpr_workgroup_info 0
		.amdhsa_system_vgpr_workitem_id 0
		.amdhsa_next_free_vgpr 31
		.amdhsa_next_free_sgpr 16
		.amdhsa_reserve_vcc 1
		.amdhsa_float_round_mode_32 0
		.amdhsa_float_round_mode_16_64 0
		.amdhsa_float_denorm_mode_32 3
		.amdhsa_float_denorm_mode_16_64 3
		.amdhsa_dx10_clamp 1
		.amdhsa_ieee_mode 1
		.amdhsa_fp16_overflow 0
		.amdhsa_workgroup_processor_mode 1
		.amdhsa_memory_ordered 1
		.amdhsa_forward_progress 0
		.amdhsa_shared_vgpr_count 0
		.amdhsa_exception_fp_ieee_invalid_op 0
		.amdhsa_exception_fp_denorm_src 0
		.amdhsa_exception_fp_ieee_div_zero 0
		.amdhsa_exception_fp_ieee_overflow 0
		.amdhsa_exception_fp_ieee_underflow 0
		.amdhsa_exception_fp_ieee_inexact 0
		.amdhsa_exception_int_div_zero 0
	.end_amdhsa_kernel
	.section	.text._Z11rank_kernelIxLj4ELb0EL18RadixRankAlgorithm0ELj512ELj4ELj10EEvPKT_Pi,"axG",@progbits,_Z11rank_kernelIxLj4ELb0EL18RadixRankAlgorithm0ELj512ELj4ELj10EEvPKT_Pi,comdat
.Lfunc_end123:
	.size	_Z11rank_kernelIxLj4ELb0EL18RadixRankAlgorithm0ELj512ELj4ELj10EEvPKT_Pi, .Lfunc_end123-_Z11rank_kernelIxLj4ELb0EL18RadixRankAlgorithm0ELj512ELj4ELj10EEvPKT_Pi
                                        ; -- End function
	.section	.AMDGPU.csdata,"",@progbits
; Kernel info:
; codeLenInByte = 1424
; NumSgprs: 18
; NumVgprs: 31
; ScratchSize: 0
; MemoryBound: 0
; FloatMode: 240
; IeeeMode: 1
; LDSByteSize: 16448 bytes/workgroup (compile time only)
; SGPRBlocks: 2
; VGPRBlocks: 3
; NumSGPRsForWavesPerEU: 18
; NumVGPRsForWavesPerEU: 31
; Occupancy: 16
; WaveLimiterHint : 0
; COMPUTE_PGM_RSRC2:SCRATCH_EN: 0
; COMPUTE_PGM_RSRC2:USER_SGPR: 15
; COMPUTE_PGM_RSRC2:TRAP_HANDLER: 0
; COMPUTE_PGM_RSRC2:TGID_X_EN: 1
; COMPUTE_PGM_RSRC2:TGID_Y_EN: 0
; COMPUTE_PGM_RSRC2:TGID_Z_EN: 0
; COMPUTE_PGM_RSRC2:TIDIG_COMP_CNT: 0
	.section	.text._Z11rank_kernelIxLj4ELb0EL18RadixRankAlgorithm1ELj512ELj4ELj10EEvPKT_Pi,"axG",@progbits,_Z11rank_kernelIxLj4ELb0EL18RadixRankAlgorithm1ELj512ELj4ELj10EEvPKT_Pi,comdat
	.protected	_Z11rank_kernelIxLj4ELb0EL18RadixRankAlgorithm1ELj512ELj4ELj10EEvPKT_Pi ; -- Begin function _Z11rank_kernelIxLj4ELb0EL18RadixRankAlgorithm1ELj512ELj4ELj10EEvPKT_Pi
	.globl	_Z11rank_kernelIxLj4ELb0EL18RadixRankAlgorithm1ELj512ELj4ELj10EEvPKT_Pi
	.p2align	8
	.type	_Z11rank_kernelIxLj4ELb0EL18RadixRankAlgorithm1ELj512ELj4ELj10EEvPKT_Pi,@function
_Z11rank_kernelIxLj4ELb0EL18RadixRankAlgorithm1ELj512ELj4ELj10EEvPKT_Pi: ; @_Z11rank_kernelIxLj4ELb0EL18RadixRankAlgorithm1ELj512ELj4ELj10EEvPKT_Pi
; %bb.0:
	s_load_b128 s[8:11], s[0:1], 0x0
	s_mov_b32 s13, 0
	s_lshl_b32 s12, s15, 11
	v_dual_mov_b32 v19, 0 :: v_dual_lshlrev_b32 v18, 5, v0
	s_lshl_b64 s[0:1], s[12:13], 3
	v_mbcnt_lo_u32_b32 v9, -1, 0
	v_or_b32_e32 v12, 31, v0
	v_lshrrev_b32_e32 v14, 3, v0
	v_lshlrev_b32_e32 v17, 2, v0
	v_cmp_gt_u32_e32 vcc_lo, 16, v0
	v_add_nc_u32_e32 v13, -1, v9
	v_and_b32_e32 v10, 15, v9
	v_and_b32_e32 v11, 16, v9
	v_cmp_eq_u32_e64 s7, v12, v0
	v_and_b32_e32 v20, 60, v14
	v_cmp_gt_i32_e64 s5, 0, v13
	v_cmp_eq_u32_e64 s2, 0, v10
	v_cmp_lt_u32_e64 s3, 1, v10
	v_cmp_lt_u32_e64 s4, 3, v10
	s_waitcnt lgkmcnt(0)
	s_add_u32 s0, s8, s0
	s_addc_u32 s1, s9, s1
	v_cmp_eq_u32_e64 s6, 0, v11
	s_clause 0x1
	global_load_b128 v[1:4], v18, s[0:1]
	global_load_b128 v[5:8], v18, s[0:1] offset:16
	v_cmp_eq_u32_e64 s1, 0, v9
	v_cndmask_b32_e64 v9, v13, v9, s5
	v_cmp_lt_u32_e64 s0, 31, v0
	v_cmp_lt_u32_e64 s5, 7, v10
	v_or_b32_e32 v22, 0xfffffe00, v0
	s_mov_b32 s9, s13
	v_lshlrev_b32_e32 v21, 2, v9
	s_waitcnt vmcnt(1)
	v_xor_b32_e32 v2, 0x80000000, v2
	v_xor_b32_e32 v4, 0x80000000, v4
	s_waitcnt vmcnt(0)
	v_xor_b32_e32 v6, 0x80000000, v6
	v_xor_b32_e32 v8, 0x80000000, v8
	s_branch .LBB124_2
.LBB124_1:                              ;   in Loop: Header=BB124_2 Depth=1
	s_add_i32 s9, s9, 1
	s_delay_alu instid0(SALU_CYCLE_1)
	s_cmp_eq_u32 s9, 10
	s_cbranch_scc1 .LBB124_12
.LBB124_2:                              ; =>This Loop Header: Depth=1
                                        ;     Child Loop BB124_4 Depth 2
                                        ;       Child Loop BB124_5 Depth 3
	s_mov_b32 s14, 0
	s_branch .LBB124_4
.LBB124_3:                              ;   in Loop: Header=BB124_4 Depth=2
	s_or_b32 exec_lo, exec_lo, s8
	s_waitcnt lgkmcnt(0)
	v_add_nc_u32_e32 v10, v31, v10
	ds_load_b32 v32, v19 offset:16444
	s_add_i32 s8, s14, 4
	s_cmp_lt_u32 s14, 60
	s_mov_b32 s14, s8
	ds_bpermute_b32 v10, v21, v10
	s_waitcnt lgkmcnt(0)
	v_cndmask_b32_e64 v10, v10, v31, s1
	s_delay_alu instid0(VALU_DEP_1) | instskip(NEXT) | instid1(VALU_DEP_1)
	v_lshl_add_u32 v10, v32, 16, v10
	v_add_nc_u32_e32 v15, v10, v15
	s_delay_alu instid0(VALU_DEP_1) | instskip(NEXT) | instid1(VALU_DEP_1)
	v_add_nc_u32_e32 v16, v15, v16
	v_add_nc_u32_e32 v13, v16, v13
	s_delay_alu instid0(VALU_DEP_1) | instskip(NEXT) | instid1(VALU_DEP_1)
	v_add_nc_u32_e32 v14, v13, v14
	;; [unrolled: 3-line block ×3, first 2 shown]
	v_add_nc_u32_e32 v9, v12, v9
	ds_store_2addr_b32 v18, v10, v15 offset1:1
	ds_store_2addr_b32 v18, v16, v13 offset0:2 offset1:3
	ds_store_2addr_b32 v18, v14, v11 offset0:4 offset1:5
	ds_store_2addr_b32 v18, v12, v9 offset0:6 offset1:7
	s_waitcnt lgkmcnt(0)
	s_barrier
	buffer_gl0_inv
	s_cbranch_scc0 .LBB124_1
.LBB124_4:                              ;   Parent Loop BB124_2 Depth=1
                                        ; =>  This Loop Header: Depth=2
                                        ;       Child Loop BB124_5 Depth 3
	v_dual_mov_b32 v9, v22 :: v_dual_mov_b32 v10, v17
	s_mov_b32 s15, 0
.LBB124_5:                              ;   Parent Loop BB124_2 Depth=1
                                        ;     Parent Loop BB124_4 Depth=2
                                        ; =>    This Inner Loop Header: Depth=3
	s_delay_alu instid0(VALU_DEP_1) | instskip(SKIP_3) | instid1(VALU_DEP_1)
	v_add_nc_u32_e32 v9, 0x200, v9
	ds_store_b32 v10, v19
	v_add_nc_u32_e32 v10, 0x800, v10
	v_cmp_lt_u32_e64 s8, 0xdff, v9
	s_or_b32 s15, s8, s15
	s_delay_alu instid0(SALU_CYCLE_1)
	s_and_not1_b32 exec_lo, exec_lo, s15
	s_cbranch_execnz .LBB124_5
; %bb.6:                                ;   in Loop: Header=BB124_4 Depth=2
	s_or_b32 exec_lo, exec_lo, s15
	s_sub_i32 s8, 60, s14
	s_delay_alu instid0(SALU_CYCLE_1) | instskip(NEXT) | instid1(VALU_DEP_1)
	v_lshlrev_b64 v[9:10], s8, v[1:2]
	v_lshrrev_b32_e32 v9, 19, v10
	v_lshrrev_b32_e32 v10, 30, v10
	s_delay_alu instid0(VALU_DEP_2) | instskip(NEXT) | instid1(VALU_DEP_2)
	v_and_or_b32 v9, 0xe00, v9, v0
	v_and_b32_e32 v10, 2, v10
	s_delay_alu instid0(VALU_DEP_1) | instskip(SKIP_4) | instid1(VALU_DEP_2)
	v_lshl_or_b32 v24, v9, 2, v10
	v_lshlrev_b64 v[9:10], s8, v[3:4]
	ds_load_u16 v23, v24
	v_lshrrev_b32_e32 v9, 19, v10
	v_lshrrev_b32_e32 v10, 30, v10
	v_and_or_b32 v9, 0xe00, v9, v0
	s_delay_alu instid0(VALU_DEP_2) | instskip(NEXT) | instid1(VALU_DEP_1)
	v_and_b32_e32 v10, 2, v10
	v_lshl_or_b32 v26, v9, 2, v10
	v_lshlrev_b64 v[9:10], s8, v[5:6]
	s_delay_alu instid0(VALU_DEP_1) | instskip(SKIP_3) | instid1(VALU_DEP_3)
	v_lshrrev_b32_e32 v9, 19, v10
	s_waitcnt lgkmcnt(0)
	v_add_nc_u16 v11, v23, 1
	v_lshrrev_b32_e32 v10, 30, v10
	v_and_or_b32 v9, 0xe00, v9, v0
	ds_store_b16 v24, v11
	ds_load_u16 v25, v26
	v_and_b32_e32 v10, 2, v10
	s_delay_alu instid0(VALU_DEP_1) | instskip(SKIP_1) | instid1(VALU_DEP_1)
	v_lshl_or_b32 v28, v9, 2, v10
	v_lshlrev_b64 v[9:10], s8, v[7:8]
	v_lshrrev_b32_e32 v9, 19, v10
	v_lshrrev_b32_e32 v10, 30, v10
	s_delay_alu instid0(VALU_DEP_2) | instskip(NEXT) | instid1(VALU_DEP_2)
	v_and_or_b32 v9, 0xe00, v9, v0
	v_and_b32_e32 v10, 2, v10
	s_waitcnt lgkmcnt(0)
	v_add_nc_u16 v11, v25, 1
	s_delay_alu instid0(VALU_DEP_2)
	v_lshl_or_b32 v30, v9, 2, v10
	ds_store_b16 v26, v11
	ds_load_u16 v27, v28
	s_waitcnt lgkmcnt(0)
	v_add_nc_u16 v11, v27, 1
	ds_store_b16 v28, v11
	ds_load_u16 v29, v30
	s_waitcnt lgkmcnt(0)
	v_add_nc_u16 v9, v29, 1
	ds_store_b16 v30, v9
	s_waitcnt lgkmcnt(0)
	s_barrier
	buffer_gl0_inv
	ds_load_2addr_b32 v[15:16], v18 offset1:1
	ds_load_2addr_b32 v[13:14], v18 offset0:2 offset1:3
	ds_load_2addr_b32 v[11:12], v18 offset0:4 offset1:5
	;; [unrolled: 1-line block ×3, first 2 shown]
	s_waitcnt lgkmcnt(3)
	v_add_nc_u32_e32 v31, v16, v15
	s_waitcnt lgkmcnt(2)
	s_delay_alu instid0(VALU_DEP_1) | instskip(SKIP_1) | instid1(VALU_DEP_1)
	v_add3_u32 v31, v31, v13, v14
	s_waitcnt lgkmcnt(1)
	v_add3_u32 v31, v31, v11, v12
	s_waitcnt lgkmcnt(0)
	s_delay_alu instid0(VALU_DEP_1) | instskip(NEXT) | instid1(VALU_DEP_1)
	v_add3_u32 v10, v31, v9, v10
	v_mov_b32_dpp v31, v10 row_shr:1 row_mask:0xf bank_mask:0xf
	s_delay_alu instid0(VALU_DEP_1) | instskip(NEXT) | instid1(VALU_DEP_1)
	v_cndmask_b32_e64 v31, v31, 0, s2
	v_add_nc_u32_e32 v10, v31, v10
	s_delay_alu instid0(VALU_DEP_1) | instskip(NEXT) | instid1(VALU_DEP_1)
	v_mov_b32_dpp v31, v10 row_shr:2 row_mask:0xf bank_mask:0xf
	v_cndmask_b32_e64 v31, 0, v31, s3
	s_delay_alu instid0(VALU_DEP_1) | instskip(NEXT) | instid1(VALU_DEP_1)
	v_add_nc_u32_e32 v10, v10, v31
	v_mov_b32_dpp v31, v10 row_shr:4 row_mask:0xf bank_mask:0xf
	s_delay_alu instid0(VALU_DEP_1) | instskip(NEXT) | instid1(VALU_DEP_1)
	v_cndmask_b32_e64 v31, 0, v31, s4
	v_add_nc_u32_e32 v10, v10, v31
	s_delay_alu instid0(VALU_DEP_1) | instskip(NEXT) | instid1(VALU_DEP_1)
	v_mov_b32_dpp v31, v10 row_shr:8 row_mask:0xf bank_mask:0xf
	v_cndmask_b32_e64 v31, 0, v31, s5
	s_delay_alu instid0(VALU_DEP_1) | instskip(SKIP_3) | instid1(VALU_DEP_1)
	v_add_nc_u32_e32 v10, v10, v31
	ds_swizzle_b32 v31, v10 offset:swizzle(BROADCAST,32,15)
	s_waitcnt lgkmcnt(0)
	v_cndmask_b32_e64 v31, v31, 0, s6
	v_add_nc_u32_e32 v10, v10, v31
	s_and_saveexec_b32 s8, s7
	s_cbranch_execz .LBB124_8
; %bb.7:                                ;   in Loop: Header=BB124_4 Depth=2
	ds_store_b32 v20, v10 offset:16384
.LBB124_8:                              ;   in Loop: Header=BB124_4 Depth=2
	s_or_b32 exec_lo, exec_lo, s8
	s_waitcnt lgkmcnt(0)
	s_barrier
	buffer_gl0_inv
	s_and_saveexec_b32 s8, vcc_lo
	s_cbranch_execz .LBB124_10
; %bb.9:                                ;   in Loop: Header=BB124_4 Depth=2
	ds_load_b32 v31, v17 offset:16384
	s_waitcnt lgkmcnt(0)
	v_mov_b32_dpp v32, v31 row_shr:1 row_mask:0xf bank_mask:0xf
	s_delay_alu instid0(VALU_DEP_1) | instskip(NEXT) | instid1(VALU_DEP_1)
	v_cndmask_b32_e64 v32, v32, 0, s2
	v_add_nc_u32_e32 v31, v32, v31
	s_delay_alu instid0(VALU_DEP_1) | instskip(NEXT) | instid1(VALU_DEP_1)
	v_mov_b32_dpp v32, v31 row_shr:2 row_mask:0xf bank_mask:0xf
	v_cndmask_b32_e64 v32, 0, v32, s3
	s_delay_alu instid0(VALU_DEP_1) | instskip(NEXT) | instid1(VALU_DEP_1)
	v_add_nc_u32_e32 v31, v31, v32
	v_mov_b32_dpp v32, v31 row_shr:4 row_mask:0xf bank_mask:0xf
	s_delay_alu instid0(VALU_DEP_1) | instskip(NEXT) | instid1(VALU_DEP_1)
	v_cndmask_b32_e64 v32, 0, v32, s4
	v_add_nc_u32_e32 v31, v31, v32
	s_delay_alu instid0(VALU_DEP_1) | instskip(NEXT) | instid1(VALU_DEP_1)
	v_mov_b32_dpp v32, v31 row_shr:8 row_mask:0xf bank_mask:0xf
	v_cndmask_b32_e64 v32, 0, v32, s5
	s_delay_alu instid0(VALU_DEP_1)
	v_add_nc_u32_e32 v31, v31, v32
	ds_store_b32 v17, v31 offset:16384
.LBB124_10:                             ;   in Loop: Header=BB124_4 Depth=2
	s_or_b32 exec_lo, exec_lo, s8
	v_mov_b32_e32 v31, 0
	s_waitcnt lgkmcnt(0)
	s_barrier
	buffer_gl0_inv
	s_and_saveexec_b32 s8, s0
	s_cbranch_execz .LBB124_3
; %bb.11:                               ;   in Loop: Header=BB124_4 Depth=2
	ds_load_b32 v31, v20 offset:16380
	s_branch .LBB124_3
.LBB124_12:
	ds_load_u16 v0, v24
	ds_load_u16 v1, v26
	;; [unrolled: 1-line block ×4, first 2 shown]
	v_and_b32_e32 v4, 0xffff, v23
	v_and_b32_e32 v5, 0xffff, v25
	;; [unrolled: 1-line block ×4, first 2 shown]
	s_lshl_b64 s[0:1], s[12:13], 2
	s_delay_alu instid0(SALU_CYCLE_1)
	s_add_u32 s0, s10, s0
	s_addc_u32 s1, s11, s1
	s_waitcnt lgkmcnt(3)
	v_add_nc_u32_e32 v0, v0, v4
	s_waitcnt lgkmcnt(2)
	v_add_nc_u32_e32 v1, v1, v5
	s_waitcnt lgkmcnt(1)
	v_add_nc_u32_e32 v2, v2, v6
	s_waitcnt lgkmcnt(0)
	v_add_nc_u32_e32 v3, v3, v7
	v_lshlrev_b32_e32 v4, 2, v17
	global_store_b128 v4, v[0:3], s[0:1]
	s_nop 0
	s_sendmsg sendmsg(MSG_DEALLOC_VGPRS)
	s_endpgm
	.section	.rodata,"a",@progbits
	.p2align	6, 0x0
	.amdhsa_kernel _Z11rank_kernelIxLj4ELb0EL18RadixRankAlgorithm1ELj512ELj4ELj10EEvPKT_Pi
		.amdhsa_group_segment_fixed_size 16448
		.amdhsa_private_segment_fixed_size 0
		.amdhsa_kernarg_size 16
		.amdhsa_user_sgpr_count 15
		.amdhsa_user_sgpr_dispatch_ptr 0
		.amdhsa_user_sgpr_queue_ptr 0
		.amdhsa_user_sgpr_kernarg_segment_ptr 1
		.amdhsa_user_sgpr_dispatch_id 0
		.amdhsa_user_sgpr_private_segment_size 0
		.amdhsa_wavefront_size32 1
		.amdhsa_uses_dynamic_stack 0
		.amdhsa_enable_private_segment 0
		.amdhsa_system_sgpr_workgroup_id_x 1
		.amdhsa_system_sgpr_workgroup_id_y 0
		.amdhsa_system_sgpr_workgroup_id_z 0
		.amdhsa_system_sgpr_workgroup_info 0
		.amdhsa_system_vgpr_workitem_id 0
		.amdhsa_next_free_vgpr 33
		.amdhsa_next_free_sgpr 16
		.amdhsa_reserve_vcc 1
		.amdhsa_float_round_mode_32 0
		.amdhsa_float_round_mode_16_64 0
		.amdhsa_float_denorm_mode_32 3
		.amdhsa_float_denorm_mode_16_64 3
		.amdhsa_dx10_clamp 1
		.amdhsa_ieee_mode 1
		.amdhsa_fp16_overflow 0
		.amdhsa_workgroup_processor_mode 1
		.amdhsa_memory_ordered 1
		.amdhsa_forward_progress 0
		.amdhsa_shared_vgpr_count 0
		.amdhsa_exception_fp_ieee_invalid_op 0
		.amdhsa_exception_fp_denorm_src 0
		.amdhsa_exception_fp_ieee_div_zero 0
		.amdhsa_exception_fp_ieee_overflow 0
		.amdhsa_exception_fp_ieee_underflow 0
		.amdhsa_exception_fp_ieee_inexact 0
		.amdhsa_exception_int_div_zero 0
	.end_amdhsa_kernel
	.section	.text._Z11rank_kernelIxLj4ELb0EL18RadixRankAlgorithm1ELj512ELj4ELj10EEvPKT_Pi,"axG",@progbits,_Z11rank_kernelIxLj4ELb0EL18RadixRankAlgorithm1ELj512ELj4ELj10EEvPKT_Pi,comdat
.Lfunc_end124:
	.size	_Z11rank_kernelIxLj4ELb0EL18RadixRankAlgorithm1ELj512ELj4ELj10EEvPKT_Pi, .Lfunc_end124-_Z11rank_kernelIxLj4ELb0EL18RadixRankAlgorithm1ELj512ELj4ELj10EEvPKT_Pi
                                        ; -- End function
	.section	.AMDGPU.csdata,"",@progbits
; Kernel info:
; codeLenInByte = 1376
; NumSgprs: 18
; NumVgprs: 33
; ScratchSize: 0
; MemoryBound: 0
; FloatMode: 240
; IeeeMode: 1
; LDSByteSize: 16448 bytes/workgroup (compile time only)
; SGPRBlocks: 2
; VGPRBlocks: 4
; NumSGPRsForWavesPerEU: 18
; NumVGPRsForWavesPerEU: 33
; Occupancy: 16
; WaveLimiterHint : 0
; COMPUTE_PGM_RSRC2:SCRATCH_EN: 0
; COMPUTE_PGM_RSRC2:USER_SGPR: 15
; COMPUTE_PGM_RSRC2:TRAP_HANDLER: 0
; COMPUTE_PGM_RSRC2:TGID_X_EN: 1
; COMPUTE_PGM_RSRC2:TGID_Y_EN: 0
; COMPUTE_PGM_RSRC2:TGID_Z_EN: 0
; COMPUTE_PGM_RSRC2:TIDIG_COMP_CNT: 0
	.section	.text._Z11rank_kernelIxLj4ELb0EL18RadixRankAlgorithm2ELj512ELj4ELj10EEvPKT_Pi,"axG",@progbits,_Z11rank_kernelIxLj4ELb0EL18RadixRankAlgorithm2ELj512ELj4ELj10EEvPKT_Pi,comdat
	.protected	_Z11rank_kernelIxLj4ELb0EL18RadixRankAlgorithm2ELj512ELj4ELj10EEvPKT_Pi ; -- Begin function _Z11rank_kernelIxLj4ELb0EL18RadixRankAlgorithm2ELj512ELj4ELj10EEvPKT_Pi
	.globl	_Z11rank_kernelIxLj4ELb0EL18RadixRankAlgorithm2ELj512ELj4ELj10EEvPKT_Pi
	.p2align	8
	.type	_Z11rank_kernelIxLj4ELb0EL18RadixRankAlgorithm2ELj512ELj4ELj10EEvPKT_Pi,@function
_Z11rank_kernelIxLj4ELb0EL18RadixRankAlgorithm2ELj512ELj4ELj10EEvPKT_Pi: ; @_Z11rank_kernelIxLj4ELb0EL18RadixRankAlgorithm2ELj512ELj4ELj10EEvPKT_Pi
; %bb.0:
	s_clause 0x1
	s_load_b128 s[8:11], s[0:1], 0x0
	s_load_b32 s5, s[0:1], 0x1c
	v_dual_mov_b32 v9, 0 :: v_dual_and_b32 v10, 0x3ff, v0
	s_mov_b32 s13, 0
	s_lshl_b32 s12, s15, 11
	v_mbcnt_lo_u32_b32 v11, -1, 0
	s_lshl_b64 s[2:3], s[12:13], 3
	v_lshlrev_b32_e32 v5, 5, v10
	v_bfe_u32 v12, v0, 10, 10
	v_bfe_u32 v13, v0, 20, 10
	v_and_b32_e32 v14, 15, v11
	v_add_nc_u32_e32 v16, -1, v11
	v_and_b32_e32 v15, 16, v11
	v_cmp_eq_u32_e32 vcc_lo, 0, v11
	v_lshlrev_b32_e32 v0, 2, v10
	v_cmp_lt_u32_e64 s6, 31, v10
	s_mov_b32 s16, s13
	s_waitcnt lgkmcnt(0)
	s_add_u32 s0, s8, s2
	s_addc_u32 s1, s9, s3
	s_lshr_b32 s4, s5, 16
	s_clause 0x1
	global_load_b128 v[1:4], v5, s[0:1]
	global_load_b128 v[5:8], v5, s[0:1] offset:16
	v_cmp_eq_u32_e64 s0, 0, v14
	v_cmp_lt_u32_e64 s1, 1, v14
	v_cmp_lt_u32_e64 s2, 3, v14
	;; [unrolled: 1-line block ×3, first 2 shown]
	v_mad_u32_u24 v14, v13, s4, v12
	s_and_b32 s5, s5, 0xffff
	v_cmp_eq_u32_e64 s4, 0, v15
	v_or_b32_e32 v15, 31, v10
	s_delay_alu instid0(VALU_DEP_3) | instskip(SKIP_2) | instid1(VALU_DEP_4)
	v_mad_u64_u32 v[12:13], null, v14, s5, v[10:11]
	v_cmp_gt_i32_e64 s5, 0, v16
	v_lshrrev_b32_e32 v13, 3, v10
	v_cmp_eq_u32_e64 s7, v15, v10
	s_delay_alu instid0(VALU_DEP_3) | instskip(SKIP_2) | instid1(VALU_DEP_3)
	v_cndmask_b32_e64 v11, v16, v11, s5
	v_cmp_gt_u32_e64 s5, 16, v10
	v_lshrrev_b32_e32 v12, 5, v12
	v_lshlrev_b32_e32 v10, 2, v11
	v_and_b32_e32 v11, 60, v13
	s_delay_alu instid0(VALU_DEP_1)
	v_add_nc_u32_e32 v13, -4, v11
	s_waitcnt vmcnt(1)
	v_xor_b32_e32 v2, 0x80000000, v2
	v_xor_b32_e32 v4, 0x80000000, v4
	s_waitcnt vmcnt(0)
	v_xor_b32_e32 v6, 0x80000000, v6
	v_xor_b32_e32 v8, 0x80000000, v8
	s_branch .LBB125_2
.LBB125_1:                              ;   in Loop: Header=BB125_2 Depth=1
	s_add_i32 s16, s16, 1
	s_delay_alu instid0(SALU_CYCLE_1)
	s_cmp_eq_u32 s16, 10
	s_cbranch_scc1 .LBB125_18
.LBB125_2:                              ; =>This Loop Header: Depth=1
                                        ;     Child Loop BB125_4 Depth 2
	s_mov_b64 s[14:15], 60
	s_mov_b32 s17, -4
	s_branch .LBB125_4
.LBB125_3:                              ;   in Loop: Header=BB125_4 Depth=2
	s_or_b32 exec_lo, exec_lo, s8
	s_waitcnt lgkmcnt(0)
	v_add_nc_u32_e32 v25, v26, v25
	s_add_i32 s17, s17, 4
	s_add_u32 s14, s14, -4
	s_addc_u32 s15, s15, -1
	s_cmp_lt_u32 s17, 60
	ds_bpermute_b32 v25, v10, v25
	s_waitcnt lgkmcnt(0)
	v_cndmask_b32_e32 v25, v25, v26, vcc_lo
	ds_store_b32 v0, v25 offset:64
	s_waitcnt lgkmcnt(0)
	s_barrier
	buffer_gl0_inv
	s_cbranch_scc0 .LBB125_1
.LBB125_4:                              ;   Parent Loop BB125_2 Depth=1
                                        ; =>  This Inner Loop Header: Depth=2
	v_lshlrev_b64 v[14:15], s14, v[1:2]
	ds_store_b32 v0, v9 offset:64
	s_waitcnt lgkmcnt(0)
	s_barrier
	buffer_gl0_inv
	v_bfe_u32 v14, v15, 28, 1
	v_lshrrev_b32_e32 v17, 28, v15
	v_and_b32_e32 v15, 0xf0000000, v15
	; wave barrier
	s_delay_alu instid0(VALU_DEP_3) | instskip(NEXT) | instid1(VALU_DEP_1)
	v_add_co_u32 v14, s8, v14, -1
	v_cndmask_b32_e64 v16, 0, 1, s8
	s_delay_alu instid0(VALU_DEP_4) | instskip(SKIP_2) | instid1(VALU_DEP_4)
	v_lshlrev_b32_e32 v18, 30, v17
	v_lshlrev_b32_e32 v19, 29, v17
	v_not_b32_e32 v20, v15
	v_cmp_ne_u32_e64 s8, 0, v16
	s_delay_alu instid0(VALU_DEP_4) | instskip(SKIP_2) | instid1(VALU_DEP_4)
	v_not_b32_e32 v16, v18
	v_cmp_gt_i32_e64 s9, 0, v18
	v_not_b32_e32 v18, v19
	v_xor_b32_e32 v14, s8, v14
	s_delay_alu instid0(VALU_DEP_4) | instskip(SKIP_1) | instid1(VALU_DEP_4)
	v_ashrrev_i32_e32 v16, 31, v16
	v_cmp_gt_i32_e64 s8, 0, v19
	v_ashrrev_i32_e32 v18, 31, v18
	s_delay_alu instid0(VALU_DEP_4) | instskip(NEXT) | instid1(VALU_DEP_4)
	v_and_b32_e32 v14, exec_lo, v14
	v_xor_b32_e32 v16, s9, v16
	v_cmp_gt_i32_e64 s9, 0, v15
	v_ashrrev_i32_e32 v15, 31, v20
	v_xor_b32_e32 v18, s8, v18
	s_delay_alu instid0(VALU_DEP_4) | instskip(NEXT) | instid1(VALU_DEP_3)
	v_and_b32_e32 v14, v14, v16
	v_xor_b32_e32 v15, s9, v15
	s_delay_alu instid0(VALU_DEP_2) | instskip(NEXT) | instid1(VALU_DEP_1)
	v_and_b32_e32 v14, v14, v18
	v_and_b32_e32 v16, v14, v15
	v_mad_u32_u24 v15, v17, 17, v12
	s_delay_alu instid0(VALU_DEP_2) | instskip(SKIP_1) | instid1(VALU_DEP_3)
	v_mbcnt_lo_u32_b32 v14, v16, 0
	v_cmp_ne_u32_e64 s9, 0, v16
	v_lshl_add_u32 v15, v15, 2, 64
	s_delay_alu instid0(VALU_DEP_3) | instskip(NEXT) | instid1(VALU_DEP_1)
	v_cmp_eq_u32_e64 s8, 0, v14
	s_and_b32 s9, s9, s8
	s_delay_alu instid0(SALU_CYCLE_1)
	s_and_saveexec_b32 s8, s9
	s_cbranch_execz .LBB125_6
; %bb.5:                                ;   in Loop: Header=BB125_4 Depth=2
	v_bcnt_u32_b32 v16, v16, 0
	ds_store_b32 v15, v16
.LBB125_6:                              ;   in Loop: Header=BB125_4 Depth=2
	s_or_b32 exec_lo, exec_lo, s8
	v_lshlrev_b64 v[16:17], s14, v[3:4]
	; wave barrier
	s_delay_alu instid0(VALU_DEP_1) | instskip(SKIP_2) | instid1(VALU_DEP_3)
	v_bfe_u32 v16, v17, 28, 1
	v_lshrrev_b32_e32 v18, 28, v17
	v_and_b32_e32 v17, 0xf0000000, v17
	v_add_co_u32 v16, s8, v16, -1
	s_delay_alu instid0(VALU_DEP_1) | instskip(NEXT) | instid1(VALU_DEP_4)
	v_cndmask_b32_e64 v19, 0, 1, s8
	v_lshlrev_b32_e32 v20, 30, v18
	v_lshlrev_b32_e32 v21, 29, v18
	v_not_b32_e32 v22, v17
	v_mul_u32_u24_e32 v18, 17, v18
	v_cmp_ne_u32_e64 s8, 0, v19
	v_not_b32_e32 v19, v20
	v_cmp_gt_i32_e64 s9, 0, v20
	v_not_b32_e32 v20, v21
	v_add_lshl_u32 v18, v12, v18, 2
	v_xor_b32_e32 v16, s8, v16
	v_ashrrev_i32_e32 v19, 31, v19
	v_cmp_gt_i32_e64 s8, 0, v21
	v_ashrrev_i32_e32 v20, 31, v20
	s_delay_alu instid0(VALU_DEP_4) | instskip(NEXT) | instid1(VALU_DEP_4)
	v_and_b32_e32 v16, exec_lo, v16
	v_xor_b32_e32 v19, s9, v19
	v_cmp_gt_i32_e64 s9, 0, v17
	v_ashrrev_i32_e32 v17, 31, v22
	v_xor_b32_e32 v20, s8, v20
	s_delay_alu instid0(VALU_DEP_4) | instskip(NEXT) | instid1(VALU_DEP_3)
	v_and_b32_e32 v16, v16, v19
	v_xor_b32_e32 v17, s9, v17
	s_delay_alu instid0(VALU_DEP_2) | instskip(SKIP_3) | instid1(VALU_DEP_1)
	v_and_b32_e32 v19, v16, v20
	ds_load_b32 v16, v18 offset:64
	v_add_nc_u32_e32 v18, 64, v18
	; wave barrier
	v_and_b32_e32 v19, v19, v17
	v_mbcnt_lo_u32_b32 v17, v19, 0
	v_cmp_ne_u32_e64 s9, 0, v19
	s_delay_alu instid0(VALU_DEP_2) | instskip(NEXT) | instid1(VALU_DEP_1)
	v_cmp_eq_u32_e64 s8, 0, v17
	s_and_b32 s9, s9, s8
	s_delay_alu instid0(SALU_CYCLE_1)
	s_and_saveexec_b32 s8, s9
	s_cbranch_execz .LBB125_8
; %bb.7:                                ;   in Loop: Header=BB125_4 Depth=2
	s_waitcnt lgkmcnt(0)
	v_bcnt_u32_b32 v19, v19, v16
	ds_store_b32 v18, v19
.LBB125_8:                              ;   in Loop: Header=BB125_4 Depth=2
	s_or_b32 exec_lo, exec_lo, s8
	v_lshlrev_b64 v[19:20], s14, v[5:6]
	; wave barrier
	s_delay_alu instid0(VALU_DEP_1) | instskip(SKIP_2) | instid1(VALU_DEP_3)
	v_bfe_u32 v19, v20, 28, 1
	v_lshrrev_b32_e32 v21, 28, v20
	v_and_b32_e32 v20, 0xf0000000, v20
	v_add_co_u32 v19, s8, v19, -1
	s_delay_alu instid0(VALU_DEP_1) | instskip(NEXT) | instid1(VALU_DEP_4)
	v_cndmask_b32_e64 v22, 0, 1, s8
	v_lshlrev_b32_e32 v23, 30, v21
	v_lshlrev_b32_e32 v24, 29, v21
	v_not_b32_e32 v25, v20
	v_mul_u32_u24_e32 v21, 17, v21
	v_cmp_ne_u32_e64 s8, 0, v22
	v_not_b32_e32 v22, v23
	v_cmp_gt_i32_e64 s9, 0, v23
	v_not_b32_e32 v23, v24
	v_add_lshl_u32 v21, v12, v21, 2
	v_xor_b32_e32 v19, s8, v19
	v_ashrrev_i32_e32 v22, 31, v22
	v_cmp_gt_i32_e64 s8, 0, v24
	v_ashrrev_i32_e32 v23, 31, v23
	s_delay_alu instid0(VALU_DEP_4) | instskip(NEXT) | instid1(VALU_DEP_4)
	v_and_b32_e32 v19, exec_lo, v19
	v_xor_b32_e32 v22, s9, v22
	v_cmp_gt_i32_e64 s9, 0, v20
	v_ashrrev_i32_e32 v20, 31, v25
	v_xor_b32_e32 v23, s8, v23
	s_delay_alu instid0(VALU_DEP_4) | instskip(NEXT) | instid1(VALU_DEP_3)
	v_and_b32_e32 v19, v19, v22
	v_xor_b32_e32 v20, s9, v20
	s_delay_alu instid0(VALU_DEP_2) | instskip(SKIP_3) | instid1(VALU_DEP_1)
	v_and_b32_e32 v22, v19, v23
	ds_load_b32 v19, v21 offset:64
	v_add_nc_u32_e32 v21, 64, v21
	; wave barrier
	v_and_b32_e32 v22, v22, v20
	v_mbcnt_lo_u32_b32 v20, v22, 0
	v_cmp_ne_u32_e64 s9, 0, v22
	s_delay_alu instid0(VALU_DEP_2) | instskip(NEXT) | instid1(VALU_DEP_1)
	v_cmp_eq_u32_e64 s8, 0, v20
	s_and_b32 s9, s9, s8
	s_delay_alu instid0(SALU_CYCLE_1)
	s_and_saveexec_b32 s8, s9
	s_cbranch_execz .LBB125_10
; %bb.9:                                ;   in Loop: Header=BB125_4 Depth=2
	s_waitcnt lgkmcnt(0)
	v_bcnt_u32_b32 v22, v22, v19
	ds_store_b32 v21, v22
.LBB125_10:                             ;   in Loop: Header=BB125_4 Depth=2
	s_or_b32 exec_lo, exec_lo, s8
	v_lshlrev_b64 v[22:23], s14, v[7:8]
	; wave barrier
	s_delay_alu instid0(VALU_DEP_1) | instskip(SKIP_2) | instid1(VALU_DEP_3)
	v_bfe_u32 v22, v23, 28, 1
	v_lshrrev_b32_e32 v24, 28, v23
	v_and_b32_e32 v23, 0xf0000000, v23
	v_add_co_u32 v22, s8, v22, -1
	s_delay_alu instid0(VALU_DEP_1) | instskip(NEXT) | instid1(VALU_DEP_4)
	v_cndmask_b32_e64 v25, 0, 1, s8
	v_lshlrev_b32_e32 v26, 30, v24
	v_lshlrev_b32_e32 v27, 29, v24
	v_not_b32_e32 v28, v23
	v_mul_u32_u24_e32 v24, 17, v24
	v_cmp_ne_u32_e64 s8, 0, v25
	v_not_b32_e32 v25, v26
	v_cmp_gt_i32_e64 s9, 0, v26
	v_not_b32_e32 v26, v27
	v_add_lshl_u32 v24, v12, v24, 2
	v_xor_b32_e32 v22, s8, v22
	v_ashrrev_i32_e32 v25, 31, v25
	v_cmp_gt_i32_e64 s8, 0, v27
	v_ashrrev_i32_e32 v26, 31, v26
	s_delay_alu instid0(VALU_DEP_4) | instskip(NEXT) | instid1(VALU_DEP_4)
	v_and_b32_e32 v22, exec_lo, v22
	v_xor_b32_e32 v25, s9, v25
	v_cmp_gt_i32_e64 s9, 0, v23
	v_ashrrev_i32_e32 v23, 31, v28
	v_xor_b32_e32 v26, s8, v26
	s_delay_alu instid0(VALU_DEP_4) | instskip(NEXT) | instid1(VALU_DEP_3)
	v_and_b32_e32 v22, v22, v25
	v_xor_b32_e32 v23, s9, v23
	s_delay_alu instid0(VALU_DEP_2) | instskip(SKIP_3) | instid1(VALU_DEP_1)
	v_and_b32_e32 v25, v22, v26
	ds_load_b32 v22, v24 offset:64
	v_add_nc_u32_e32 v24, 64, v24
	; wave barrier
	v_and_b32_e32 v25, v25, v23
	v_mbcnt_lo_u32_b32 v23, v25, 0
	v_cmp_ne_u32_e64 s9, 0, v25
	s_delay_alu instid0(VALU_DEP_2) | instskip(NEXT) | instid1(VALU_DEP_1)
	v_cmp_eq_u32_e64 s8, 0, v23
	s_and_b32 s9, s9, s8
	s_delay_alu instid0(SALU_CYCLE_1)
	s_and_saveexec_b32 s8, s9
	s_cbranch_execz .LBB125_12
; %bb.11:                               ;   in Loop: Header=BB125_4 Depth=2
	s_waitcnt lgkmcnt(0)
	v_bcnt_u32_b32 v25, v25, v22
	ds_store_b32 v24, v25
.LBB125_12:                             ;   in Loop: Header=BB125_4 Depth=2
	s_or_b32 exec_lo, exec_lo, s8
	; wave barrier
	s_waitcnt lgkmcnt(0)
	s_barrier
	buffer_gl0_inv
	ds_load_b32 v25, v0 offset:64
	s_waitcnt lgkmcnt(0)
	v_mov_b32_dpp v26, v25 row_shr:1 row_mask:0xf bank_mask:0xf
	s_delay_alu instid0(VALU_DEP_1) | instskip(NEXT) | instid1(VALU_DEP_1)
	v_cndmask_b32_e64 v26, v26, 0, s0
	v_add_nc_u32_e32 v25, v26, v25
	s_delay_alu instid0(VALU_DEP_1) | instskip(NEXT) | instid1(VALU_DEP_1)
	v_mov_b32_dpp v26, v25 row_shr:2 row_mask:0xf bank_mask:0xf
	v_cndmask_b32_e64 v26, 0, v26, s1
	s_delay_alu instid0(VALU_DEP_1) | instskip(NEXT) | instid1(VALU_DEP_1)
	v_add_nc_u32_e32 v25, v25, v26
	v_mov_b32_dpp v26, v25 row_shr:4 row_mask:0xf bank_mask:0xf
	s_delay_alu instid0(VALU_DEP_1) | instskip(NEXT) | instid1(VALU_DEP_1)
	v_cndmask_b32_e64 v26, 0, v26, s2
	v_add_nc_u32_e32 v25, v25, v26
	s_delay_alu instid0(VALU_DEP_1) | instskip(NEXT) | instid1(VALU_DEP_1)
	v_mov_b32_dpp v26, v25 row_shr:8 row_mask:0xf bank_mask:0xf
	v_cndmask_b32_e64 v26, 0, v26, s3
	s_delay_alu instid0(VALU_DEP_1) | instskip(SKIP_3) | instid1(VALU_DEP_1)
	v_add_nc_u32_e32 v25, v25, v26
	ds_swizzle_b32 v26, v25 offset:swizzle(BROADCAST,32,15)
	s_waitcnt lgkmcnt(0)
	v_cndmask_b32_e64 v26, v26, 0, s4
	v_add_nc_u32_e32 v25, v25, v26
	s_and_saveexec_b32 s8, s7
	s_delay_alu instid0(SALU_CYCLE_1)
	s_xor_b32 s8, exec_lo, s8
	s_cbranch_execz .LBB125_14
; %bb.13:                               ;   in Loop: Header=BB125_4 Depth=2
	ds_store_b32 v11, v25
.LBB125_14:                             ;   in Loop: Header=BB125_4 Depth=2
	s_or_b32 exec_lo, exec_lo, s8
	s_waitcnt lgkmcnt(0)
	s_barrier
	buffer_gl0_inv
	s_and_saveexec_b32 s8, s5
	s_cbranch_execz .LBB125_16
; %bb.15:                               ;   in Loop: Header=BB125_4 Depth=2
	ds_load_b32 v26, v0
	s_waitcnt lgkmcnt(0)
	v_mov_b32_dpp v27, v26 row_shr:1 row_mask:0xf bank_mask:0xf
	s_delay_alu instid0(VALU_DEP_1) | instskip(NEXT) | instid1(VALU_DEP_1)
	v_cndmask_b32_e64 v27, v27, 0, s0
	v_add_nc_u32_e32 v26, v27, v26
	s_delay_alu instid0(VALU_DEP_1) | instskip(NEXT) | instid1(VALU_DEP_1)
	v_mov_b32_dpp v27, v26 row_shr:2 row_mask:0xf bank_mask:0xf
	v_cndmask_b32_e64 v27, 0, v27, s1
	s_delay_alu instid0(VALU_DEP_1) | instskip(NEXT) | instid1(VALU_DEP_1)
	v_add_nc_u32_e32 v26, v26, v27
	v_mov_b32_dpp v27, v26 row_shr:4 row_mask:0xf bank_mask:0xf
	s_delay_alu instid0(VALU_DEP_1) | instskip(NEXT) | instid1(VALU_DEP_1)
	v_cndmask_b32_e64 v27, 0, v27, s2
	v_add_nc_u32_e32 v26, v26, v27
	s_delay_alu instid0(VALU_DEP_1) | instskip(NEXT) | instid1(VALU_DEP_1)
	v_mov_b32_dpp v27, v26 row_shr:8 row_mask:0xf bank_mask:0xf
	v_cndmask_b32_e64 v27, 0, v27, s3
	s_delay_alu instid0(VALU_DEP_1)
	v_add_nc_u32_e32 v26, v26, v27
	ds_store_b32 v0, v26
.LBB125_16:                             ;   in Loop: Header=BB125_4 Depth=2
	s_or_b32 exec_lo, exec_lo, s8
	v_mov_b32_e32 v26, 0
	s_waitcnt lgkmcnt(0)
	s_barrier
	buffer_gl0_inv
	s_and_saveexec_b32 s8, s6
	s_cbranch_execz .LBB125_3
; %bb.17:                               ;   in Loop: Header=BB125_4 Depth=2
	ds_load_b32 v26, v13
	s_branch .LBB125_3
.LBB125_18:
	ds_load_b32 v1, v15
	ds_load_b32 v2, v18
	ds_load_b32 v3, v21
	ds_load_b32 v4, v24
	s_lshl_b64 s[0:1], s[12:13], 2
	v_lshlrev_b32_e32 v0, 2, v0
	s_add_u32 s0, s10, s0
	s_addc_u32 s1, s11, s1
	s_waitcnt lgkmcnt(3)
	v_add_nc_u32_e32 v1, v1, v14
	s_waitcnt lgkmcnt(2)
	v_add3_u32 v2, v17, v16, v2
	s_waitcnt lgkmcnt(1)
	v_add3_u32 v3, v20, v19, v3
	;; [unrolled: 2-line block ×3, first 2 shown]
	global_store_b128 v0, v[1:4], s[0:1]
	s_nop 0
	s_sendmsg sendmsg(MSG_DEALLOC_VGPRS)
	s_endpgm
	.section	.rodata,"a",@progbits
	.p2align	6, 0x0
	.amdhsa_kernel _Z11rank_kernelIxLj4ELb0EL18RadixRankAlgorithm2ELj512ELj4ELj10EEvPKT_Pi
		.amdhsa_group_segment_fixed_size 2112
		.amdhsa_private_segment_fixed_size 0
		.amdhsa_kernarg_size 272
		.amdhsa_user_sgpr_count 15
		.amdhsa_user_sgpr_dispatch_ptr 0
		.amdhsa_user_sgpr_queue_ptr 0
		.amdhsa_user_sgpr_kernarg_segment_ptr 1
		.amdhsa_user_sgpr_dispatch_id 0
		.amdhsa_user_sgpr_private_segment_size 0
		.amdhsa_wavefront_size32 1
		.amdhsa_uses_dynamic_stack 0
		.amdhsa_enable_private_segment 0
		.amdhsa_system_sgpr_workgroup_id_x 1
		.amdhsa_system_sgpr_workgroup_id_y 0
		.amdhsa_system_sgpr_workgroup_id_z 0
		.amdhsa_system_sgpr_workgroup_info 0
		.amdhsa_system_vgpr_workitem_id 2
		.amdhsa_next_free_vgpr 29
		.amdhsa_next_free_sgpr 18
		.amdhsa_reserve_vcc 1
		.amdhsa_float_round_mode_32 0
		.amdhsa_float_round_mode_16_64 0
		.amdhsa_float_denorm_mode_32 3
		.amdhsa_float_denorm_mode_16_64 3
		.amdhsa_dx10_clamp 1
		.amdhsa_ieee_mode 1
		.amdhsa_fp16_overflow 0
		.amdhsa_workgroup_processor_mode 1
		.amdhsa_memory_ordered 1
		.amdhsa_forward_progress 0
		.amdhsa_shared_vgpr_count 0
		.amdhsa_exception_fp_ieee_invalid_op 0
		.amdhsa_exception_fp_denorm_src 0
		.amdhsa_exception_fp_ieee_div_zero 0
		.amdhsa_exception_fp_ieee_overflow 0
		.amdhsa_exception_fp_ieee_underflow 0
		.amdhsa_exception_fp_ieee_inexact 0
		.amdhsa_exception_int_div_zero 0
	.end_amdhsa_kernel
	.section	.text._Z11rank_kernelIxLj4ELb0EL18RadixRankAlgorithm2ELj512ELj4ELj10EEvPKT_Pi,"axG",@progbits,_Z11rank_kernelIxLj4ELb0EL18RadixRankAlgorithm2ELj512ELj4ELj10EEvPKT_Pi,comdat
.Lfunc_end125:
	.size	_Z11rank_kernelIxLj4ELb0EL18RadixRankAlgorithm2ELj512ELj4ELj10EEvPKT_Pi, .Lfunc_end125-_Z11rank_kernelIxLj4ELb0EL18RadixRankAlgorithm2ELj512ELj4ELj10EEvPKT_Pi
                                        ; -- End function
	.section	.AMDGPU.csdata,"",@progbits
; Kernel info:
; codeLenInByte = 1936
; NumSgprs: 20
; NumVgprs: 29
; ScratchSize: 0
; MemoryBound: 0
; FloatMode: 240
; IeeeMode: 1
; LDSByteSize: 2112 bytes/workgroup (compile time only)
; SGPRBlocks: 2
; VGPRBlocks: 3
; NumSGPRsForWavesPerEU: 20
; NumVGPRsForWavesPerEU: 29
; Occupancy: 16
; WaveLimiterHint : 0
; COMPUTE_PGM_RSRC2:SCRATCH_EN: 0
; COMPUTE_PGM_RSRC2:USER_SGPR: 15
; COMPUTE_PGM_RSRC2:TRAP_HANDLER: 0
; COMPUTE_PGM_RSRC2:TGID_X_EN: 1
; COMPUTE_PGM_RSRC2:TGID_Y_EN: 0
; COMPUTE_PGM_RSRC2:TGID_Z_EN: 0
; COMPUTE_PGM_RSRC2:TIDIG_COMP_CNT: 2
	.section	.text._Z11rank_kernelIxLj4ELb0EL18RadixRankAlgorithm0ELj512ELj8ELj10EEvPKT_Pi,"axG",@progbits,_Z11rank_kernelIxLj4ELb0EL18RadixRankAlgorithm0ELj512ELj8ELj10EEvPKT_Pi,comdat
	.protected	_Z11rank_kernelIxLj4ELb0EL18RadixRankAlgorithm0ELj512ELj8ELj10EEvPKT_Pi ; -- Begin function _Z11rank_kernelIxLj4ELb0EL18RadixRankAlgorithm0ELj512ELj8ELj10EEvPKT_Pi
	.globl	_Z11rank_kernelIxLj4ELb0EL18RadixRankAlgorithm0ELj512ELj8ELj10EEvPKT_Pi
	.p2align	8
	.type	_Z11rank_kernelIxLj4ELb0EL18RadixRankAlgorithm0ELj512ELj8ELj10EEvPKT_Pi,@function
_Z11rank_kernelIxLj4ELb0EL18RadixRankAlgorithm0ELj512ELj8ELj10EEvPKT_Pi: ; @_Z11rank_kernelIxLj4ELb0EL18RadixRankAlgorithm0ELj512ELj8ELj10EEvPKT_Pi
; %bb.0:
	s_load_b128 s[8:11], s[0:1], 0x0
	s_mov_b32 s13, 0
	s_lshl_b32 s12, s15, 12
	v_dual_mov_b32 v18, 0 :: v_dual_lshlrev_b32 v13, 6, v0
	s_lshl_b64 s[0:1], s[12:13], 3
	v_mbcnt_lo_u32_b32 v21, -1, 0
	v_or_b32_e32 v24, 31, v0
	v_lshrrev_b32_e32 v26, 3, v0
	v_lshlrev_b32_e32 v17, 3, v0
	v_lshlrev_b32_e32 v19, 5, v0
	v_add_nc_u32_e32 v25, -1, v21
	v_and_b32_e32 v22, 15, v21
	v_and_b32_e32 v23, 16, v21
	v_cmp_gt_u32_e32 vcc_lo, 16, v0
	v_lshlrev_b32_e32 v20, 2, v0
	v_cmp_gt_i32_e64 s5, 0, v25
	v_cmp_eq_u32_e64 s2, 0, v22
	v_cmp_lt_u32_e64 s3, 1, v22
	v_cmp_lt_u32_e64 s4, 3, v22
	s_waitcnt lgkmcnt(0)
	s_add_u32 s0, s8, s0
	s_addc_u32 s1, s9, s1
	v_cndmask_b32_e64 v25, v25, v21, s5
	s_clause 0x3
	global_load_b128 v[1:4], v13, s[0:1]
	global_load_b128 v[5:8], v13, s[0:1] offset:16
	global_load_b128 v[9:12], v13, s[0:1] offset:32
	;; [unrolled: 1-line block ×3, first 2 shown]
	v_cmp_lt_u32_e64 s0, 31, v0
	v_cmp_eq_u32_e64 s1, 0, v21
	v_cmp_lt_u32_e64 s5, 7, v22
	v_cmp_eq_u32_e64 s6, 0, v23
	v_cmp_eq_u32_e64 s7, v24, v0
	v_and_b32_e32 v21, 60, v26
	v_lshlrev_b32_e32 v22, 2, v25
	v_or_b32_e32 v23, 0xfffffe00, v0
	s_mov_b32 s9, s13
	s_waitcnt vmcnt(3)
	v_xor_b32_e32 v2, 0x80000000, v2
	v_xor_b32_e32 v4, 0x80000000, v4
	s_waitcnt vmcnt(2)
	v_xor_b32_e32 v6, 0x80000000, v6
	v_xor_b32_e32 v8, 0x80000000, v8
	;; [unrolled: 3-line block ×4, first 2 shown]
	s_branch .LBB126_2
.LBB126_1:                              ;   in Loop: Header=BB126_2 Depth=1
	s_add_i32 s9, s9, 1
	s_delay_alu instid0(SALU_CYCLE_1)
	s_cmp_eq_u32 s9, 10
	s_cbranch_scc1 .LBB126_12
.LBB126_2:                              ; =>This Loop Header: Depth=1
                                        ;     Child Loop BB126_4 Depth 2
                                        ;       Child Loop BB126_5 Depth 3
	s_mov_b32 s14, 0
	s_branch .LBB126_4
.LBB126_3:                              ;   in Loop: Header=BB126_4 Depth=2
	s_or_b32 exec_lo, exec_lo, s8
	s_waitcnt lgkmcnt(0)
	v_add_nc_u32_e32 v40, v41, v40
	ds_load_b32 v44, v18 offset:16444
	ds_load_2addr_b32 v[42:43], v19 offset1:1
	s_add_i32 s8, s14, 4
	s_cmp_lt_u32 s14, 60
	s_mov_b32 s14, s8
	ds_bpermute_b32 v40, v22, v40
	s_waitcnt lgkmcnt(0)
	v_cndmask_b32_e64 v45, v40, v41, s1
	ds_load_2addr_b32 v[40:41], v19 offset0:2 offset1:3
	v_lshl_add_u32 v46, v44, 16, v45
	ds_load_2addr_b32 v[44:45], v19 offset0:4 offset1:5
	ds_load_b32 v47, v19 offset:24
	v_add_nc_u32_e32 v42, v46, v42
	s_delay_alu instid0(VALU_DEP_1) | instskip(SKIP_1) | instid1(VALU_DEP_1)
	v_add_nc_u32_e32 v43, v43, v42
	s_waitcnt lgkmcnt(2)
	v_add_nc_u32_e32 v40, v40, v43
	s_delay_alu instid0(VALU_DEP_1) | instskip(SKIP_1) | instid1(VALU_DEP_1)
	v_add_nc_u32_e32 v41, v41, v40
	s_waitcnt lgkmcnt(1)
	;; [unrolled: 4-line block ×3, first 2 shown]
	v_add_nc_u32_e32 v47, v47, v45
	ds_store_2addr_b32 v19, v46, v42 offset1:1
	ds_store_2addr_b32 v19, v43, v40 offset0:2 offset1:3
	ds_store_2addr_b32 v19, v41, v44 offset0:4 offset1:5
	;; [unrolled: 1-line block ×3, first 2 shown]
	s_waitcnt lgkmcnt(0)
	s_barrier
	buffer_gl0_inv
	s_cbranch_scc0 .LBB126_1
.LBB126_4:                              ;   Parent Loop BB126_2 Depth=1
                                        ; =>  This Loop Header: Depth=2
                                        ;       Child Loop BB126_5 Depth 3
	v_dual_mov_b32 v24, v23 :: v_dual_mov_b32 v25, v20
	s_mov_b32 s15, 0
.LBB126_5:                              ;   Parent Loop BB126_2 Depth=1
                                        ;     Parent Loop BB126_4 Depth=2
                                        ; =>    This Inner Loop Header: Depth=3
	s_delay_alu instid0(VALU_DEP_1) | instskip(SKIP_3) | instid1(VALU_DEP_1)
	v_add_nc_u32_e32 v24, 0x200, v24
	ds_store_b32 v25, v18
	v_add_nc_u32_e32 v25, 0x800, v25
	v_cmp_lt_u32_e64 s8, 0xdff, v24
	s_or_b32 s15, s8, s15
	s_delay_alu instid0(SALU_CYCLE_1)
	s_and_not1_b32 exec_lo, exec_lo, s15
	s_cbranch_execnz .LBB126_5
; %bb.6:                                ;   in Loop: Header=BB126_4 Depth=2
	s_or_b32 exec_lo, exec_lo, s15
	s_sub_i32 s8, 60, s14
	s_delay_alu instid0(SALU_CYCLE_1) | instskip(SKIP_1) | instid1(VALU_DEP_2)
	v_lshlrev_b64 v[24:25], s8, v[1:2]
	v_lshlrev_b64 v[26:27], s8, v[3:4]
	v_lshrrev_b32_e32 v24, 19, v25
	v_lshrrev_b32_e32 v25, 30, v25
	s_delay_alu instid0(VALU_DEP_3) | instskip(SKIP_1) | instid1(VALU_DEP_4)
	v_lshrrev_b32_e32 v26, 19, v27
	v_lshrrev_b32_e32 v27, 30, v27
	v_and_or_b32 v24, 0xe00, v24, v0
	s_delay_alu instid0(VALU_DEP_4) | instskip(NEXT) | instid1(VALU_DEP_4)
	v_and_b32_e32 v25, 2, v25
	v_and_or_b32 v26, 0xe00, v26, v0
	s_delay_alu instid0(VALU_DEP_4) | instskip(NEXT) | instid1(VALU_DEP_3)
	v_and_b32_e32 v27, 2, v27
	v_lshl_or_b32 v25, v24, 2, v25
	s_delay_alu instid0(VALU_DEP_2)
	v_lshl_or_b32 v27, v26, 2, v27
	ds_load_u16 v24, v25
	s_waitcnt lgkmcnt(0)
	v_add_nc_u16 v28, v24, 1
	ds_store_b16 v25, v28
	ds_load_u16 v26, v27
	v_lshlrev_b64 v[28:29], s8, v[5:6]
	s_delay_alu instid0(VALU_DEP_1) | instskip(SKIP_1) | instid1(VALU_DEP_2)
	v_lshrrev_b32_e32 v28, 19, v29
	v_lshrrev_b32_e32 v29, 30, v29
	v_and_or_b32 v28, 0xe00, v28, v0
	s_delay_alu instid0(VALU_DEP_2) | instskip(NEXT) | instid1(VALU_DEP_1)
	v_and_b32_e32 v29, 2, v29
	v_lshl_or_b32 v29, v28, 2, v29
	s_waitcnt lgkmcnt(0)
	v_add_nc_u16 v30, v26, 1
	ds_store_b16 v27, v30
	ds_load_u16 v28, v29
	v_lshlrev_b64 v[30:31], s8, v[7:8]
	s_delay_alu instid0(VALU_DEP_1) | instskip(SKIP_1) | instid1(VALU_DEP_2)
	v_lshrrev_b32_e32 v30, 19, v31
	v_lshrrev_b32_e32 v31, 30, v31
	v_and_or_b32 v30, 0xe00, v30, v0
	s_delay_alu instid0(VALU_DEP_2) | instskip(NEXT) | instid1(VALU_DEP_1)
	v_and_b32_e32 v31, 2, v31
	v_lshl_or_b32 v31, v30, 2, v31
	;; [unrolled: 12-line block ×6, first 2 shown]
	s_waitcnt lgkmcnt(0)
	v_add_nc_u16 v40, v36, 1
	ds_store_b16 v37, v40
	ds_load_u16 v38, v39
	s_waitcnt lgkmcnt(0)
	v_add_nc_u16 v40, v38, 1
	ds_store_b16 v39, v40
	s_waitcnt lgkmcnt(0)
	s_barrier
	buffer_gl0_inv
	ds_load_2addr_b32 v[40:41], v19 offset1:1
	ds_load_2addr_b32 v[42:43], v19 offset0:2 offset1:3
	ds_load_2addr_b32 v[44:45], v19 offset0:4 offset1:5
	;; [unrolled: 1-line block ×3, first 2 shown]
	s_waitcnt lgkmcnt(3)
	v_add_nc_u32_e32 v40, v41, v40
	s_waitcnt lgkmcnt(2)
	s_delay_alu instid0(VALU_DEP_1) | instskip(SKIP_1) | instid1(VALU_DEP_1)
	v_add3_u32 v40, v40, v42, v43
	s_waitcnt lgkmcnt(1)
	v_add3_u32 v40, v40, v44, v45
	s_waitcnt lgkmcnt(0)
	s_delay_alu instid0(VALU_DEP_1) | instskip(NEXT) | instid1(VALU_DEP_1)
	v_add3_u32 v40, v40, v46, v47
	v_mov_b32_dpp v41, v40 row_shr:1 row_mask:0xf bank_mask:0xf
	s_delay_alu instid0(VALU_DEP_1) | instskip(NEXT) | instid1(VALU_DEP_1)
	v_cndmask_b32_e64 v41, v41, 0, s2
	v_add_nc_u32_e32 v40, v41, v40
	s_delay_alu instid0(VALU_DEP_1) | instskip(NEXT) | instid1(VALU_DEP_1)
	v_mov_b32_dpp v41, v40 row_shr:2 row_mask:0xf bank_mask:0xf
	v_cndmask_b32_e64 v41, 0, v41, s3
	s_delay_alu instid0(VALU_DEP_1) | instskip(NEXT) | instid1(VALU_DEP_1)
	v_add_nc_u32_e32 v40, v40, v41
	v_mov_b32_dpp v41, v40 row_shr:4 row_mask:0xf bank_mask:0xf
	s_delay_alu instid0(VALU_DEP_1) | instskip(NEXT) | instid1(VALU_DEP_1)
	v_cndmask_b32_e64 v41, 0, v41, s4
	v_add_nc_u32_e32 v40, v40, v41
	s_delay_alu instid0(VALU_DEP_1) | instskip(NEXT) | instid1(VALU_DEP_1)
	v_mov_b32_dpp v41, v40 row_shr:8 row_mask:0xf bank_mask:0xf
	v_cndmask_b32_e64 v41, 0, v41, s5
	s_delay_alu instid0(VALU_DEP_1) | instskip(SKIP_3) | instid1(VALU_DEP_1)
	v_add_nc_u32_e32 v40, v40, v41
	ds_swizzle_b32 v41, v40 offset:swizzle(BROADCAST,32,15)
	s_waitcnt lgkmcnt(0)
	v_cndmask_b32_e64 v41, v41, 0, s6
	v_add_nc_u32_e32 v40, v40, v41
	s_and_saveexec_b32 s8, s7
	s_cbranch_execz .LBB126_8
; %bb.7:                                ;   in Loop: Header=BB126_4 Depth=2
	ds_store_b32 v21, v40 offset:16384
.LBB126_8:                              ;   in Loop: Header=BB126_4 Depth=2
	s_or_b32 exec_lo, exec_lo, s8
	s_waitcnt lgkmcnt(0)
	s_barrier
	buffer_gl0_inv
	s_and_saveexec_b32 s8, vcc_lo
	s_cbranch_execz .LBB126_10
; %bb.9:                                ;   in Loop: Header=BB126_4 Depth=2
	ds_load_b32 v41, v20 offset:16384
	s_waitcnt lgkmcnt(0)
	v_mov_b32_dpp v42, v41 row_shr:1 row_mask:0xf bank_mask:0xf
	s_delay_alu instid0(VALU_DEP_1) | instskip(NEXT) | instid1(VALU_DEP_1)
	v_cndmask_b32_e64 v42, v42, 0, s2
	v_add_nc_u32_e32 v41, v42, v41
	s_delay_alu instid0(VALU_DEP_1) | instskip(NEXT) | instid1(VALU_DEP_1)
	v_mov_b32_dpp v42, v41 row_shr:2 row_mask:0xf bank_mask:0xf
	v_cndmask_b32_e64 v42, 0, v42, s3
	s_delay_alu instid0(VALU_DEP_1) | instskip(NEXT) | instid1(VALU_DEP_1)
	v_add_nc_u32_e32 v41, v41, v42
	v_mov_b32_dpp v42, v41 row_shr:4 row_mask:0xf bank_mask:0xf
	s_delay_alu instid0(VALU_DEP_1) | instskip(NEXT) | instid1(VALU_DEP_1)
	v_cndmask_b32_e64 v42, 0, v42, s4
	v_add_nc_u32_e32 v41, v41, v42
	s_delay_alu instid0(VALU_DEP_1) | instskip(NEXT) | instid1(VALU_DEP_1)
	v_mov_b32_dpp v42, v41 row_shr:8 row_mask:0xf bank_mask:0xf
	v_cndmask_b32_e64 v42, 0, v42, s5
	s_delay_alu instid0(VALU_DEP_1)
	v_add_nc_u32_e32 v41, v41, v42
	ds_store_b32 v20, v41 offset:16384
.LBB126_10:                             ;   in Loop: Header=BB126_4 Depth=2
	s_or_b32 exec_lo, exec_lo, s8
	v_mov_b32_e32 v41, 0
	s_waitcnt lgkmcnt(0)
	s_barrier
	buffer_gl0_inv
	s_and_saveexec_b32 s8, s0
	s_cbranch_execz .LBB126_3
; %bb.11:                               ;   in Loop: Header=BB126_4 Depth=2
	ds_load_b32 v41, v21 offset:16380
	s_branch .LBB126_3
.LBB126_12:
	ds_load_u16 v0, v25
	ds_load_u16 v1, v27
	;; [unrolled: 1-line block ×8, first 2 shown]
	v_and_b32_e32 v8, 0xffff, v24
	v_and_b32_e32 v9, 0xffff, v26
	;; [unrolled: 1-line block ×8, first 2 shown]
	s_lshl_b64 s[0:1], s[12:13], 2
	s_delay_alu instid0(SALU_CYCLE_1)
	s_add_u32 s0, s10, s0
	s_addc_u32 s1, s11, s1
	s_waitcnt lgkmcnt(7)
	v_add_nc_u32_e32 v0, v0, v8
	s_waitcnt lgkmcnt(6)
	v_add_nc_u32_e32 v1, v1, v9
	s_waitcnt lgkmcnt(5)
	v_add_nc_u32_e32 v2, v2, v10
	s_waitcnt lgkmcnt(4)
	v_add_nc_u32_e32 v3, v3, v11
	v_lshlrev_b32_e32 v8, 2, v17
	s_waitcnt lgkmcnt(3)
	v_add_nc_u32_e32 v4, v4, v12
	s_waitcnt lgkmcnt(2)
	v_add_nc_u32_e32 v5, v5, v13
	;; [unrolled: 2-line block ×4, first 2 shown]
	s_clause 0x1
	global_store_b128 v8, v[0:3], s[0:1]
	global_store_b128 v8, v[4:7], s[0:1] offset:16
	s_nop 0
	s_sendmsg sendmsg(MSG_DEALLOC_VGPRS)
	s_endpgm
	.section	.rodata,"a",@progbits
	.p2align	6, 0x0
	.amdhsa_kernel _Z11rank_kernelIxLj4ELb0EL18RadixRankAlgorithm0ELj512ELj8ELj10EEvPKT_Pi
		.amdhsa_group_segment_fixed_size 16448
		.amdhsa_private_segment_fixed_size 0
		.amdhsa_kernarg_size 16
		.amdhsa_user_sgpr_count 15
		.amdhsa_user_sgpr_dispatch_ptr 0
		.amdhsa_user_sgpr_queue_ptr 0
		.amdhsa_user_sgpr_kernarg_segment_ptr 1
		.amdhsa_user_sgpr_dispatch_id 0
		.amdhsa_user_sgpr_private_segment_size 0
		.amdhsa_wavefront_size32 1
		.amdhsa_uses_dynamic_stack 0
		.amdhsa_enable_private_segment 0
		.amdhsa_system_sgpr_workgroup_id_x 1
		.amdhsa_system_sgpr_workgroup_id_y 0
		.amdhsa_system_sgpr_workgroup_id_z 0
		.amdhsa_system_sgpr_workgroup_info 0
		.amdhsa_system_vgpr_workitem_id 0
		.amdhsa_next_free_vgpr 48
		.amdhsa_next_free_sgpr 16
		.amdhsa_reserve_vcc 1
		.amdhsa_float_round_mode_32 0
		.amdhsa_float_round_mode_16_64 0
		.amdhsa_float_denorm_mode_32 3
		.amdhsa_float_denorm_mode_16_64 3
		.amdhsa_dx10_clamp 1
		.amdhsa_ieee_mode 1
		.amdhsa_fp16_overflow 0
		.amdhsa_workgroup_processor_mode 1
		.amdhsa_memory_ordered 1
		.amdhsa_forward_progress 0
		.amdhsa_shared_vgpr_count 0
		.amdhsa_exception_fp_ieee_invalid_op 0
		.amdhsa_exception_fp_denorm_src 0
		.amdhsa_exception_fp_ieee_div_zero 0
		.amdhsa_exception_fp_ieee_overflow 0
		.amdhsa_exception_fp_ieee_underflow 0
		.amdhsa_exception_fp_ieee_inexact 0
		.amdhsa_exception_int_div_zero 0
	.end_amdhsa_kernel
	.section	.text._Z11rank_kernelIxLj4ELb0EL18RadixRankAlgorithm0ELj512ELj8ELj10EEvPKT_Pi,"axG",@progbits,_Z11rank_kernelIxLj4ELb0EL18RadixRankAlgorithm0ELj512ELj8ELj10EEvPKT_Pi,comdat
.Lfunc_end126:
	.size	_Z11rank_kernelIxLj4ELb0EL18RadixRankAlgorithm0ELj512ELj8ELj10EEvPKT_Pi, .Lfunc_end126-_Z11rank_kernelIxLj4ELb0EL18RadixRankAlgorithm0ELj512ELj8ELj10EEvPKT_Pi
                                        ; -- End function
	.section	.AMDGPU.csdata,"",@progbits
; Kernel info:
; codeLenInByte = 1896
; NumSgprs: 18
; NumVgprs: 48
; ScratchSize: 0
; MemoryBound: 0
; FloatMode: 240
; IeeeMode: 1
; LDSByteSize: 16448 bytes/workgroup (compile time only)
; SGPRBlocks: 2
; VGPRBlocks: 5
; NumSGPRsForWavesPerEU: 18
; NumVGPRsForWavesPerEU: 48
; Occupancy: 16
; WaveLimiterHint : 0
; COMPUTE_PGM_RSRC2:SCRATCH_EN: 0
; COMPUTE_PGM_RSRC2:USER_SGPR: 15
; COMPUTE_PGM_RSRC2:TRAP_HANDLER: 0
; COMPUTE_PGM_RSRC2:TGID_X_EN: 1
; COMPUTE_PGM_RSRC2:TGID_Y_EN: 0
; COMPUTE_PGM_RSRC2:TGID_Z_EN: 0
; COMPUTE_PGM_RSRC2:TIDIG_COMP_CNT: 0
	.section	.text._Z11rank_kernelIxLj4ELb0EL18RadixRankAlgorithm1ELj512ELj8ELj10EEvPKT_Pi,"axG",@progbits,_Z11rank_kernelIxLj4ELb0EL18RadixRankAlgorithm1ELj512ELj8ELj10EEvPKT_Pi,comdat
	.protected	_Z11rank_kernelIxLj4ELb0EL18RadixRankAlgorithm1ELj512ELj8ELj10EEvPKT_Pi ; -- Begin function _Z11rank_kernelIxLj4ELb0EL18RadixRankAlgorithm1ELj512ELj8ELj10EEvPKT_Pi
	.globl	_Z11rank_kernelIxLj4ELb0EL18RadixRankAlgorithm1ELj512ELj8ELj10EEvPKT_Pi
	.p2align	8
	.type	_Z11rank_kernelIxLj4ELb0EL18RadixRankAlgorithm1ELj512ELj8ELj10EEvPKT_Pi,@function
_Z11rank_kernelIxLj4ELb0EL18RadixRankAlgorithm1ELj512ELj8ELj10EEvPKT_Pi: ; @_Z11rank_kernelIxLj4ELb0EL18RadixRankAlgorithm1ELj512ELj8ELj10EEvPKT_Pi
; %bb.0:
	s_load_b128 s[8:11], s[0:1], 0x0
	s_mov_b32 s13, 0
	s_lshl_b32 s12, s15, 12
	v_dual_mov_b32 v26, 0 :: v_dual_lshlrev_b32 v13, 6, v0
	s_lshl_b64 s[0:1], s[12:13], 3
	v_mbcnt_lo_u32_b32 v17, -1, 0
	v_or_b32_e32 v20, 31, v0
	v_lshrrev_b32_e32 v22, 3, v0
	v_lshlrev_b32_e32 v25, 3, v0
	v_lshlrev_b32_e32 v27, 5, v0
	v_add_nc_u32_e32 v21, -1, v17
	v_and_b32_e32 v18, 15, v17
	v_and_b32_e32 v19, 16, v17
	v_cmp_gt_u32_e32 vcc_lo, 16, v0
	v_lshlrev_b32_e32 v28, 2, v0
	v_cmp_gt_i32_e64 s5, 0, v21
	v_cmp_eq_u32_e64 s2, 0, v18
	v_cmp_lt_u32_e64 s3, 1, v18
	v_cmp_lt_u32_e64 s4, 3, v18
	s_waitcnt lgkmcnt(0)
	s_add_u32 s0, s8, s0
	s_addc_u32 s1, s9, s1
	v_cmp_eq_u32_e64 s6, 0, v19
	s_clause 0x3
	global_load_b128 v[1:4], v13, s[0:1]
	global_load_b128 v[5:8], v13, s[0:1] offset:16
	global_load_b128 v[9:12], v13, s[0:1] offset:32
	;; [unrolled: 1-line block ×3, first 2 shown]
	v_cmp_eq_u32_e64 s1, 0, v17
	v_cndmask_b32_e64 v17, v21, v17, s5
	v_cmp_lt_u32_e64 s0, 31, v0
	v_cmp_lt_u32_e64 s5, 7, v18
	v_cmp_eq_u32_e64 s7, v20, v0
	v_and_b32_e32 v29, 60, v22
	v_lshlrev_b32_e32 v30, 2, v17
	v_or_b32_e32 v31, 0xfffffe00, v0
	s_mov_b32 s9, s13
	s_waitcnt vmcnt(3)
	v_xor_b32_e32 v2, 0x80000000, v2
	v_xor_b32_e32 v4, 0x80000000, v4
	s_waitcnt vmcnt(2)
	v_xor_b32_e32 v6, 0x80000000, v6
	v_xor_b32_e32 v8, 0x80000000, v8
	;; [unrolled: 3-line block ×4, first 2 shown]
	s_branch .LBB127_2
.LBB127_1:                              ;   in Loop: Header=BB127_2 Depth=1
	s_add_i32 s9, s9, 1
	s_delay_alu instid0(SALU_CYCLE_1)
	s_cmp_eq_u32 s9, 10
	s_cbranch_scc1 .LBB127_12
.LBB127_2:                              ; =>This Loop Header: Depth=1
                                        ;     Child Loop BB127_4 Depth 2
                                        ;       Child Loop BB127_5 Depth 3
	s_mov_b32 s14, 0
	s_branch .LBB127_4
.LBB127_3:                              ;   in Loop: Header=BB127_4 Depth=2
	s_or_b32 exec_lo, exec_lo, s8
	s_waitcnt lgkmcnt(0)
	v_add_nc_u32_e32 v18, v48, v18
	ds_load_b32 v49, v26 offset:16444
	s_add_i32 s8, s14, 4
	s_cmp_lt_u32 s14, 60
	s_mov_b32 s14, s8
	ds_bpermute_b32 v18, v30, v18
	s_waitcnt lgkmcnt(0)
	v_cndmask_b32_e64 v18, v18, v48, s1
	s_delay_alu instid0(VALU_DEP_1) | instskip(NEXT) | instid1(VALU_DEP_1)
	v_lshl_add_u32 v18, v49, 16, v18
	v_add_nc_u32_e32 v23, v18, v23
	s_delay_alu instid0(VALU_DEP_1) | instskip(NEXT) | instid1(VALU_DEP_1)
	v_add_nc_u32_e32 v24, v23, v24
	v_add_nc_u32_e32 v21, v24, v21
	s_delay_alu instid0(VALU_DEP_1) | instskip(NEXT) | instid1(VALU_DEP_1)
	v_add_nc_u32_e32 v22, v21, v22
	;; [unrolled: 3-line block ×3, first 2 shown]
	v_add_nc_u32_e32 v17, v20, v17
	ds_store_2addr_b32 v27, v18, v23 offset1:1
	ds_store_2addr_b32 v27, v24, v21 offset0:2 offset1:3
	ds_store_2addr_b32 v27, v22, v19 offset0:4 offset1:5
	;; [unrolled: 1-line block ×3, first 2 shown]
	s_waitcnt lgkmcnt(0)
	s_barrier
	buffer_gl0_inv
	s_cbranch_scc0 .LBB127_1
.LBB127_4:                              ;   Parent Loop BB127_2 Depth=1
                                        ; =>  This Loop Header: Depth=2
                                        ;       Child Loop BB127_5 Depth 3
	v_dual_mov_b32 v17, v31 :: v_dual_mov_b32 v18, v28
	s_mov_b32 s15, 0
.LBB127_5:                              ;   Parent Loop BB127_2 Depth=1
                                        ;     Parent Loop BB127_4 Depth=2
                                        ; =>    This Inner Loop Header: Depth=3
	s_delay_alu instid0(VALU_DEP_1) | instskip(SKIP_3) | instid1(VALU_DEP_1)
	v_add_nc_u32_e32 v17, 0x200, v17
	ds_store_b32 v18, v26
	v_add_nc_u32_e32 v18, 0x800, v18
	v_cmp_lt_u32_e64 s8, 0xdff, v17
	s_or_b32 s15, s8, s15
	s_delay_alu instid0(SALU_CYCLE_1)
	s_and_not1_b32 exec_lo, exec_lo, s15
	s_cbranch_execnz .LBB127_5
; %bb.6:                                ;   in Loop: Header=BB127_4 Depth=2
	s_or_b32 exec_lo, exec_lo, s15
	s_sub_i32 s8, 60, s14
	s_delay_alu instid0(SALU_CYCLE_1) | instskip(NEXT) | instid1(VALU_DEP_1)
	v_lshlrev_b64 v[17:18], s8, v[1:2]
	v_lshrrev_b32_e32 v17, 19, v18
	v_lshrrev_b32_e32 v18, 30, v18
	s_delay_alu instid0(VALU_DEP_2) | instskip(NEXT) | instid1(VALU_DEP_2)
	v_and_or_b32 v17, 0xe00, v17, v0
	v_and_b32_e32 v18, 2, v18
	s_delay_alu instid0(VALU_DEP_1) | instskip(SKIP_4) | instid1(VALU_DEP_2)
	v_lshl_or_b32 v33, v17, 2, v18
	v_lshlrev_b64 v[17:18], s8, v[3:4]
	ds_load_u16 v32, v33
	v_lshrrev_b32_e32 v17, 19, v18
	v_lshrrev_b32_e32 v18, 30, v18
	v_and_or_b32 v17, 0xe00, v17, v0
	s_delay_alu instid0(VALU_DEP_2) | instskip(NEXT) | instid1(VALU_DEP_1)
	v_and_b32_e32 v18, 2, v18
	v_lshl_or_b32 v35, v17, 2, v18
	v_lshlrev_b64 v[17:18], s8, v[5:6]
	s_delay_alu instid0(VALU_DEP_1) | instskip(SKIP_3) | instid1(VALU_DEP_3)
	v_lshrrev_b32_e32 v17, 19, v18
	s_waitcnt lgkmcnt(0)
	v_add_nc_u16 v19, v32, 1
	v_lshrrev_b32_e32 v18, 30, v18
	v_and_or_b32 v17, 0xe00, v17, v0
	ds_store_b16 v33, v19
	ds_load_u16 v34, v35
	v_and_b32_e32 v18, 2, v18
	s_delay_alu instid0(VALU_DEP_1) | instskip(SKIP_1) | instid1(VALU_DEP_1)
	v_lshl_or_b32 v37, v17, 2, v18
	v_lshlrev_b64 v[17:18], s8, v[7:8]
	v_lshrrev_b32_e32 v17, 19, v18
	v_lshrrev_b32_e32 v18, 30, v18
	s_delay_alu instid0(VALU_DEP_2) | instskip(NEXT) | instid1(VALU_DEP_2)
	v_and_or_b32 v17, 0xe00, v17, v0
	v_and_b32_e32 v18, 2, v18
	s_waitcnt lgkmcnt(0)
	v_add_nc_u16 v19, v34, 1
	s_delay_alu instid0(VALU_DEP_2) | instskip(SKIP_3) | instid1(VALU_DEP_1)
	v_lshl_or_b32 v39, v17, 2, v18
	ds_store_b16 v35, v19
	ds_load_u16 v36, v37
	v_lshlrev_b64 v[17:18], s8, v[9:10]
	v_lshrrev_b32_e32 v17, 19, v18
	v_lshrrev_b32_e32 v18, 30, v18
	s_delay_alu instid0(VALU_DEP_2) | instskip(NEXT) | instid1(VALU_DEP_2)
	v_and_or_b32 v17, 0xe00, v17, v0
	v_and_b32_e32 v18, 2, v18
	s_delay_alu instid0(VALU_DEP_1) | instskip(SKIP_3) | instid1(VALU_DEP_2)
	v_lshl_or_b32 v41, v17, 2, v18
	v_lshlrev_b64 v[17:18], s8, v[11:12]
	s_waitcnt lgkmcnt(0)
	v_add_nc_u16 v19, v36, 1
	v_lshrrev_b32_e32 v17, 19, v18
	ds_store_b16 v37, v19
	ds_load_u16 v38, v39
	v_lshrrev_b32_e32 v18, 30, v18
	v_and_or_b32 v17, 0xe00, v17, v0
	s_delay_alu instid0(VALU_DEP_2) | instskip(NEXT) | instid1(VALU_DEP_1)
	v_and_b32_e32 v18, 2, v18
	v_lshl_or_b32 v43, v17, 2, v18
	v_lshlrev_b64 v[17:18], s8, v[13:14]
	s_delay_alu instid0(VALU_DEP_1) | instskip(SKIP_3) | instid1(VALU_DEP_3)
	v_lshrrev_b32_e32 v17, 19, v18
	v_lshrrev_b32_e32 v18, 30, v18
	s_waitcnt lgkmcnt(0)
	v_add_nc_u16 v19, v38, 1
	v_and_or_b32 v17, 0xe00, v17, v0
	s_delay_alu instid0(VALU_DEP_3) | instskip(SKIP_4) | instid1(VALU_DEP_1)
	v_and_b32_e32 v18, 2, v18
	ds_store_b16 v39, v19
	ds_load_u16 v40, v41
	v_lshl_or_b32 v45, v17, 2, v18
	v_lshlrev_b64 v[17:18], s8, v[15:16]
	v_lshrrev_b32_e32 v17, 19, v18
	v_lshrrev_b32_e32 v18, 30, v18
	s_delay_alu instid0(VALU_DEP_2) | instskip(NEXT) | instid1(VALU_DEP_2)
	v_and_or_b32 v17, 0xe00, v17, v0
	v_and_b32_e32 v18, 2, v18
	s_waitcnt lgkmcnt(0)
	v_add_nc_u16 v19, v40, 1
	s_delay_alu instid0(VALU_DEP_2)
	v_lshl_or_b32 v47, v17, 2, v18
	ds_store_b16 v41, v19
	ds_load_u16 v42, v43
	s_waitcnt lgkmcnt(0)
	v_add_nc_u16 v19, v42, 1
	ds_store_b16 v43, v19
	ds_load_u16 v44, v45
	s_waitcnt lgkmcnt(0)
	v_add_nc_u16 v19, v44, 1
	;; [unrolled: 4-line block ×3, first 2 shown]
	ds_store_b16 v47, v17
	s_waitcnt lgkmcnt(0)
	s_barrier
	buffer_gl0_inv
	ds_load_2addr_b32 v[23:24], v27 offset1:1
	ds_load_2addr_b32 v[21:22], v27 offset0:2 offset1:3
	ds_load_2addr_b32 v[19:20], v27 offset0:4 offset1:5
	;; [unrolled: 1-line block ×3, first 2 shown]
	s_waitcnt lgkmcnt(3)
	v_add_nc_u32_e32 v48, v24, v23
	s_waitcnt lgkmcnt(2)
	s_delay_alu instid0(VALU_DEP_1) | instskip(SKIP_1) | instid1(VALU_DEP_1)
	v_add3_u32 v48, v48, v21, v22
	s_waitcnt lgkmcnt(1)
	v_add3_u32 v48, v48, v19, v20
	s_waitcnt lgkmcnt(0)
	s_delay_alu instid0(VALU_DEP_1) | instskip(NEXT) | instid1(VALU_DEP_1)
	v_add3_u32 v18, v48, v17, v18
	v_mov_b32_dpp v48, v18 row_shr:1 row_mask:0xf bank_mask:0xf
	s_delay_alu instid0(VALU_DEP_1) | instskip(NEXT) | instid1(VALU_DEP_1)
	v_cndmask_b32_e64 v48, v48, 0, s2
	v_add_nc_u32_e32 v18, v48, v18
	s_delay_alu instid0(VALU_DEP_1) | instskip(NEXT) | instid1(VALU_DEP_1)
	v_mov_b32_dpp v48, v18 row_shr:2 row_mask:0xf bank_mask:0xf
	v_cndmask_b32_e64 v48, 0, v48, s3
	s_delay_alu instid0(VALU_DEP_1) | instskip(NEXT) | instid1(VALU_DEP_1)
	v_add_nc_u32_e32 v18, v18, v48
	v_mov_b32_dpp v48, v18 row_shr:4 row_mask:0xf bank_mask:0xf
	s_delay_alu instid0(VALU_DEP_1) | instskip(NEXT) | instid1(VALU_DEP_1)
	v_cndmask_b32_e64 v48, 0, v48, s4
	v_add_nc_u32_e32 v18, v18, v48
	s_delay_alu instid0(VALU_DEP_1) | instskip(NEXT) | instid1(VALU_DEP_1)
	v_mov_b32_dpp v48, v18 row_shr:8 row_mask:0xf bank_mask:0xf
	v_cndmask_b32_e64 v48, 0, v48, s5
	s_delay_alu instid0(VALU_DEP_1) | instskip(SKIP_3) | instid1(VALU_DEP_1)
	v_add_nc_u32_e32 v18, v18, v48
	ds_swizzle_b32 v48, v18 offset:swizzle(BROADCAST,32,15)
	s_waitcnt lgkmcnt(0)
	v_cndmask_b32_e64 v48, v48, 0, s6
	v_add_nc_u32_e32 v18, v18, v48
	s_and_saveexec_b32 s8, s7
	s_cbranch_execz .LBB127_8
; %bb.7:                                ;   in Loop: Header=BB127_4 Depth=2
	ds_store_b32 v29, v18 offset:16384
.LBB127_8:                              ;   in Loop: Header=BB127_4 Depth=2
	s_or_b32 exec_lo, exec_lo, s8
	s_waitcnt lgkmcnt(0)
	s_barrier
	buffer_gl0_inv
	s_and_saveexec_b32 s8, vcc_lo
	s_cbranch_execz .LBB127_10
; %bb.9:                                ;   in Loop: Header=BB127_4 Depth=2
	ds_load_b32 v48, v28 offset:16384
	s_waitcnt lgkmcnt(0)
	v_mov_b32_dpp v49, v48 row_shr:1 row_mask:0xf bank_mask:0xf
	s_delay_alu instid0(VALU_DEP_1) | instskip(NEXT) | instid1(VALU_DEP_1)
	v_cndmask_b32_e64 v49, v49, 0, s2
	v_add_nc_u32_e32 v48, v49, v48
	s_delay_alu instid0(VALU_DEP_1) | instskip(NEXT) | instid1(VALU_DEP_1)
	v_mov_b32_dpp v49, v48 row_shr:2 row_mask:0xf bank_mask:0xf
	v_cndmask_b32_e64 v49, 0, v49, s3
	s_delay_alu instid0(VALU_DEP_1) | instskip(NEXT) | instid1(VALU_DEP_1)
	v_add_nc_u32_e32 v48, v48, v49
	v_mov_b32_dpp v49, v48 row_shr:4 row_mask:0xf bank_mask:0xf
	s_delay_alu instid0(VALU_DEP_1) | instskip(NEXT) | instid1(VALU_DEP_1)
	v_cndmask_b32_e64 v49, 0, v49, s4
	v_add_nc_u32_e32 v48, v48, v49
	s_delay_alu instid0(VALU_DEP_1) | instskip(NEXT) | instid1(VALU_DEP_1)
	v_mov_b32_dpp v49, v48 row_shr:8 row_mask:0xf bank_mask:0xf
	v_cndmask_b32_e64 v49, 0, v49, s5
	s_delay_alu instid0(VALU_DEP_1)
	v_add_nc_u32_e32 v48, v48, v49
	ds_store_b32 v28, v48 offset:16384
.LBB127_10:                             ;   in Loop: Header=BB127_4 Depth=2
	s_or_b32 exec_lo, exec_lo, s8
	v_mov_b32_e32 v48, 0
	s_waitcnt lgkmcnt(0)
	s_barrier
	buffer_gl0_inv
	s_and_saveexec_b32 s8, s0
	s_cbranch_execz .LBB127_3
; %bb.11:                               ;   in Loop: Header=BB127_4 Depth=2
	ds_load_b32 v48, v29 offset:16380
	s_branch .LBB127_3
.LBB127_12:
	ds_load_u16 v0, v33
	ds_load_u16 v1, v35
	;; [unrolled: 1-line block ×8, first 2 shown]
	v_and_b32_e32 v8, 0xffff, v32
	v_and_b32_e32 v9, 0xffff, v34
	;; [unrolled: 1-line block ×8, first 2 shown]
	s_lshl_b64 s[0:1], s[12:13], 2
	s_delay_alu instid0(SALU_CYCLE_1)
	s_add_u32 s0, s10, s0
	s_addc_u32 s1, s11, s1
	s_waitcnt lgkmcnt(7)
	v_add_nc_u32_e32 v0, v0, v8
	s_waitcnt lgkmcnt(6)
	v_add_nc_u32_e32 v1, v1, v9
	;; [unrolled: 2-line block ×4, first 2 shown]
	v_lshlrev_b32_e32 v8, 2, v25
	s_waitcnt lgkmcnt(3)
	v_add_nc_u32_e32 v4, v4, v12
	s_waitcnt lgkmcnt(2)
	v_add_nc_u32_e32 v5, v5, v13
	;; [unrolled: 2-line block ×4, first 2 shown]
	s_clause 0x1
	global_store_b128 v8, v[0:3], s[0:1]
	global_store_b128 v8, v[4:7], s[0:1] offset:16
	s_nop 0
	s_sendmsg sendmsg(MSG_DEALLOC_VGPRS)
	s_endpgm
	.section	.rodata,"a",@progbits
	.p2align	6, 0x0
	.amdhsa_kernel _Z11rank_kernelIxLj4ELb0EL18RadixRankAlgorithm1ELj512ELj8ELj10EEvPKT_Pi
		.amdhsa_group_segment_fixed_size 16448
		.amdhsa_private_segment_fixed_size 0
		.amdhsa_kernarg_size 16
		.amdhsa_user_sgpr_count 15
		.amdhsa_user_sgpr_dispatch_ptr 0
		.amdhsa_user_sgpr_queue_ptr 0
		.amdhsa_user_sgpr_kernarg_segment_ptr 1
		.amdhsa_user_sgpr_dispatch_id 0
		.amdhsa_user_sgpr_private_segment_size 0
		.amdhsa_wavefront_size32 1
		.amdhsa_uses_dynamic_stack 0
		.amdhsa_enable_private_segment 0
		.amdhsa_system_sgpr_workgroup_id_x 1
		.amdhsa_system_sgpr_workgroup_id_y 0
		.amdhsa_system_sgpr_workgroup_id_z 0
		.amdhsa_system_sgpr_workgroup_info 0
		.amdhsa_system_vgpr_workitem_id 0
		.amdhsa_next_free_vgpr 50
		.amdhsa_next_free_sgpr 16
		.amdhsa_reserve_vcc 1
		.amdhsa_float_round_mode_32 0
		.amdhsa_float_round_mode_16_64 0
		.amdhsa_float_denorm_mode_32 3
		.amdhsa_float_denorm_mode_16_64 3
		.amdhsa_dx10_clamp 1
		.amdhsa_ieee_mode 1
		.amdhsa_fp16_overflow 0
		.amdhsa_workgroup_processor_mode 1
		.amdhsa_memory_ordered 1
		.amdhsa_forward_progress 0
		.amdhsa_shared_vgpr_count 0
		.amdhsa_exception_fp_ieee_invalid_op 0
		.amdhsa_exception_fp_denorm_src 0
		.amdhsa_exception_fp_ieee_div_zero 0
		.amdhsa_exception_fp_ieee_overflow 0
		.amdhsa_exception_fp_ieee_underflow 0
		.amdhsa_exception_fp_ieee_inexact 0
		.amdhsa_exception_int_div_zero 0
	.end_amdhsa_kernel
	.section	.text._Z11rank_kernelIxLj4ELb0EL18RadixRankAlgorithm1ELj512ELj8ELj10EEvPKT_Pi,"axG",@progbits,_Z11rank_kernelIxLj4ELb0EL18RadixRankAlgorithm1ELj512ELj8ELj10EEvPKT_Pi,comdat
.Lfunc_end127:
	.size	_Z11rank_kernelIxLj4ELb0EL18RadixRankAlgorithm1ELj512ELj8ELj10EEvPKT_Pi, .Lfunc_end127-_Z11rank_kernelIxLj4ELb0EL18RadixRankAlgorithm1ELj512ELj8ELj10EEvPKT_Pi
                                        ; -- End function
	.section	.AMDGPU.csdata,"",@progbits
; Kernel info:
; codeLenInByte = 1848
; NumSgprs: 18
; NumVgprs: 50
; ScratchSize: 0
; MemoryBound: 0
; FloatMode: 240
; IeeeMode: 1
; LDSByteSize: 16448 bytes/workgroup (compile time only)
; SGPRBlocks: 2
; VGPRBlocks: 6
; NumSGPRsForWavesPerEU: 18
; NumVGPRsForWavesPerEU: 50
; Occupancy: 16
; WaveLimiterHint : 0
; COMPUTE_PGM_RSRC2:SCRATCH_EN: 0
; COMPUTE_PGM_RSRC2:USER_SGPR: 15
; COMPUTE_PGM_RSRC2:TRAP_HANDLER: 0
; COMPUTE_PGM_RSRC2:TGID_X_EN: 1
; COMPUTE_PGM_RSRC2:TGID_Y_EN: 0
; COMPUTE_PGM_RSRC2:TGID_Z_EN: 0
; COMPUTE_PGM_RSRC2:TIDIG_COMP_CNT: 0
	.section	.text._Z11rank_kernelIxLj4ELb0EL18RadixRankAlgorithm2ELj512ELj8ELj10EEvPKT_Pi,"axG",@progbits,_Z11rank_kernelIxLj4ELb0EL18RadixRankAlgorithm2ELj512ELj8ELj10EEvPKT_Pi,comdat
	.protected	_Z11rank_kernelIxLj4ELb0EL18RadixRankAlgorithm2ELj512ELj8ELj10EEvPKT_Pi ; -- Begin function _Z11rank_kernelIxLj4ELb0EL18RadixRankAlgorithm2ELj512ELj8ELj10EEvPKT_Pi
	.globl	_Z11rank_kernelIxLj4ELb0EL18RadixRankAlgorithm2ELj512ELj8ELj10EEvPKT_Pi
	.p2align	8
	.type	_Z11rank_kernelIxLj4ELb0EL18RadixRankAlgorithm2ELj512ELj8ELj10EEvPKT_Pi,@function
_Z11rank_kernelIxLj4ELb0EL18RadixRankAlgorithm2ELj512ELj8ELj10EEvPKT_Pi: ; @_Z11rank_kernelIxLj4ELb0EL18RadixRankAlgorithm2ELj512ELj8ELj10EEvPKT_Pi
; %bb.0:
	s_clause 0x1
	s_load_b128 s[8:11], s[0:1], 0x0
	s_load_b32 s5, s[0:1], 0x1c
	v_and_b32_e32 v19, 0x3ff, v0
	s_mov_b32 s13, 0
	s_lshl_b32 s12, s15, 12
	v_mbcnt_lo_u32_b32 v20, -1, 0
	s_lshl_b64 s[2:3], s[12:13], 3
	v_lshlrev_b32_e32 v13, 6, v19
	v_bfe_u32 v21, v0, 10, 10
	v_bfe_u32 v22, v0, 20, 10
	v_and_b32_e32 v23, 15, v20
	v_add_nc_u32_e32 v25, -1, v20
	v_dual_mov_b32 v17, 0 :: v_dual_and_b32 v24, 16, v20
	v_cmp_eq_u32_e32 vcc_lo, 0, v20
	v_lshlrev_b32_e32 v0, 3, v19
	v_lshlrev_b32_e32 v18, 2, v19
	v_cmp_lt_u32_e64 s6, 31, v19
	s_mov_b32 s16, s13
	s_waitcnt lgkmcnt(0)
	s_add_u32 s0, s8, s2
	s_addc_u32 s1, s9, s3
	s_lshr_b32 s4, s5, 16
	s_clause 0x3
	global_load_b128 v[1:4], v13, s[0:1]
	global_load_b128 v[5:8], v13, s[0:1] offset:16
	global_load_b128 v[9:12], v13, s[0:1] offset:32
	;; [unrolled: 1-line block ×3, first 2 shown]
	v_cmp_eq_u32_e64 s0, 0, v23
	v_cmp_lt_u32_e64 s1, 1, v23
	v_cmp_lt_u32_e64 s2, 3, v23
	;; [unrolled: 1-line block ×3, first 2 shown]
	v_mad_u32_u24 v23, v22, s4, v21
	s_and_b32 s5, s5, 0xffff
	v_cmp_eq_u32_e64 s4, 0, v24
	v_or_b32_e32 v24, 31, v19
	s_delay_alu instid0(VALU_DEP_3) | instskip(SKIP_2) | instid1(VALU_DEP_4)
	v_mad_u64_u32 v[21:22], null, v23, s5, v[19:20]
	v_cmp_gt_i32_e64 s5, 0, v25
	v_lshrrev_b32_e32 v22, 3, v19
	v_cmp_eq_u32_e64 s7, v24, v19
	s_delay_alu instid0(VALU_DEP_3) | instskip(SKIP_2) | instid1(VALU_DEP_3)
	v_cndmask_b32_e64 v20, v25, v20, s5
	v_cmp_gt_u32_e64 s5, 16, v19
	v_lshrrev_b32_e32 v21, 5, v21
	v_lshlrev_b32_e32 v19, 2, v20
	v_and_b32_e32 v20, 60, v22
	s_delay_alu instid0(VALU_DEP_1)
	v_add_nc_u32_e32 v22, -4, v20
	s_waitcnt vmcnt(3)
	v_xor_b32_e32 v2, 0x80000000, v2
	v_xor_b32_e32 v4, 0x80000000, v4
	s_waitcnt vmcnt(2)
	v_xor_b32_e32 v6, 0x80000000, v6
	v_xor_b32_e32 v8, 0x80000000, v8
	;; [unrolled: 3-line block ×4, first 2 shown]
	s_branch .LBB128_2
.LBB128_1:                              ;   in Loop: Header=BB128_2 Depth=1
	s_add_i32 s16, s16, 1
	s_delay_alu instid0(SALU_CYCLE_1)
	s_cmp_eq_u32 s16, 10
	s_cbranch_scc1 .LBB128_26
.LBB128_2:                              ; =>This Loop Header: Depth=1
                                        ;     Child Loop BB128_4 Depth 2
	s_mov_b64 s[14:15], 60
	s_mov_b32 s17, -4
	s_branch .LBB128_4
.LBB128_3:                              ;   in Loop: Header=BB128_4 Depth=2
	s_or_b32 exec_lo, exec_lo, s8
	s_waitcnt lgkmcnt(0)
	v_add_nc_u32_e32 v46, v47, v46
	s_add_i32 s17, s17, 4
	s_add_u32 s14, s14, -4
	s_addc_u32 s15, s15, -1
	s_cmp_lt_u32 s17, 60
	ds_bpermute_b32 v46, v19, v46
	s_waitcnt lgkmcnt(0)
	v_cndmask_b32_e32 v46, v46, v47, vcc_lo
	ds_store_b32 v18, v46 offset:64
	s_waitcnt lgkmcnt(0)
	s_barrier
	buffer_gl0_inv
	s_cbranch_scc0 .LBB128_1
.LBB128_4:                              ;   Parent Loop BB128_2 Depth=1
                                        ; =>  This Inner Loop Header: Depth=2
	v_lshlrev_b64 v[23:24], s14, v[1:2]
	ds_store_b32 v18, v17 offset:64
	s_waitcnt lgkmcnt(0)
	s_barrier
	buffer_gl0_inv
	v_bfe_u32 v23, v24, 28, 1
	v_lshrrev_b32_e32 v26, 28, v24
	v_and_b32_e32 v24, 0xf0000000, v24
	; wave barrier
	s_delay_alu instid0(VALU_DEP_3) | instskip(NEXT) | instid1(VALU_DEP_1)
	v_add_co_u32 v23, s8, v23, -1
	v_cndmask_b32_e64 v25, 0, 1, s8
	s_delay_alu instid0(VALU_DEP_4) | instskip(SKIP_2) | instid1(VALU_DEP_4)
	v_lshlrev_b32_e32 v27, 30, v26
	v_lshlrev_b32_e32 v28, 29, v26
	v_not_b32_e32 v29, v24
	v_cmp_ne_u32_e64 s8, 0, v25
	s_delay_alu instid0(VALU_DEP_4) | instskip(SKIP_2) | instid1(VALU_DEP_4)
	v_not_b32_e32 v25, v27
	v_cmp_gt_i32_e64 s9, 0, v27
	v_not_b32_e32 v27, v28
	v_xor_b32_e32 v23, s8, v23
	s_delay_alu instid0(VALU_DEP_4) | instskip(SKIP_1) | instid1(VALU_DEP_4)
	v_ashrrev_i32_e32 v25, 31, v25
	v_cmp_gt_i32_e64 s8, 0, v28
	v_ashrrev_i32_e32 v27, 31, v27
	s_delay_alu instid0(VALU_DEP_4) | instskip(NEXT) | instid1(VALU_DEP_4)
	v_and_b32_e32 v23, exec_lo, v23
	v_xor_b32_e32 v25, s9, v25
	v_cmp_gt_i32_e64 s9, 0, v24
	v_ashrrev_i32_e32 v24, 31, v29
	v_xor_b32_e32 v27, s8, v27
	s_delay_alu instid0(VALU_DEP_4) | instskip(NEXT) | instid1(VALU_DEP_3)
	v_and_b32_e32 v23, v23, v25
	v_xor_b32_e32 v24, s9, v24
	s_delay_alu instid0(VALU_DEP_2) | instskip(NEXT) | instid1(VALU_DEP_1)
	v_and_b32_e32 v23, v23, v27
	v_and_b32_e32 v25, v23, v24
	v_mad_u32_u24 v24, v26, 17, v21
	s_delay_alu instid0(VALU_DEP_2) | instskip(SKIP_1) | instid1(VALU_DEP_3)
	v_mbcnt_lo_u32_b32 v23, v25, 0
	v_cmp_ne_u32_e64 s9, 0, v25
	v_lshl_add_u32 v24, v24, 2, 64
	s_delay_alu instid0(VALU_DEP_3) | instskip(NEXT) | instid1(VALU_DEP_1)
	v_cmp_eq_u32_e64 s8, 0, v23
	s_and_b32 s9, s9, s8
	s_delay_alu instid0(SALU_CYCLE_1)
	s_and_saveexec_b32 s8, s9
	s_cbranch_execz .LBB128_6
; %bb.5:                                ;   in Loop: Header=BB128_4 Depth=2
	v_bcnt_u32_b32 v25, v25, 0
	ds_store_b32 v24, v25
.LBB128_6:                              ;   in Loop: Header=BB128_4 Depth=2
	s_or_b32 exec_lo, exec_lo, s8
	v_lshlrev_b64 v[25:26], s14, v[3:4]
	; wave barrier
	s_delay_alu instid0(VALU_DEP_1) | instskip(SKIP_2) | instid1(VALU_DEP_3)
	v_bfe_u32 v25, v26, 28, 1
	v_lshrrev_b32_e32 v27, 28, v26
	v_and_b32_e32 v26, 0xf0000000, v26
	v_add_co_u32 v25, s8, v25, -1
	s_delay_alu instid0(VALU_DEP_1) | instskip(NEXT) | instid1(VALU_DEP_4)
	v_cndmask_b32_e64 v28, 0, 1, s8
	v_lshlrev_b32_e32 v29, 30, v27
	v_lshlrev_b32_e32 v30, 29, v27
	v_not_b32_e32 v31, v26
	v_mul_u32_u24_e32 v27, 17, v27
	v_cmp_ne_u32_e64 s8, 0, v28
	v_not_b32_e32 v28, v29
	v_cmp_gt_i32_e64 s9, 0, v29
	v_not_b32_e32 v29, v30
	v_add_lshl_u32 v27, v21, v27, 2
	v_xor_b32_e32 v25, s8, v25
	v_ashrrev_i32_e32 v28, 31, v28
	v_cmp_gt_i32_e64 s8, 0, v30
	v_ashrrev_i32_e32 v29, 31, v29
	s_delay_alu instid0(VALU_DEP_4) | instskip(NEXT) | instid1(VALU_DEP_4)
	v_and_b32_e32 v25, exec_lo, v25
	v_xor_b32_e32 v28, s9, v28
	v_cmp_gt_i32_e64 s9, 0, v26
	v_ashrrev_i32_e32 v26, 31, v31
	v_xor_b32_e32 v29, s8, v29
	s_delay_alu instid0(VALU_DEP_4) | instskip(NEXT) | instid1(VALU_DEP_3)
	v_and_b32_e32 v25, v25, v28
	v_xor_b32_e32 v26, s9, v26
	s_delay_alu instid0(VALU_DEP_2) | instskip(SKIP_3) | instid1(VALU_DEP_1)
	v_and_b32_e32 v28, v25, v29
	ds_load_b32 v25, v27 offset:64
	v_add_nc_u32_e32 v27, 64, v27
	; wave barrier
	v_and_b32_e32 v28, v28, v26
	v_mbcnt_lo_u32_b32 v26, v28, 0
	v_cmp_ne_u32_e64 s9, 0, v28
	s_delay_alu instid0(VALU_DEP_2) | instskip(NEXT) | instid1(VALU_DEP_1)
	v_cmp_eq_u32_e64 s8, 0, v26
	s_and_b32 s9, s9, s8
	s_delay_alu instid0(SALU_CYCLE_1)
	s_and_saveexec_b32 s8, s9
	s_cbranch_execz .LBB128_8
; %bb.7:                                ;   in Loop: Header=BB128_4 Depth=2
	s_waitcnt lgkmcnt(0)
	v_bcnt_u32_b32 v28, v28, v25
	ds_store_b32 v27, v28
.LBB128_8:                              ;   in Loop: Header=BB128_4 Depth=2
	s_or_b32 exec_lo, exec_lo, s8
	v_lshlrev_b64 v[28:29], s14, v[5:6]
	; wave barrier
	s_delay_alu instid0(VALU_DEP_1) | instskip(SKIP_2) | instid1(VALU_DEP_3)
	v_bfe_u32 v28, v29, 28, 1
	v_lshrrev_b32_e32 v30, 28, v29
	v_and_b32_e32 v29, 0xf0000000, v29
	v_add_co_u32 v28, s8, v28, -1
	s_delay_alu instid0(VALU_DEP_1) | instskip(NEXT) | instid1(VALU_DEP_4)
	v_cndmask_b32_e64 v31, 0, 1, s8
	v_lshlrev_b32_e32 v32, 30, v30
	v_lshlrev_b32_e32 v33, 29, v30
	v_not_b32_e32 v34, v29
	v_mul_u32_u24_e32 v30, 17, v30
	v_cmp_ne_u32_e64 s8, 0, v31
	v_not_b32_e32 v31, v32
	v_cmp_gt_i32_e64 s9, 0, v32
	v_not_b32_e32 v32, v33
	v_add_lshl_u32 v30, v21, v30, 2
	v_xor_b32_e32 v28, s8, v28
	v_ashrrev_i32_e32 v31, 31, v31
	v_cmp_gt_i32_e64 s8, 0, v33
	v_ashrrev_i32_e32 v32, 31, v32
	s_delay_alu instid0(VALU_DEP_4) | instskip(NEXT) | instid1(VALU_DEP_4)
	v_and_b32_e32 v28, exec_lo, v28
	v_xor_b32_e32 v31, s9, v31
	v_cmp_gt_i32_e64 s9, 0, v29
	v_ashrrev_i32_e32 v29, 31, v34
	v_xor_b32_e32 v32, s8, v32
	s_delay_alu instid0(VALU_DEP_4) | instskip(NEXT) | instid1(VALU_DEP_3)
	v_and_b32_e32 v28, v28, v31
	v_xor_b32_e32 v29, s9, v29
	s_delay_alu instid0(VALU_DEP_2) | instskip(SKIP_3) | instid1(VALU_DEP_1)
	v_and_b32_e32 v31, v28, v32
	ds_load_b32 v28, v30 offset:64
	v_add_nc_u32_e32 v30, 64, v30
	; wave barrier
	v_and_b32_e32 v31, v31, v29
	v_mbcnt_lo_u32_b32 v29, v31, 0
	v_cmp_ne_u32_e64 s9, 0, v31
	s_delay_alu instid0(VALU_DEP_2) | instskip(NEXT) | instid1(VALU_DEP_1)
	v_cmp_eq_u32_e64 s8, 0, v29
	s_and_b32 s9, s9, s8
	s_delay_alu instid0(SALU_CYCLE_1)
	s_and_saveexec_b32 s8, s9
	s_cbranch_execz .LBB128_10
; %bb.9:                                ;   in Loop: Header=BB128_4 Depth=2
	s_waitcnt lgkmcnt(0)
	v_bcnt_u32_b32 v31, v31, v28
	ds_store_b32 v30, v31
.LBB128_10:                             ;   in Loop: Header=BB128_4 Depth=2
	s_or_b32 exec_lo, exec_lo, s8
	v_lshlrev_b64 v[31:32], s14, v[7:8]
	; wave barrier
	s_delay_alu instid0(VALU_DEP_1) | instskip(SKIP_2) | instid1(VALU_DEP_3)
	v_bfe_u32 v31, v32, 28, 1
	v_lshrrev_b32_e32 v33, 28, v32
	v_and_b32_e32 v32, 0xf0000000, v32
	v_add_co_u32 v31, s8, v31, -1
	s_delay_alu instid0(VALU_DEP_1) | instskip(NEXT) | instid1(VALU_DEP_4)
	v_cndmask_b32_e64 v34, 0, 1, s8
	v_lshlrev_b32_e32 v35, 30, v33
	v_lshlrev_b32_e32 v36, 29, v33
	v_not_b32_e32 v37, v32
	v_mul_u32_u24_e32 v33, 17, v33
	v_cmp_ne_u32_e64 s8, 0, v34
	v_not_b32_e32 v34, v35
	v_cmp_gt_i32_e64 s9, 0, v35
	v_not_b32_e32 v35, v36
	v_add_lshl_u32 v33, v21, v33, 2
	v_xor_b32_e32 v31, s8, v31
	v_ashrrev_i32_e32 v34, 31, v34
	v_cmp_gt_i32_e64 s8, 0, v36
	v_ashrrev_i32_e32 v35, 31, v35
	s_delay_alu instid0(VALU_DEP_4) | instskip(NEXT) | instid1(VALU_DEP_4)
	v_and_b32_e32 v31, exec_lo, v31
	v_xor_b32_e32 v34, s9, v34
	v_cmp_gt_i32_e64 s9, 0, v32
	v_ashrrev_i32_e32 v32, 31, v37
	v_xor_b32_e32 v35, s8, v35
	s_delay_alu instid0(VALU_DEP_4) | instskip(NEXT) | instid1(VALU_DEP_3)
	v_and_b32_e32 v31, v31, v34
	v_xor_b32_e32 v32, s9, v32
	s_delay_alu instid0(VALU_DEP_2) | instskip(SKIP_3) | instid1(VALU_DEP_1)
	v_and_b32_e32 v34, v31, v35
	ds_load_b32 v31, v33 offset:64
	v_add_nc_u32_e32 v33, 64, v33
	; wave barrier
	v_and_b32_e32 v34, v34, v32
	v_mbcnt_lo_u32_b32 v32, v34, 0
	v_cmp_ne_u32_e64 s9, 0, v34
	s_delay_alu instid0(VALU_DEP_2) | instskip(NEXT) | instid1(VALU_DEP_1)
	v_cmp_eq_u32_e64 s8, 0, v32
	s_and_b32 s9, s9, s8
	s_delay_alu instid0(SALU_CYCLE_1)
	s_and_saveexec_b32 s8, s9
	s_cbranch_execz .LBB128_12
; %bb.11:                               ;   in Loop: Header=BB128_4 Depth=2
	s_waitcnt lgkmcnt(0)
	v_bcnt_u32_b32 v34, v34, v31
	ds_store_b32 v33, v34
.LBB128_12:                             ;   in Loop: Header=BB128_4 Depth=2
	s_or_b32 exec_lo, exec_lo, s8
	v_lshlrev_b64 v[34:35], s14, v[9:10]
	; wave barrier
	s_delay_alu instid0(VALU_DEP_1) | instskip(SKIP_2) | instid1(VALU_DEP_3)
	v_bfe_u32 v34, v35, 28, 1
	v_lshrrev_b32_e32 v36, 28, v35
	v_and_b32_e32 v35, 0xf0000000, v35
	v_add_co_u32 v34, s8, v34, -1
	s_delay_alu instid0(VALU_DEP_1) | instskip(NEXT) | instid1(VALU_DEP_4)
	v_cndmask_b32_e64 v37, 0, 1, s8
	v_lshlrev_b32_e32 v38, 30, v36
	v_lshlrev_b32_e32 v39, 29, v36
	v_not_b32_e32 v40, v35
	v_mul_u32_u24_e32 v36, 17, v36
	v_cmp_ne_u32_e64 s8, 0, v37
	v_not_b32_e32 v37, v38
	v_cmp_gt_i32_e64 s9, 0, v38
	v_not_b32_e32 v38, v39
	v_add_lshl_u32 v36, v21, v36, 2
	v_xor_b32_e32 v34, s8, v34
	v_ashrrev_i32_e32 v37, 31, v37
	v_cmp_gt_i32_e64 s8, 0, v39
	v_ashrrev_i32_e32 v38, 31, v38
	s_delay_alu instid0(VALU_DEP_4) | instskip(NEXT) | instid1(VALU_DEP_4)
	v_and_b32_e32 v34, exec_lo, v34
	v_xor_b32_e32 v37, s9, v37
	v_cmp_gt_i32_e64 s9, 0, v35
	v_ashrrev_i32_e32 v35, 31, v40
	v_xor_b32_e32 v38, s8, v38
	s_delay_alu instid0(VALU_DEP_4) | instskip(NEXT) | instid1(VALU_DEP_3)
	v_and_b32_e32 v34, v34, v37
	v_xor_b32_e32 v35, s9, v35
	s_delay_alu instid0(VALU_DEP_2) | instskip(SKIP_3) | instid1(VALU_DEP_1)
	v_and_b32_e32 v37, v34, v38
	ds_load_b32 v34, v36 offset:64
	v_add_nc_u32_e32 v36, 64, v36
	; wave barrier
	v_and_b32_e32 v37, v37, v35
	v_mbcnt_lo_u32_b32 v35, v37, 0
	v_cmp_ne_u32_e64 s9, 0, v37
	s_delay_alu instid0(VALU_DEP_2) | instskip(NEXT) | instid1(VALU_DEP_1)
	v_cmp_eq_u32_e64 s8, 0, v35
	s_and_b32 s9, s9, s8
	s_delay_alu instid0(SALU_CYCLE_1)
	s_and_saveexec_b32 s8, s9
	s_cbranch_execz .LBB128_14
; %bb.13:                               ;   in Loop: Header=BB128_4 Depth=2
	s_waitcnt lgkmcnt(0)
	v_bcnt_u32_b32 v37, v37, v34
	ds_store_b32 v36, v37
.LBB128_14:                             ;   in Loop: Header=BB128_4 Depth=2
	;; [unrolled: 51-line block ×5, first 2 shown]
	s_or_b32 exec_lo, exec_lo, s8
	; wave barrier
	s_waitcnt lgkmcnt(0)
	s_barrier
	buffer_gl0_inv
	ds_load_b32 v46, v18 offset:64
	s_waitcnt lgkmcnt(0)
	v_mov_b32_dpp v47, v46 row_shr:1 row_mask:0xf bank_mask:0xf
	s_delay_alu instid0(VALU_DEP_1) | instskip(NEXT) | instid1(VALU_DEP_1)
	v_cndmask_b32_e64 v47, v47, 0, s0
	v_add_nc_u32_e32 v46, v47, v46
	s_delay_alu instid0(VALU_DEP_1) | instskip(NEXT) | instid1(VALU_DEP_1)
	v_mov_b32_dpp v47, v46 row_shr:2 row_mask:0xf bank_mask:0xf
	v_cndmask_b32_e64 v47, 0, v47, s1
	s_delay_alu instid0(VALU_DEP_1) | instskip(NEXT) | instid1(VALU_DEP_1)
	v_add_nc_u32_e32 v46, v46, v47
	v_mov_b32_dpp v47, v46 row_shr:4 row_mask:0xf bank_mask:0xf
	s_delay_alu instid0(VALU_DEP_1) | instskip(NEXT) | instid1(VALU_DEP_1)
	v_cndmask_b32_e64 v47, 0, v47, s2
	v_add_nc_u32_e32 v46, v46, v47
	s_delay_alu instid0(VALU_DEP_1) | instskip(NEXT) | instid1(VALU_DEP_1)
	v_mov_b32_dpp v47, v46 row_shr:8 row_mask:0xf bank_mask:0xf
	v_cndmask_b32_e64 v47, 0, v47, s3
	s_delay_alu instid0(VALU_DEP_1) | instskip(SKIP_3) | instid1(VALU_DEP_1)
	v_add_nc_u32_e32 v46, v46, v47
	ds_swizzle_b32 v47, v46 offset:swizzle(BROADCAST,32,15)
	s_waitcnt lgkmcnt(0)
	v_cndmask_b32_e64 v47, v47, 0, s4
	v_add_nc_u32_e32 v46, v46, v47
	s_and_saveexec_b32 s8, s7
	s_delay_alu instid0(SALU_CYCLE_1)
	s_xor_b32 s8, exec_lo, s8
	s_cbranch_execz .LBB128_22
; %bb.21:                               ;   in Loop: Header=BB128_4 Depth=2
	ds_store_b32 v20, v46
.LBB128_22:                             ;   in Loop: Header=BB128_4 Depth=2
	s_or_b32 exec_lo, exec_lo, s8
	s_waitcnt lgkmcnt(0)
	s_barrier
	buffer_gl0_inv
	s_and_saveexec_b32 s8, s5
	s_cbranch_execz .LBB128_24
; %bb.23:                               ;   in Loop: Header=BB128_4 Depth=2
	ds_load_b32 v47, v18
	s_waitcnt lgkmcnt(0)
	v_mov_b32_dpp v48, v47 row_shr:1 row_mask:0xf bank_mask:0xf
	s_delay_alu instid0(VALU_DEP_1) | instskip(NEXT) | instid1(VALU_DEP_1)
	v_cndmask_b32_e64 v48, v48, 0, s0
	v_add_nc_u32_e32 v47, v48, v47
	s_delay_alu instid0(VALU_DEP_1) | instskip(NEXT) | instid1(VALU_DEP_1)
	v_mov_b32_dpp v48, v47 row_shr:2 row_mask:0xf bank_mask:0xf
	v_cndmask_b32_e64 v48, 0, v48, s1
	s_delay_alu instid0(VALU_DEP_1) | instskip(NEXT) | instid1(VALU_DEP_1)
	v_add_nc_u32_e32 v47, v47, v48
	v_mov_b32_dpp v48, v47 row_shr:4 row_mask:0xf bank_mask:0xf
	s_delay_alu instid0(VALU_DEP_1) | instskip(NEXT) | instid1(VALU_DEP_1)
	v_cndmask_b32_e64 v48, 0, v48, s2
	v_add_nc_u32_e32 v47, v47, v48
	s_delay_alu instid0(VALU_DEP_1) | instskip(NEXT) | instid1(VALU_DEP_1)
	v_mov_b32_dpp v48, v47 row_shr:8 row_mask:0xf bank_mask:0xf
	v_cndmask_b32_e64 v48, 0, v48, s3
	s_delay_alu instid0(VALU_DEP_1)
	v_add_nc_u32_e32 v47, v47, v48
	ds_store_b32 v18, v47
.LBB128_24:                             ;   in Loop: Header=BB128_4 Depth=2
	s_or_b32 exec_lo, exec_lo, s8
	v_mov_b32_e32 v47, 0
	s_waitcnt lgkmcnt(0)
	s_barrier
	buffer_gl0_inv
	s_and_saveexec_b32 s8, s6
	s_cbranch_execz .LBB128_3
; %bb.25:                               ;   in Loop: Header=BB128_4 Depth=2
	ds_load_b32 v47, v22
	s_branch .LBB128_3
.LBB128_26:
	ds_load_b32 v1, v24
	ds_load_b32 v2, v27
	;; [unrolled: 1-line block ×8, first 2 shown]
	s_lshl_b64 s[0:1], s[12:13], 2
	v_lshlrev_b32_e32 v9, 2, v0
	s_add_u32 s0, s10, s0
	s_addc_u32 s1, s11, s1
	s_waitcnt lgkmcnt(7)
	v_add_nc_u32_e32 v0, v1, v23
	s_waitcnt lgkmcnt(6)
	v_add3_u32 v1, v26, v25, v2
	s_waitcnt lgkmcnt(5)
	v_add3_u32 v2, v29, v28, v3
	;; [unrolled: 2-line block ×7, first 2 shown]
	s_clause 0x1
	global_store_b128 v9, v[0:3], s[0:1]
	global_store_b128 v9, v[4:7], s[0:1] offset:16
	s_nop 0
	s_sendmsg sendmsg(MSG_DEALLOC_VGPRS)
	s_endpgm
	.section	.rodata,"a",@progbits
	.p2align	6, 0x0
	.amdhsa_kernel _Z11rank_kernelIxLj4ELb0EL18RadixRankAlgorithm2ELj512ELj8ELj10EEvPKT_Pi
		.amdhsa_group_segment_fixed_size 2112
		.amdhsa_private_segment_fixed_size 0
		.amdhsa_kernarg_size 272
		.amdhsa_user_sgpr_count 15
		.amdhsa_user_sgpr_dispatch_ptr 0
		.amdhsa_user_sgpr_queue_ptr 0
		.amdhsa_user_sgpr_kernarg_segment_ptr 1
		.amdhsa_user_sgpr_dispatch_id 0
		.amdhsa_user_sgpr_private_segment_size 0
		.amdhsa_wavefront_size32 1
		.amdhsa_uses_dynamic_stack 0
		.amdhsa_enable_private_segment 0
		.amdhsa_system_sgpr_workgroup_id_x 1
		.amdhsa_system_sgpr_workgroup_id_y 0
		.amdhsa_system_sgpr_workgroup_id_z 0
		.amdhsa_system_sgpr_workgroup_info 0
		.amdhsa_system_vgpr_workitem_id 2
		.amdhsa_next_free_vgpr 50
		.amdhsa_next_free_sgpr 18
		.amdhsa_reserve_vcc 1
		.amdhsa_float_round_mode_32 0
		.amdhsa_float_round_mode_16_64 0
		.amdhsa_float_denorm_mode_32 3
		.amdhsa_float_denorm_mode_16_64 3
		.amdhsa_dx10_clamp 1
		.amdhsa_ieee_mode 1
		.amdhsa_fp16_overflow 0
		.amdhsa_workgroup_processor_mode 1
		.amdhsa_memory_ordered 1
		.amdhsa_forward_progress 0
		.amdhsa_shared_vgpr_count 0
		.amdhsa_exception_fp_ieee_invalid_op 0
		.amdhsa_exception_fp_denorm_src 0
		.amdhsa_exception_fp_ieee_div_zero 0
		.amdhsa_exception_fp_ieee_overflow 0
		.amdhsa_exception_fp_ieee_underflow 0
		.amdhsa_exception_fp_ieee_inexact 0
		.amdhsa_exception_int_div_zero 0
	.end_amdhsa_kernel
	.section	.text._Z11rank_kernelIxLj4ELb0EL18RadixRankAlgorithm2ELj512ELj8ELj10EEvPKT_Pi,"axG",@progbits,_Z11rank_kernelIxLj4ELb0EL18RadixRankAlgorithm2ELj512ELj8ELj10EEvPKT_Pi,comdat
.Lfunc_end128:
	.size	_Z11rank_kernelIxLj4ELb0EL18RadixRankAlgorithm2ELj512ELj8ELj10EEvPKT_Pi, .Lfunc_end128-_Z11rank_kernelIxLj4ELb0EL18RadixRankAlgorithm2ELj512ELj8ELj10EEvPKT_Pi
                                        ; -- End function
	.section	.AMDGPU.csdata,"",@progbits
; Kernel info:
; codeLenInByte = 3096
; NumSgprs: 20
; NumVgprs: 50
; ScratchSize: 0
; MemoryBound: 0
; FloatMode: 240
; IeeeMode: 1
; LDSByteSize: 2112 bytes/workgroup (compile time only)
; SGPRBlocks: 2
; VGPRBlocks: 6
; NumSGPRsForWavesPerEU: 20
; NumVGPRsForWavesPerEU: 50
; Occupancy: 16
; WaveLimiterHint : 0
; COMPUTE_PGM_RSRC2:SCRATCH_EN: 0
; COMPUTE_PGM_RSRC2:USER_SGPR: 15
; COMPUTE_PGM_RSRC2:TRAP_HANDLER: 0
; COMPUTE_PGM_RSRC2:TGID_X_EN: 1
; COMPUTE_PGM_RSRC2:TGID_Y_EN: 0
; COMPUTE_PGM_RSRC2:TGID_Z_EN: 0
; COMPUTE_PGM_RSRC2:TIDIG_COMP_CNT: 2
	.section	.text._Z11rank_kernelIxLj4ELb0EL18RadixRankAlgorithm0ELj512ELj16ELj10EEvPKT_Pi,"axG",@progbits,_Z11rank_kernelIxLj4ELb0EL18RadixRankAlgorithm0ELj512ELj16ELj10EEvPKT_Pi,comdat
	.protected	_Z11rank_kernelIxLj4ELb0EL18RadixRankAlgorithm0ELj512ELj16ELj10EEvPKT_Pi ; -- Begin function _Z11rank_kernelIxLj4ELb0EL18RadixRankAlgorithm0ELj512ELj16ELj10EEvPKT_Pi
	.globl	_Z11rank_kernelIxLj4ELb0EL18RadixRankAlgorithm0ELj512ELj16ELj10EEvPKT_Pi
	.p2align	8
	.type	_Z11rank_kernelIxLj4ELb0EL18RadixRankAlgorithm0ELj512ELj16ELj10EEvPKT_Pi,@function
_Z11rank_kernelIxLj4ELb0EL18RadixRankAlgorithm0ELj512ELj16ELj10EEvPKT_Pi: ; @_Z11rank_kernelIxLj4ELb0EL18RadixRankAlgorithm0ELj512ELj16ELj10EEvPKT_Pi
; %bb.0:
	s_load_b128 s[8:11], s[0:1], 0x0
	s_mov_b32 s13, 0
	s_lshl_b32 s12, s15, 13
	v_dual_mov_b32 v34, 0 :: v_dual_lshlrev_b32 v29, 7, v0
	s_lshl_b64 s[0:1], s[12:13], 3
	v_mbcnt_lo_u32_b32 v37, -1, 0
	v_or_b32_e32 v40, 31, v0
	v_lshrrev_b32_e32 v42, 3, v0
	v_lshlrev_b32_e32 v33, 4, v0
	v_lshlrev_b32_e32 v35, 5, v0
	v_add_nc_u32_e32 v41, -1, v37
	v_and_b32_e32 v38, 15, v37
	v_and_b32_e32 v39, 16, v37
	v_cmp_gt_u32_e32 vcc_lo, 16, v0
	v_lshlrev_b32_e32 v36, 2, v0
	v_cmp_gt_i32_e64 s5, 0, v41
	v_cmp_eq_u32_e64 s2, 0, v38
	v_cmp_lt_u32_e64 s3, 1, v38
	v_cmp_lt_u32_e64 s4, 3, v38
	s_waitcnt lgkmcnt(0)
	s_add_u32 s0, s8, s0
	s_addc_u32 s1, s9, s1
	v_cndmask_b32_e64 v41, v41, v37, s5
	s_clause 0x7
	global_load_b128 v[1:4], v29, s[0:1]
	global_load_b128 v[5:8], v29, s[0:1] offset:16
	global_load_b128 v[9:12], v29, s[0:1] offset:32
	;; [unrolled: 1-line block ×7, first 2 shown]
	v_cmp_lt_u32_e64 s0, 31, v0
	v_cmp_eq_u32_e64 s1, 0, v37
	v_cmp_lt_u32_e64 s5, 7, v38
	v_cmp_eq_u32_e64 s6, 0, v39
	v_cmp_eq_u32_e64 s7, v40, v0
	v_and_b32_e32 v37, 60, v42
	v_lshlrev_b32_e32 v38, 2, v41
	v_or_b32_e32 v39, 0xfffffe00, v0
	s_mov_b32 s9, s13
	s_waitcnt vmcnt(7)
	v_xor_b32_e32 v2, 0x80000000, v2
	v_xor_b32_e32 v4, 0x80000000, v4
	s_waitcnt vmcnt(6)
	v_xor_b32_e32 v6, 0x80000000, v6
	v_xor_b32_e32 v8, 0x80000000, v8
	;; [unrolled: 3-line block ×8, first 2 shown]
	s_branch .LBB129_2
.LBB129_1:                              ;   in Loop: Header=BB129_2 Depth=1
	s_add_i32 s9, s9, 1
	s_delay_alu instid0(SALU_CYCLE_1)
	s_cmp_eq_u32 s9, 10
	s_cbranch_scc1 .LBB129_12
.LBB129_2:                              ; =>This Loop Header: Depth=1
                                        ;     Child Loop BB129_4 Depth 2
                                        ;       Child Loop BB129_5 Depth 3
	s_mov_b32 s14, 0
	s_branch .LBB129_4
.LBB129_3:                              ;   in Loop: Header=BB129_4 Depth=2
	s_or_b32 exec_lo, exec_lo, s8
	s_waitcnt lgkmcnt(0)
	v_add_nc_u32_e32 v72, v73, v72
	ds_load_b32 v76, v34 offset:16444
	ds_load_2addr_b32 v[74:75], v35 offset1:1
	s_add_i32 s8, s14, 4
	s_cmp_lt_u32 s14, 60
	s_mov_b32 s14, s8
	ds_bpermute_b32 v72, v38, v72
	s_waitcnt lgkmcnt(0)
	v_cndmask_b32_e64 v77, v72, v73, s1
	ds_load_2addr_b32 v[72:73], v35 offset0:2 offset1:3
	v_lshl_add_u32 v78, v76, 16, v77
	ds_load_2addr_b32 v[76:77], v35 offset0:4 offset1:5
	ds_load_b32 v79, v35 offset:24
	v_add_nc_u32_e32 v74, v78, v74
	s_delay_alu instid0(VALU_DEP_1) | instskip(SKIP_1) | instid1(VALU_DEP_1)
	v_add_nc_u32_e32 v75, v75, v74
	s_waitcnt lgkmcnt(2)
	v_add_nc_u32_e32 v72, v72, v75
	s_delay_alu instid0(VALU_DEP_1) | instskip(SKIP_1) | instid1(VALU_DEP_1)
	v_add_nc_u32_e32 v73, v73, v72
	s_waitcnt lgkmcnt(1)
	;; [unrolled: 4-line block ×3, first 2 shown]
	v_add_nc_u32_e32 v79, v79, v77
	ds_store_2addr_b32 v35, v78, v74 offset1:1
	ds_store_2addr_b32 v35, v75, v72 offset0:2 offset1:3
	ds_store_2addr_b32 v35, v73, v76 offset0:4 offset1:5
	;; [unrolled: 1-line block ×3, first 2 shown]
	s_waitcnt lgkmcnt(0)
	s_barrier
	buffer_gl0_inv
	s_cbranch_scc0 .LBB129_1
.LBB129_4:                              ;   Parent Loop BB129_2 Depth=1
                                        ; =>  This Loop Header: Depth=2
                                        ;       Child Loop BB129_5 Depth 3
	v_dual_mov_b32 v40, v39 :: v_dual_mov_b32 v41, v36
	s_mov_b32 s15, 0
.LBB129_5:                              ;   Parent Loop BB129_2 Depth=1
                                        ;     Parent Loop BB129_4 Depth=2
                                        ; =>    This Inner Loop Header: Depth=3
	s_delay_alu instid0(VALU_DEP_1) | instskip(SKIP_3) | instid1(VALU_DEP_1)
	v_add_nc_u32_e32 v40, 0x200, v40
	ds_store_b32 v41, v34
	v_add_nc_u32_e32 v41, 0x800, v41
	v_cmp_lt_u32_e64 s8, 0xdff, v40
	s_or_b32 s15, s8, s15
	s_delay_alu instid0(SALU_CYCLE_1)
	s_and_not1_b32 exec_lo, exec_lo, s15
	s_cbranch_execnz .LBB129_5
; %bb.6:                                ;   in Loop: Header=BB129_4 Depth=2
	s_or_b32 exec_lo, exec_lo, s15
	s_sub_i32 s8, 60, s14
	s_delay_alu instid0(SALU_CYCLE_1)
	v_lshlrev_b64 v[40:41], s8, v[1:2]
	v_lshlrev_b64 v[46:47], s8, v[5:6]
	;; [unrolled: 1-line block ×6, first 2 shown]
	v_lshrrev_b32_e32 v40, 19, v41
	v_lshrrev_b32_e32 v41, 30, v41
	v_lshlrev_b64 v[57:58], s8, v[17:18]
	v_lshlrev_b64 v[59:60], s8, v[19:20]
	v_lshrrev_b32_e32 v53, 30, v54
	v_and_or_b32 v40, 0xe00, v40, v0
	v_and_b32_e32 v41, 2, v41
	v_lshrrev_b32_e32 v55, 30, v56
	v_lshrrev_b32_e32 v57, 30, v58
	v_and_b32_e32 v53, 2, v53
	v_lshrrev_b32_e32 v59, 30, v60
	v_lshl_or_b32 v40, v40, 2, v41
	v_lshlrev_b64 v[41:42], s8, v[3:4]
	v_and_b32_e32 v55, 2, v55
	v_and_b32_e32 v57, 2, v57
	;; [unrolled: 1-line block ×3, first 2 shown]
	ds_load_u16 v43, v40
	v_lshlrev_b64 v[64:65], s8, v[23:24]
	v_lshrrev_b32_e32 v41, 19, v42
	v_lshrrev_b32_e32 v42, 30, v42
	s_delay_alu instid0(VALU_DEP_2) | instskip(NEXT) | instid1(VALU_DEP_2)
	v_and_or_b32 v41, 0xe00, v41, v0
	v_and_b32_e32 v42, 2, v42
	s_delay_alu instid0(VALU_DEP_1) | instskip(SKIP_1) | instid1(VALU_DEP_1)
	v_lshl_or_b32 v41, v41, 2, v42
	v_lshrrev_b32_e32 v42, 19, v47
	v_and_or_b32 v42, 0xe00, v42, v0
	s_waitcnt lgkmcnt(0)
	v_add_nc_u16 v44, v43, 1
	ds_store_b16 v40, v44
	ds_load_u16 v45, v41
	v_lshrrev_b32_e32 v44, 30, v47
	s_delay_alu instid0(VALU_DEP_1) | instskip(NEXT) | instid1(VALU_DEP_1)
	v_and_b32_e32 v44, 2, v44
	v_lshl_or_b32 v42, v42, 2, v44
	v_lshrrev_b32_e32 v44, 19, v49
	s_delay_alu instid0(VALU_DEP_1)
	v_and_or_b32 v44, 0xe00, v44, v0
	s_waitcnt lgkmcnt(0)
	v_add_nc_u16 v46, v45, 1
	ds_store_b16 v41, v46
	ds_load_u16 v47, v42
	v_lshrrev_b32_e32 v46, 30, v49
	s_delay_alu instid0(VALU_DEP_1) | instskip(NEXT) | instid1(VALU_DEP_1)
	v_and_b32_e32 v46, 2, v46
	v_lshl_or_b32 v44, v44, 2, v46
	v_lshrrev_b32_e32 v46, 19, v51
	s_delay_alu instid0(VALU_DEP_1)
	v_and_or_b32 v46, 0xe00, v46, v0
	s_waitcnt lgkmcnt(0)
	v_add_nc_u16 v48, v47, 1
	ds_store_b16 v42, v48
	ds_load_u16 v49, v44
	v_lshrrev_b32_e32 v48, 30, v51
	v_lshlrev_b64 v[51:52], s8, v[11:12]
	s_delay_alu instid0(VALU_DEP_2) | instskip(NEXT) | instid1(VALU_DEP_2)
	v_and_b32_e32 v48, 2, v48
	v_lshrrev_b32_e32 v51, 30, v52
	s_delay_alu instid0(VALU_DEP_2) | instskip(SKIP_1) | instid1(VALU_DEP_3)
	v_lshl_or_b32 v46, v46, 2, v48
	v_lshrrev_b32_e32 v48, 19, v52
	v_and_b32_e32 v51, 2, v51
	s_delay_alu instid0(VALU_DEP_2) | instskip(SKIP_2) | instid1(VALU_DEP_2)
	v_and_or_b32 v48, 0xe00, v48, v0
	s_waitcnt lgkmcnt(0)
	v_add_nc_u16 v50, v49, 1
	v_lshl_or_b32 v48, v48, 2, v51
	v_lshrrev_b32_e32 v51, 19, v54
	ds_store_b16 v44, v50
	ds_load_u16 v50, v46
	v_and_or_b32 v51, 0xe00, v51, v0
	s_delay_alu instid0(VALU_DEP_1) | instskip(SKIP_1) | instid1(VALU_DEP_1)
	v_lshl_or_b32 v51, v51, 2, v53
	v_lshrrev_b32_e32 v53, 19, v56
	v_and_or_b32 v53, 0xe00, v53, v0
	s_delay_alu instid0(VALU_DEP_1) | instskip(SKIP_3) | instid1(VALU_DEP_2)
	v_lshl_or_b32 v53, v53, 2, v55
	v_lshrrev_b32_e32 v55, 19, v58
	s_waitcnt lgkmcnt(0)
	v_add_nc_u16 v52, v50, 1
	v_and_or_b32 v55, 0xe00, v55, v0
	ds_store_b16 v46, v52
	ds_load_u16 v52, v48
	v_lshl_or_b32 v55, v55, 2, v57
	v_lshrrev_b32_e32 v57, 19, v60
	s_delay_alu instid0(VALU_DEP_1) | instskip(NEXT) | instid1(VALU_DEP_1)
	v_and_or_b32 v57, 0xe00, v57, v0
	v_lshl_or_b32 v57, v57, 2, v59
	s_waitcnt lgkmcnt(0)
	v_add_nc_u16 v54, v52, 1
	ds_store_b16 v48, v54
	ds_load_u16 v54, v51
	s_waitcnt lgkmcnt(0)
	v_add_nc_u16 v56, v54, 1
	ds_store_b16 v51, v56
	ds_load_u16 v56, v53
	;; [unrolled: 4-line block ×4, first 2 shown]
	v_lshlrev_b64 v[59:60], s8, v[21:22]
	s_delay_alu instid0(VALU_DEP_1) | instskip(SKIP_1) | instid1(VALU_DEP_2)
	v_lshrrev_b32_e32 v59, 19, v60
	v_lshrrev_b32_e32 v60, 30, v60
	v_and_or_b32 v59, 0xe00, v59, v0
	s_delay_alu instid0(VALU_DEP_2) | instskip(NEXT) | instid1(VALU_DEP_1)
	v_and_b32_e32 v60, 2, v60
	v_lshl_or_b32 v60, v59, 2, v60
	v_lshrrev_b32_e32 v59, 19, v65
	s_waitcnt lgkmcnt(0)
	v_add_nc_u16 v62, v61, 1
	s_delay_alu instid0(VALU_DEP_2) | instskip(SKIP_3) | instid1(VALU_DEP_1)
	v_and_or_b32 v59, 0xe00, v59, v0
	ds_store_b16 v57, v62
	ds_load_u16 v63, v60
	v_lshrrev_b32_e32 v62, 30, v65
	v_and_b32_e32 v62, 2, v62
	s_delay_alu instid0(VALU_DEP_1)
	v_lshl_or_b32 v64, v59, 2, v62
	s_waitcnt lgkmcnt(0)
	v_add_nc_u16 v65, v63, 1
	ds_store_b16 v60, v65
	ds_load_u16 v59, v64
	v_lshlrev_b64 v[65:66], s8, v[25:26]
	s_delay_alu instid0(VALU_DEP_1) | instskip(SKIP_1) | instid1(VALU_DEP_2)
	v_lshrrev_b32_e32 v62, 19, v66
	v_lshrrev_b32_e32 v65, 30, v66
	v_and_or_b32 v62, 0xe00, v62, v0
	s_delay_alu instid0(VALU_DEP_2) | instskip(NEXT) | instid1(VALU_DEP_1)
	v_and_b32_e32 v65, 2, v65
	v_lshl_or_b32 v66, v62, 2, v65
	s_waitcnt lgkmcnt(0)
	v_add_nc_u16 v67, v59, 1
	ds_store_b16 v64, v67
	ds_load_u16 v62, v66
	v_lshlrev_b64 v[67:68], s8, v[27:28]
	s_delay_alu instid0(VALU_DEP_1) | instskip(SKIP_1) | instid1(VALU_DEP_2)
	v_lshrrev_b32_e32 v65, 19, v68
	v_lshrrev_b32_e32 v67, 30, v68
	v_and_or_b32 v65, 0xe00, v65, v0
	s_delay_alu instid0(VALU_DEP_2) | instskip(NEXT) | instid1(VALU_DEP_1)
	v_and_b32_e32 v67, 2, v67
	v_lshl_or_b32 v68, v65, 2, v67
	s_waitcnt lgkmcnt(0)
	v_add_nc_u16 v69, v62, 1
	ds_store_b16 v66, v69
	ds_load_u16 v65, v68
	v_lshlrev_b64 v[69:70], s8, v[29:30]
	s_delay_alu instid0(VALU_DEP_1) | instskip(SKIP_1) | instid1(VALU_DEP_2)
	v_lshrrev_b32_e32 v67, 19, v70
	v_lshrrev_b32_e32 v69, 30, v70
	v_and_or_b32 v67, 0xe00, v67, v0
	s_delay_alu instid0(VALU_DEP_2) | instskip(NEXT) | instid1(VALU_DEP_1)
	v_and_b32_e32 v69, 2, v69
	v_lshl_or_b32 v70, v67, 2, v69
	s_waitcnt lgkmcnt(0)
	v_add_nc_u16 v71, v65, 1
	ds_store_b16 v68, v71
	ds_load_u16 v67, v70
	v_lshlrev_b64 v[71:72], s8, v[31:32]
	s_delay_alu instid0(VALU_DEP_1) | instskip(SKIP_1) | instid1(VALU_DEP_2)
	v_lshrrev_b32_e32 v69, 19, v72
	v_lshrrev_b32_e32 v71, 30, v72
	v_and_or_b32 v69, 0xe00, v69, v0
	s_delay_alu instid0(VALU_DEP_2) | instskip(NEXT) | instid1(VALU_DEP_1)
	v_and_b32_e32 v71, 2, v71
	v_lshl_or_b32 v71, v69, 2, v71
	s_waitcnt lgkmcnt(0)
	v_add_nc_u16 v72, v67, 1
	ds_store_b16 v70, v72
	ds_load_u16 v69, v71
	s_waitcnt lgkmcnt(0)
	v_add_nc_u16 v72, v69, 1
	ds_store_b16 v71, v72
	s_waitcnt lgkmcnt(0)
	s_barrier
	buffer_gl0_inv
	ds_load_2addr_b32 v[72:73], v35 offset1:1
	ds_load_2addr_b32 v[74:75], v35 offset0:2 offset1:3
	ds_load_2addr_b32 v[76:77], v35 offset0:4 offset1:5
	;; [unrolled: 1-line block ×3, first 2 shown]
	s_waitcnt lgkmcnt(3)
	v_add_nc_u32_e32 v72, v73, v72
	s_waitcnt lgkmcnt(2)
	s_delay_alu instid0(VALU_DEP_1) | instskip(SKIP_1) | instid1(VALU_DEP_1)
	v_add3_u32 v72, v72, v74, v75
	s_waitcnt lgkmcnt(1)
	v_add3_u32 v72, v72, v76, v77
	s_waitcnt lgkmcnt(0)
	s_delay_alu instid0(VALU_DEP_1) | instskip(NEXT) | instid1(VALU_DEP_1)
	v_add3_u32 v72, v72, v78, v79
	v_mov_b32_dpp v73, v72 row_shr:1 row_mask:0xf bank_mask:0xf
	s_delay_alu instid0(VALU_DEP_1) | instskip(NEXT) | instid1(VALU_DEP_1)
	v_cndmask_b32_e64 v73, v73, 0, s2
	v_add_nc_u32_e32 v72, v73, v72
	s_delay_alu instid0(VALU_DEP_1) | instskip(NEXT) | instid1(VALU_DEP_1)
	v_mov_b32_dpp v73, v72 row_shr:2 row_mask:0xf bank_mask:0xf
	v_cndmask_b32_e64 v73, 0, v73, s3
	s_delay_alu instid0(VALU_DEP_1) | instskip(NEXT) | instid1(VALU_DEP_1)
	v_add_nc_u32_e32 v72, v72, v73
	v_mov_b32_dpp v73, v72 row_shr:4 row_mask:0xf bank_mask:0xf
	s_delay_alu instid0(VALU_DEP_1) | instskip(NEXT) | instid1(VALU_DEP_1)
	v_cndmask_b32_e64 v73, 0, v73, s4
	v_add_nc_u32_e32 v72, v72, v73
	s_delay_alu instid0(VALU_DEP_1) | instskip(NEXT) | instid1(VALU_DEP_1)
	v_mov_b32_dpp v73, v72 row_shr:8 row_mask:0xf bank_mask:0xf
	v_cndmask_b32_e64 v73, 0, v73, s5
	s_delay_alu instid0(VALU_DEP_1) | instskip(SKIP_3) | instid1(VALU_DEP_1)
	v_add_nc_u32_e32 v72, v72, v73
	ds_swizzle_b32 v73, v72 offset:swizzle(BROADCAST,32,15)
	s_waitcnt lgkmcnt(0)
	v_cndmask_b32_e64 v73, v73, 0, s6
	v_add_nc_u32_e32 v72, v72, v73
	s_and_saveexec_b32 s8, s7
	s_cbranch_execz .LBB129_8
; %bb.7:                                ;   in Loop: Header=BB129_4 Depth=2
	ds_store_b32 v37, v72 offset:16384
.LBB129_8:                              ;   in Loop: Header=BB129_4 Depth=2
	s_or_b32 exec_lo, exec_lo, s8
	s_waitcnt lgkmcnt(0)
	s_barrier
	buffer_gl0_inv
	s_and_saveexec_b32 s8, vcc_lo
	s_cbranch_execz .LBB129_10
; %bb.9:                                ;   in Loop: Header=BB129_4 Depth=2
	ds_load_b32 v73, v36 offset:16384
	s_waitcnt lgkmcnt(0)
	v_mov_b32_dpp v74, v73 row_shr:1 row_mask:0xf bank_mask:0xf
	s_delay_alu instid0(VALU_DEP_1) | instskip(NEXT) | instid1(VALU_DEP_1)
	v_cndmask_b32_e64 v74, v74, 0, s2
	v_add_nc_u32_e32 v73, v74, v73
	s_delay_alu instid0(VALU_DEP_1) | instskip(NEXT) | instid1(VALU_DEP_1)
	v_mov_b32_dpp v74, v73 row_shr:2 row_mask:0xf bank_mask:0xf
	v_cndmask_b32_e64 v74, 0, v74, s3
	s_delay_alu instid0(VALU_DEP_1) | instskip(NEXT) | instid1(VALU_DEP_1)
	v_add_nc_u32_e32 v73, v73, v74
	v_mov_b32_dpp v74, v73 row_shr:4 row_mask:0xf bank_mask:0xf
	s_delay_alu instid0(VALU_DEP_1) | instskip(NEXT) | instid1(VALU_DEP_1)
	v_cndmask_b32_e64 v74, 0, v74, s4
	v_add_nc_u32_e32 v73, v73, v74
	s_delay_alu instid0(VALU_DEP_1) | instskip(NEXT) | instid1(VALU_DEP_1)
	v_mov_b32_dpp v74, v73 row_shr:8 row_mask:0xf bank_mask:0xf
	v_cndmask_b32_e64 v74, 0, v74, s5
	s_delay_alu instid0(VALU_DEP_1)
	v_add_nc_u32_e32 v73, v73, v74
	ds_store_b32 v36, v73 offset:16384
.LBB129_10:                             ;   in Loop: Header=BB129_4 Depth=2
	s_or_b32 exec_lo, exec_lo, s8
	v_mov_b32_e32 v73, 0
	s_waitcnt lgkmcnt(0)
	s_barrier
	buffer_gl0_inv
	s_and_saveexec_b32 s8, s0
	s_cbranch_execz .LBB129_3
; %bb.11:                               ;   in Loop: Header=BB129_4 Depth=2
	ds_load_b32 v73, v37 offset:16380
	s_branch .LBB129_3
.LBB129_12:
	ds_load_u16 v0, v71
	ds_load_u16 v1, v70
	;; [unrolled: 1-line block ×16, first 2 shown]
	v_and_b32_e32 v8, 0xffff, v43
	v_and_b32_e32 v12, 0xffff, v45
	;; [unrolled: 1-line block ×16, first 2 shown]
	s_waitcnt lgkmcnt(15)
	v_add_nc_u32_e32 v3, v0, v2
	s_waitcnt lgkmcnt(14)
	v_add_nc_u32_e32 v2, v1, v29
	;; [unrolled: 2-line block ×9, first 2 shown]
	s_lshl_b64 s[0:1], s[12:13], 2
	v_lshlrev_b32_e32 v17, 2, v33
	v_add_nc_u32_e32 v11, v21, v11
	v_add_nc_u32_e32 v10, v22, v10
	;; [unrolled: 1-line block ×7, first 2 shown]
	s_add_u32 s0, s10, s0
	s_addc_u32 s1, s11, s1
	s_clause 0x3
	global_store_b128 v17, v[12:15], s[0:1]
	global_store_b128 v17, v[8:11], s[0:1] offset:16
	global_store_b128 v17, v[4:7], s[0:1] offset:32
	;; [unrolled: 1-line block ×3, first 2 shown]
	s_nop 0
	s_sendmsg sendmsg(MSG_DEALLOC_VGPRS)
	s_endpgm
	.section	.rodata,"a",@progbits
	.p2align	6, 0x0
	.amdhsa_kernel _Z11rank_kernelIxLj4ELb0EL18RadixRankAlgorithm0ELj512ELj16ELj10EEvPKT_Pi
		.amdhsa_group_segment_fixed_size 16448
		.amdhsa_private_segment_fixed_size 0
		.amdhsa_kernarg_size 16
		.amdhsa_user_sgpr_count 15
		.amdhsa_user_sgpr_dispatch_ptr 0
		.amdhsa_user_sgpr_queue_ptr 0
		.amdhsa_user_sgpr_kernarg_segment_ptr 1
		.amdhsa_user_sgpr_dispatch_id 0
		.amdhsa_user_sgpr_private_segment_size 0
		.amdhsa_wavefront_size32 1
		.amdhsa_uses_dynamic_stack 0
		.amdhsa_enable_private_segment 0
		.amdhsa_system_sgpr_workgroup_id_x 1
		.amdhsa_system_sgpr_workgroup_id_y 0
		.amdhsa_system_sgpr_workgroup_id_z 0
		.amdhsa_system_sgpr_workgroup_info 0
		.amdhsa_system_vgpr_workitem_id 0
		.amdhsa_next_free_vgpr 80
		.amdhsa_next_free_sgpr 16
		.amdhsa_reserve_vcc 1
		.amdhsa_float_round_mode_32 0
		.amdhsa_float_round_mode_16_64 0
		.amdhsa_float_denorm_mode_32 3
		.amdhsa_float_denorm_mode_16_64 3
		.amdhsa_dx10_clamp 1
		.amdhsa_ieee_mode 1
		.amdhsa_fp16_overflow 0
		.amdhsa_workgroup_processor_mode 1
		.amdhsa_memory_ordered 1
		.amdhsa_forward_progress 0
		.amdhsa_shared_vgpr_count 0
		.amdhsa_exception_fp_ieee_invalid_op 0
		.amdhsa_exception_fp_denorm_src 0
		.amdhsa_exception_fp_ieee_div_zero 0
		.amdhsa_exception_fp_ieee_overflow 0
		.amdhsa_exception_fp_ieee_underflow 0
		.amdhsa_exception_fp_ieee_inexact 0
		.amdhsa_exception_int_div_zero 0
	.end_amdhsa_kernel
	.section	.text._Z11rank_kernelIxLj4ELb0EL18RadixRankAlgorithm0ELj512ELj16ELj10EEvPKT_Pi,"axG",@progbits,_Z11rank_kernelIxLj4ELb0EL18RadixRankAlgorithm0ELj512ELj16ELj10EEvPKT_Pi,comdat
.Lfunc_end129:
	.size	_Z11rank_kernelIxLj4ELb0EL18RadixRankAlgorithm0ELj512ELj16ELj10EEvPKT_Pi, .Lfunc_end129-_Z11rank_kernelIxLj4ELb0EL18RadixRankAlgorithm0ELj512ELj16ELj10EEvPKT_Pi
                                        ; -- End function
	.section	.AMDGPU.csdata,"",@progbits
; Kernel info:
; codeLenInByte = 2760
; NumSgprs: 18
; NumVgprs: 80
; ScratchSize: 0
; MemoryBound: 0
; FloatMode: 240
; IeeeMode: 1
; LDSByteSize: 16448 bytes/workgroup (compile time only)
; SGPRBlocks: 2
; VGPRBlocks: 9
; NumSGPRsForWavesPerEU: 18
; NumVGPRsForWavesPerEU: 80
; Occupancy: 16
; WaveLimiterHint : 0
; COMPUTE_PGM_RSRC2:SCRATCH_EN: 0
; COMPUTE_PGM_RSRC2:USER_SGPR: 15
; COMPUTE_PGM_RSRC2:TRAP_HANDLER: 0
; COMPUTE_PGM_RSRC2:TGID_X_EN: 1
; COMPUTE_PGM_RSRC2:TGID_Y_EN: 0
; COMPUTE_PGM_RSRC2:TGID_Z_EN: 0
; COMPUTE_PGM_RSRC2:TIDIG_COMP_CNT: 0
	.section	.text._Z11rank_kernelIxLj4ELb0EL18RadixRankAlgorithm1ELj512ELj16ELj10EEvPKT_Pi,"axG",@progbits,_Z11rank_kernelIxLj4ELb0EL18RadixRankAlgorithm1ELj512ELj16ELj10EEvPKT_Pi,comdat
	.protected	_Z11rank_kernelIxLj4ELb0EL18RadixRankAlgorithm1ELj512ELj16ELj10EEvPKT_Pi ; -- Begin function _Z11rank_kernelIxLj4ELb0EL18RadixRankAlgorithm1ELj512ELj16ELj10EEvPKT_Pi
	.globl	_Z11rank_kernelIxLj4ELb0EL18RadixRankAlgorithm1ELj512ELj16ELj10EEvPKT_Pi
	.p2align	8
	.type	_Z11rank_kernelIxLj4ELb0EL18RadixRankAlgorithm1ELj512ELj16ELj10EEvPKT_Pi,@function
_Z11rank_kernelIxLj4ELb0EL18RadixRankAlgorithm1ELj512ELj16ELj10EEvPKT_Pi: ; @_Z11rank_kernelIxLj4ELb0EL18RadixRankAlgorithm1ELj512ELj16ELj10EEvPKT_Pi
; %bb.0:
	s_load_b128 s[8:11], s[0:1], 0x0
	s_mov_b32 s13, 0
	s_lshl_b32 s12, s15, 13
	v_dual_mov_b32 v42, 0 :: v_dual_lshlrev_b32 v29, 7, v0
	s_lshl_b64 s[0:1], s[12:13], 3
	v_mbcnt_lo_u32_b32 v33, -1, 0
	v_or_b32_e32 v36, 31, v0
	v_lshrrev_b32_e32 v38, 3, v0
	v_lshlrev_b32_e32 v41, 4, v0
	v_lshlrev_b32_e32 v43, 5, v0
	v_add_nc_u32_e32 v37, -1, v33
	v_and_b32_e32 v34, 15, v33
	v_and_b32_e32 v35, 16, v33
	v_cmp_gt_u32_e32 vcc_lo, 16, v0
	v_lshlrev_b32_e32 v44, 2, v0
	v_cmp_gt_i32_e64 s5, 0, v37
	v_cmp_eq_u32_e64 s2, 0, v34
	v_cmp_lt_u32_e64 s3, 1, v34
	v_cmp_lt_u32_e64 s4, 3, v34
	s_waitcnt lgkmcnt(0)
	s_add_u32 s0, s8, s0
	s_addc_u32 s1, s9, s1
	v_cmp_eq_u32_e64 s6, 0, v35
	s_clause 0x7
	global_load_b128 v[1:4], v29, s[0:1]
	global_load_b128 v[5:8], v29, s[0:1] offset:16
	global_load_b128 v[9:12], v29, s[0:1] offset:32
	global_load_b128 v[13:16], v29, s[0:1] offset:48
	global_load_b128 v[17:20], v29, s[0:1] offset:64
	global_load_b128 v[21:24], v29, s[0:1] offset:80
	global_load_b128 v[25:28], v29, s[0:1] offset:96
	global_load_b128 v[29:32], v29, s[0:1] offset:112
	v_cmp_eq_u32_e64 s1, 0, v33
	v_cndmask_b32_e64 v33, v37, v33, s5
	v_cmp_lt_u32_e64 s0, 31, v0
	v_cmp_lt_u32_e64 s5, 7, v34
	v_cmp_eq_u32_e64 s7, v36, v0
	v_and_b32_e32 v45, 60, v38
	v_lshlrev_b32_e32 v46, 2, v33
	v_or_b32_e32 v47, 0xfffffe00, v0
	s_mov_b32 s9, s13
	s_waitcnt vmcnt(7)
	v_xor_b32_e32 v2, 0x80000000, v2
	v_xor_b32_e32 v4, 0x80000000, v4
	s_waitcnt vmcnt(6)
	v_xor_b32_e32 v6, 0x80000000, v6
	v_xor_b32_e32 v8, 0x80000000, v8
	;; [unrolled: 3-line block ×8, first 2 shown]
	s_branch .LBB130_2
.LBB130_1:                              ;   in Loop: Header=BB130_2 Depth=1
	s_add_i32 s9, s9, 1
	s_delay_alu instid0(SALU_CYCLE_1)
	s_cmp_eq_u32 s9, 10
	s_cbranch_scc1 .LBB130_12
.LBB130_2:                              ; =>This Loop Header: Depth=1
                                        ;     Child Loop BB130_4 Depth 2
                                        ;       Child Loop BB130_5 Depth 3
	s_mov_b32 s14, 0
	s_branch .LBB130_4
.LBB130_3:                              ;   in Loop: Header=BB130_4 Depth=2
	s_or_b32 exec_lo, exec_lo, s8
	s_waitcnt lgkmcnt(0)
	v_add_nc_u32_e32 v34, v80, v34
	ds_load_b32 v81, v42 offset:16444
	s_add_i32 s8, s14, 4
	s_cmp_lt_u32 s14, 60
	s_mov_b32 s14, s8
	ds_bpermute_b32 v34, v46, v34
	s_waitcnt lgkmcnt(0)
	v_cndmask_b32_e64 v34, v34, v80, s1
	s_delay_alu instid0(VALU_DEP_1) | instskip(NEXT) | instid1(VALU_DEP_1)
	v_lshl_add_u32 v34, v81, 16, v34
	v_add_nc_u32_e32 v39, v34, v39
	s_delay_alu instid0(VALU_DEP_1) | instskip(NEXT) | instid1(VALU_DEP_1)
	v_add_nc_u32_e32 v40, v39, v40
	v_add_nc_u32_e32 v37, v40, v37
	s_delay_alu instid0(VALU_DEP_1) | instskip(NEXT) | instid1(VALU_DEP_1)
	v_add_nc_u32_e32 v38, v37, v38
	;; [unrolled: 3-line block ×3, first 2 shown]
	v_add_nc_u32_e32 v33, v36, v33
	ds_store_2addr_b32 v43, v34, v39 offset1:1
	ds_store_2addr_b32 v43, v40, v37 offset0:2 offset1:3
	ds_store_2addr_b32 v43, v38, v35 offset0:4 offset1:5
	;; [unrolled: 1-line block ×3, first 2 shown]
	s_waitcnt lgkmcnt(0)
	s_barrier
	buffer_gl0_inv
	s_cbranch_scc0 .LBB130_1
.LBB130_4:                              ;   Parent Loop BB130_2 Depth=1
                                        ; =>  This Loop Header: Depth=2
                                        ;       Child Loop BB130_5 Depth 3
	v_dual_mov_b32 v33, v47 :: v_dual_mov_b32 v34, v44
	s_mov_b32 s15, 0
.LBB130_5:                              ;   Parent Loop BB130_2 Depth=1
                                        ;     Parent Loop BB130_4 Depth=2
                                        ; =>    This Inner Loop Header: Depth=3
	s_delay_alu instid0(VALU_DEP_1) | instskip(SKIP_3) | instid1(VALU_DEP_1)
	v_add_nc_u32_e32 v33, 0x200, v33
	ds_store_b32 v34, v42
	v_add_nc_u32_e32 v34, 0x800, v34
	v_cmp_lt_u32_e64 s8, 0xdff, v33
	s_or_b32 s15, s8, s15
	s_delay_alu instid0(SALU_CYCLE_1)
	s_and_not1_b32 exec_lo, exec_lo, s15
	s_cbranch_execnz .LBB130_5
; %bb.6:                                ;   in Loop: Header=BB130_4 Depth=2
	s_or_b32 exec_lo, exec_lo, s15
	s_sub_i32 s8, 60, s14
	s_delay_alu instid0(SALU_CYCLE_1) | instskip(NEXT) | instid1(VALU_DEP_1)
	v_lshlrev_b64 v[33:34], s8, v[1:2]
	v_lshrrev_b32_e32 v33, 19, v34
	v_lshrrev_b32_e32 v34, 30, v34
	s_delay_alu instid0(VALU_DEP_2) | instskip(NEXT) | instid1(VALU_DEP_2)
	v_and_or_b32 v33, 0xe00, v33, v0
	v_and_b32_e32 v34, 2, v34
	s_delay_alu instid0(VALU_DEP_1) | instskip(SKIP_4) | instid1(VALU_DEP_2)
	v_lshl_or_b32 v48, v33, 2, v34
	v_lshlrev_b64 v[33:34], s8, v[3:4]
	ds_load_u16 v51, v48
	v_lshrrev_b32_e32 v33, 19, v34
	v_lshrrev_b32_e32 v34, 30, v34
	v_and_or_b32 v33, 0xe00, v33, v0
	s_delay_alu instid0(VALU_DEP_2) | instskip(NEXT) | instid1(VALU_DEP_1)
	v_and_b32_e32 v34, 2, v34
	v_lshl_or_b32 v49, v33, 2, v34
	v_lshlrev_b64 v[33:34], s8, v[5:6]
	s_delay_alu instid0(VALU_DEP_1) | instskip(SKIP_3) | instid1(VALU_DEP_3)
	v_lshrrev_b32_e32 v33, 19, v34
	s_waitcnt lgkmcnt(0)
	v_add_nc_u16 v35, v51, 1
	v_lshrrev_b32_e32 v34, 30, v34
	v_and_or_b32 v33, 0xe00, v33, v0
	ds_store_b16 v48, v35
	ds_load_u16 v53, v49
	v_and_b32_e32 v34, 2, v34
	s_delay_alu instid0(VALU_DEP_1) | instskip(SKIP_1) | instid1(VALU_DEP_1)
	v_lshl_or_b32 v50, v33, 2, v34
	v_lshlrev_b64 v[33:34], s8, v[7:8]
	v_lshrrev_b32_e32 v33, 19, v34
	v_lshrrev_b32_e32 v34, 30, v34
	s_delay_alu instid0(VALU_DEP_2) | instskip(NEXT) | instid1(VALU_DEP_2)
	v_and_or_b32 v33, 0xe00, v33, v0
	v_and_b32_e32 v34, 2, v34
	s_waitcnt lgkmcnt(0)
	v_add_nc_u16 v35, v53, 1
	s_delay_alu instid0(VALU_DEP_2) | instskip(SKIP_3) | instid1(VALU_DEP_1)
	v_lshl_or_b32 v52, v33, 2, v34
	ds_store_b16 v49, v35
	ds_load_u16 v55, v50
	v_lshlrev_b64 v[33:34], s8, v[9:10]
	v_lshrrev_b32_e32 v33, 19, v34
	v_lshrrev_b32_e32 v34, 30, v34
	s_delay_alu instid0(VALU_DEP_2) | instskip(NEXT) | instid1(VALU_DEP_2)
	v_and_or_b32 v33, 0xe00, v33, v0
	v_and_b32_e32 v34, 2, v34
	s_delay_alu instid0(VALU_DEP_1) | instskip(SKIP_3) | instid1(VALU_DEP_2)
	v_lshl_or_b32 v54, v33, 2, v34
	v_lshlrev_b64 v[33:34], s8, v[11:12]
	s_waitcnt lgkmcnt(0)
	v_add_nc_u16 v35, v55, 1
	v_lshrrev_b32_e32 v33, 19, v34
	ds_store_b16 v50, v35
	ds_load_u16 v57, v52
	v_lshrrev_b32_e32 v34, 30, v34
	v_and_or_b32 v33, 0xe00, v33, v0
	s_delay_alu instid0(VALU_DEP_2) | instskip(NEXT) | instid1(VALU_DEP_1)
	v_and_b32_e32 v34, 2, v34
	v_lshl_or_b32 v56, v33, 2, v34
	v_lshlrev_b64 v[33:34], s8, v[13:14]
	s_delay_alu instid0(VALU_DEP_1) | instskip(SKIP_3) | instid1(VALU_DEP_3)
	v_lshrrev_b32_e32 v33, 19, v34
	v_lshrrev_b32_e32 v34, 30, v34
	s_waitcnt lgkmcnt(0)
	v_add_nc_u16 v35, v57, 1
	v_and_or_b32 v33, 0xe00, v33, v0
	s_delay_alu instid0(VALU_DEP_3) | instskip(SKIP_4) | instid1(VALU_DEP_1)
	v_and_b32_e32 v34, 2, v34
	ds_store_b16 v52, v35
	ds_load_u16 v58, v54
	v_lshl_or_b32 v59, v33, 2, v34
	v_lshlrev_b64 v[33:34], s8, v[15:16]
	v_lshrrev_b32_e32 v33, 19, v34
	v_lshrrev_b32_e32 v34, 30, v34
	s_delay_alu instid0(VALU_DEP_2) | instskip(NEXT) | instid1(VALU_DEP_2)
	v_and_or_b32 v33, 0xe00, v33, v0
	v_and_b32_e32 v34, 2, v34
	s_waitcnt lgkmcnt(0)
	v_add_nc_u16 v35, v58, 1
	s_delay_alu instid0(VALU_DEP_2)
	v_lshl_or_b32 v61, v33, 2, v34
	v_lshlrev_b64 v[33:34], s8, v[17:18]
	ds_store_b16 v54, v35
	ds_load_u16 v60, v56
	v_lshrrev_b32_e32 v33, 19, v34
	v_lshrrev_b32_e32 v34, 30, v34
	s_delay_alu instid0(VALU_DEP_2) | instskip(NEXT) | instid1(VALU_DEP_2)
	v_and_or_b32 v33, 0xe00, v33, v0
	v_and_b32_e32 v34, 2, v34
	s_delay_alu instid0(VALU_DEP_1) | instskip(SKIP_1) | instid1(VALU_DEP_1)
	v_lshl_or_b32 v63, v33, 2, v34
	v_lshlrev_b64 v[33:34], s8, v[19:20]
	v_lshrrev_b32_e32 v33, 19, v34
	s_waitcnt lgkmcnt(0)
	v_add_nc_u16 v35, v60, 1
	v_lshrrev_b32_e32 v34, 30, v34
	s_delay_alu instid0(VALU_DEP_3) | instskip(SKIP_3) | instid1(VALU_DEP_1)
	v_and_or_b32 v33, 0xe00, v33, v0
	ds_store_b16 v56, v35
	ds_load_u16 v62, v59
	v_and_b32_e32 v34, 2, v34
	v_lshl_or_b32 v65, v33, 2, v34
	v_lshlrev_b64 v[33:34], s8, v[21:22]
	s_delay_alu instid0(VALU_DEP_1) | instskip(SKIP_1) | instid1(VALU_DEP_2)
	v_lshrrev_b32_e32 v33, 19, v34
	v_lshrrev_b32_e32 v34, 30, v34
	v_and_or_b32 v33, 0xe00, v33, v0
	s_delay_alu instid0(VALU_DEP_2) | instskip(SKIP_2) | instid1(VALU_DEP_2)
	v_and_b32_e32 v34, 2, v34
	s_waitcnt lgkmcnt(0)
	v_add_nc_u16 v35, v62, 1
	v_lshl_or_b32 v68, v33, 2, v34
	ds_store_b16 v59, v35
	ds_load_u16 v64, v61
	v_lshlrev_b64 v[33:34], s8, v[23:24]
	s_delay_alu instid0(VALU_DEP_1) | instskip(SKIP_1) | instid1(VALU_DEP_2)
	v_lshrrev_b32_e32 v33, 19, v34
	v_lshrrev_b32_e32 v34, 30, v34
	v_and_or_b32 v33, 0xe00, v33, v0
	s_delay_alu instid0(VALU_DEP_2) | instskip(NEXT) | instid1(VALU_DEP_1)
	v_and_b32_e32 v34, 2, v34
	v_lshl_or_b32 v72, v33, 2, v34
	v_lshlrev_b64 v[33:34], s8, v[25:26]
	s_waitcnt lgkmcnt(0)
	v_add_nc_u16 v35, v64, 1
	ds_store_b16 v61, v35
	ds_load_u16 v66, v63
	v_lshrrev_b32_e32 v33, 19, v34
	v_lshrrev_b32_e32 v34, 30, v34
	s_delay_alu instid0(VALU_DEP_2) | instskip(NEXT) | instid1(VALU_DEP_2)
	v_and_or_b32 v33, 0xe00, v33, v0
	v_and_b32_e32 v34, 2, v34
	s_delay_alu instid0(VALU_DEP_1) | instskip(SKIP_1) | instid1(VALU_DEP_1)
	v_lshl_or_b32 v74, v33, 2, v34
	v_lshlrev_b64 v[33:34], s8, v[27:28]
	v_lshrrev_b32_e32 v33, 19, v34
	s_waitcnt lgkmcnt(0)
	v_add_nc_u16 v35, v66, 1
	v_lshrrev_b32_e32 v34, 30, v34
	s_delay_alu instid0(VALU_DEP_3) | instskip(SKIP_3) | instid1(VALU_DEP_1)
	v_and_or_b32 v33, 0xe00, v33, v0
	ds_store_b16 v63, v35
	ds_load_u16 v69, v65
	v_and_b32_e32 v34, 2, v34
	v_lshl_or_b32 v76, v33, 2, v34
	v_lshlrev_b64 v[33:34], s8, v[29:30]
	s_delay_alu instid0(VALU_DEP_1) | instskip(SKIP_1) | instid1(VALU_DEP_2)
	v_lshrrev_b32_e32 v33, 19, v34
	v_lshrrev_b32_e32 v34, 30, v34
	v_and_or_b32 v33, 0xe00, v33, v0
	s_delay_alu instid0(VALU_DEP_2) | instskip(SKIP_2) | instid1(VALU_DEP_2)
	v_and_b32_e32 v34, 2, v34
	s_waitcnt lgkmcnt(0)
	v_add_nc_u16 v35, v69, 1
	v_lshl_or_b32 v78, v33, 2, v34
	ds_store_b16 v65, v35
	ds_load_u16 v71, v68
	v_lshlrev_b64 v[33:34], s8, v[31:32]
	s_delay_alu instid0(VALU_DEP_1) | instskip(SKIP_1) | instid1(VALU_DEP_2)
	v_lshrrev_b32_e32 v33, 19, v34
	v_lshrrev_b32_e32 v34, 30, v34
	v_and_or_b32 v33, 0xe00, v33, v0
	s_delay_alu instid0(VALU_DEP_2) | instskip(NEXT) | instid1(VALU_DEP_1)
	v_and_b32_e32 v34, 2, v34
	v_lshl_or_b32 v79, v33, 2, v34
	s_waitcnt lgkmcnt(0)
	v_add_nc_u16 v35, v71, 1
	ds_store_b16 v68, v35
	ds_load_u16 v67, v72
	s_waitcnt lgkmcnt(0)
	v_add_nc_u16 v35, v67, 1
	ds_store_b16 v72, v35
	ds_load_u16 v70, v74
	;; [unrolled: 4-line block ×5, first 2 shown]
	s_waitcnt lgkmcnt(0)
	v_add_nc_u16 v33, v77, 1
	ds_store_b16 v79, v33
	s_waitcnt lgkmcnt(0)
	s_barrier
	buffer_gl0_inv
	ds_load_2addr_b32 v[39:40], v43 offset1:1
	ds_load_2addr_b32 v[37:38], v43 offset0:2 offset1:3
	ds_load_2addr_b32 v[35:36], v43 offset0:4 offset1:5
	;; [unrolled: 1-line block ×3, first 2 shown]
	s_waitcnt lgkmcnt(3)
	v_add_nc_u32_e32 v80, v40, v39
	s_waitcnt lgkmcnt(2)
	s_delay_alu instid0(VALU_DEP_1) | instskip(SKIP_1) | instid1(VALU_DEP_1)
	v_add3_u32 v80, v80, v37, v38
	s_waitcnt lgkmcnt(1)
	v_add3_u32 v80, v80, v35, v36
	s_waitcnt lgkmcnt(0)
	s_delay_alu instid0(VALU_DEP_1) | instskip(NEXT) | instid1(VALU_DEP_1)
	v_add3_u32 v34, v80, v33, v34
	v_mov_b32_dpp v80, v34 row_shr:1 row_mask:0xf bank_mask:0xf
	s_delay_alu instid0(VALU_DEP_1) | instskip(NEXT) | instid1(VALU_DEP_1)
	v_cndmask_b32_e64 v80, v80, 0, s2
	v_add_nc_u32_e32 v34, v80, v34
	s_delay_alu instid0(VALU_DEP_1) | instskip(NEXT) | instid1(VALU_DEP_1)
	v_mov_b32_dpp v80, v34 row_shr:2 row_mask:0xf bank_mask:0xf
	v_cndmask_b32_e64 v80, 0, v80, s3
	s_delay_alu instid0(VALU_DEP_1) | instskip(NEXT) | instid1(VALU_DEP_1)
	v_add_nc_u32_e32 v34, v34, v80
	v_mov_b32_dpp v80, v34 row_shr:4 row_mask:0xf bank_mask:0xf
	s_delay_alu instid0(VALU_DEP_1) | instskip(NEXT) | instid1(VALU_DEP_1)
	v_cndmask_b32_e64 v80, 0, v80, s4
	v_add_nc_u32_e32 v34, v34, v80
	s_delay_alu instid0(VALU_DEP_1) | instskip(NEXT) | instid1(VALU_DEP_1)
	v_mov_b32_dpp v80, v34 row_shr:8 row_mask:0xf bank_mask:0xf
	v_cndmask_b32_e64 v80, 0, v80, s5
	s_delay_alu instid0(VALU_DEP_1) | instskip(SKIP_3) | instid1(VALU_DEP_1)
	v_add_nc_u32_e32 v34, v34, v80
	ds_swizzle_b32 v80, v34 offset:swizzle(BROADCAST,32,15)
	s_waitcnt lgkmcnt(0)
	v_cndmask_b32_e64 v80, v80, 0, s6
	v_add_nc_u32_e32 v34, v34, v80
	s_and_saveexec_b32 s8, s7
	s_cbranch_execz .LBB130_8
; %bb.7:                                ;   in Loop: Header=BB130_4 Depth=2
	ds_store_b32 v45, v34 offset:16384
.LBB130_8:                              ;   in Loop: Header=BB130_4 Depth=2
	s_or_b32 exec_lo, exec_lo, s8
	s_waitcnt lgkmcnt(0)
	s_barrier
	buffer_gl0_inv
	s_and_saveexec_b32 s8, vcc_lo
	s_cbranch_execz .LBB130_10
; %bb.9:                                ;   in Loop: Header=BB130_4 Depth=2
	ds_load_b32 v80, v44 offset:16384
	s_waitcnt lgkmcnt(0)
	v_mov_b32_dpp v81, v80 row_shr:1 row_mask:0xf bank_mask:0xf
	s_delay_alu instid0(VALU_DEP_1) | instskip(NEXT) | instid1(VALU_DEP_1)
	v_cndmask_b32_e64 v81, v81, 0, s2
	v_add_nc_u32_e32 v80, v81, v80
	s_delay_alu instid0(VALU_DEP_1) | instskip(NEXT) | instid1(VALU_DEP_1)
	v_mov_b32_dpp v81, v80 row_shr:2 row_mask:0xf bank_mask:0xf
	v_cndmask_b32_e64 v81, 0, v81, s3
	s_delay_alu instid0(VALU_DEP_1) | instskip(NEXT) | instid1(VALU_DEP_1)
	v_add_nc_u32_e32 v80, v80, v81
	v_mov_b32_dpp v81, v80 row_shr:4 row_mask:0xf bank_mask:0xf
	s_delay_alu instid0(VALU_DEP_1) | instskip(NEXT) | instid1(VALU_DEP_1)
	v_cndmask_b32_e64 v81, 0, v81, s4
	v_add_nc_u32_e32 v80, v80, v81
	s_delay_alu instid0(VALU_DEP_1) | instskip(NEXT) | instid1(VALU_DEP_1)
	v_mov_b32_dpp v81, v80 row_shr:8 row_mask:0xf bank_mask:0xf
	v_cndmask_b32_e64 v81, 0, v81, s5
	s_delay_alu instid0(VALU_DEP_1)
	v_add_nc_u32_e32 v80, v80, v81
	ds_store_b32 v44, v80 offset:16384
.LBB130_10:                             ;   in Loop: Header=BB130_4 Depth=2
	s_or_b32 exec_lo, exec_lo, s8
	v_mov_b32_e32 v80, 0
	s_waitcnt lgkmcnt(0)
	s_barrier
	buffer_gl0_inv
	s_and_saveexec_b32 s8, s0
	s_cbranch_execz .LBB130_3
; %bb.11:                               ;   in Loop: Header=BB130_4 Depth=2
	ds_load_b32 v80, v45 offset:16380
	s_branch .LBB130_3
.LBB130_12:
	ds_load_u16 v0, v79
	ds_load_u16 v1, v78
	;; [unrolled: 1-line block ×16, first 2 shown]
	v_and_b32_e32 v8, 0xffff, v51
	v_and_b32_e32 v12, 0xffff, v53
	;; [unrolled: 1-line block ×16, first 2 shown]
	s_waitcnt lgkmcnt(15)
	v_add_nc_u32_e32 v3, v0, v2
	s_waitcnt lgkmcnt(14)
	v_add_nc_u32_e32 v2, v1, v29
	;; [unrolled: 2-line block ×9, first 2 shown]
	s_lshl_b64 s[0:1], s[12:13], 2
	v_lshlrev_b32_e32 v17, 2, v41
	v_add_nc_u32_e32 v11, v21, v11
	v_add_nc_u32_e32 v10, v22, v10
	;; [unrolled: 1-line block ×7, first 2 shown]
	s_add_u32 s0, s10, s0
	s_addc_u32 s1, s11, s1
	s_clause 0x3
	global_store_b128 v17, v[12:15], s[0:1]
	global_store_b128 v17, v[8:11], s[0:1] offset:16
	global_store_b128 v17, v[4:7], s[0:1] offset:32
	;; [unrolled: 1-line block ×3, first 2 shown]
	s_nop 0
	s_sendmsg sendmsg(MSG_DEALLOC_VGPRS)
	s_endpgm
	.section	.rodata,"a",@progbits
	.p2align	6, 0x0
	.amdhsa_kernel _Z11rank_kernelIxLj4ELb0EL18RadixRankAlgorithm1ELj512ELj16ELj10EEvPKT_Pi
		.amdhsa_group_segment_fixed_size 16448
		.amdhsa_private_segment_fixed_size 0
		.amdhsa_kernarg_size 16
		.amdhsa_user_sgpr_count 15
		.amdhsa_user_sgpr_dispatch_ptr 0
		.amdhsa_user_sgpr_queue_ptr 0
		.amdhsa_user_sgpr_kernarg_segment_ptr 1
		.amdhsa_user_sgpr_dispatch_id 0
		.amdhsa_user_sgpr_private_segment_size 0
		.amdhsa_wavefront_size32 1
		.amdhsa_uses_dynamic_stack 0
		.amdhsa_enable_private_segment 0
		.amdhsa_system_sgpr_workgroup_id_x 1
		.amdhsa_system_sgpr_workgroup_id_y 0
		.amdhsa_system_sgpr_workgroup_id_z 0
		.amdhsa_system_sgpr_workgroup_info 0
		.amdhsa_system_vgpr_workitem_id 0
		.amdhsa_next_free_vgpr 82
		.amdhsa_next_free_sgpr 16
		.amdhsa_reserve_vcc 1
		.amdhsa_float_round_mode_32 0
		.amdhsa_float_round_mode_16_64 0
		.amdhsa_float_denorm_mode_32 3
		.amdhsa_float_denorm_mode_16_64 3
		.amdhsa_dx10_clamp 1
		.amdhsa_ieee_mode 1
		.amdhsa_fp16_overflow 0
		.amdhsa_workgroup_processor_mode 1
		.amdhsa_memory_ordered 1
		.amdhsa_forward_progress 0
		.amdhsa_shared_vgpr_count 0
		.amdhsa_exception_fp_ieee_invalid_op 0
		.amdhsa_exception_fp_denorm_src 0
		.amdhsa_exception_fp_ieee_div_zero 0
		.amdhsa_exception_fp_ieee_overflow 0
		.amdhsa_exception_fp_ieee_underflow 0
		.amdhsa_exception_fp_ieee_inexact 0
		.amdhsa_exception_int_div_zero 0
	.end_amdhsa_kernel
	.section	.text._Z11rank_kernelIxLj4ELb0EL18RadixRankAlgorithm1ELj512ELj16ELj10EEvPKT_Pi,"axG",@progbits,_Z11rank_kernelIxLj4ELb0EL18RadixRankAlgorithm1ELj512ELj16ELj10EEvPKT_Pi,comdat
.Lfunc_end130:
	.size	_Z11rank_kernelIxLj4ELb0EL18RadixRankAlgorithm1ELj512ELj16ELj10EEvPKT_Pi, .Lfunc_end130-_Z11rank_kernelIxLj4ELb0EL18RadixRankAlgorithm1ELj512ELj16ELj10EEvPKT_Pi
                                        ; -- End function
	.section	.AMDGPU.csdata,"",@progbits
; Kernel info:
; codeLenInByte = 2736
; NumSgprs: 18
; NumVgprs: 82
; ScratchSize: 0
; MemoryBound: 0
; FloatMode: 240
; IeeeMode: 1
; LDSByteSize: 16448 bytes/workgroup (compile time only)
; SGPRBlocks: 2
; VGPRBlocks: 10
; NumSGPRsForWavesPerEU: 18
; NumVGPRsForWavesPerEU: 82
; Occupancy: 16
; WaveLimiterHint : 0
; COMPUTE_PGM_RSRC2:SCRATCH_EN: 0
; COMPUTE_PGM_RSRC2:USER_SGPR: 15
; COMPUTE_PGM_RSRC2:TRAP_HANDLER: 0
; COMPUTE_PGM_RSRC2:TGID_X_EN: 1
; COMPUTE_PGM_RSRC2:TGID_Y_EN: 0
; COMPUTE_PGM_RSRC2:TGID_Z_EN: 0
; COMPUTE_PGM_RSRC2:TIDIG_COMP_CNT: 0
	.section	.text._Z11rank_kernelIxLj4ELb0EL18RadixRankAlgorithm2ELj512ELj16ELj10EEvPKT_Pi,"axG",@progbits,_Z11rank_kernelIxLj4ELb0EL18RadixRankAlgorithm2ELj512ELj16ELj10EEvPKT_Pi,comdat
	.protected	_Z11rank_kernelIxLj4ELb0EL18RadixRankAlgorithm2ELj512ELj16ELj10EEvPKT_Pi ; -- Begin function _Z11rank_kernelIxLj4ELb0EL18RadixRankAlgorithm2ELj512ELj16ELj10EEvPKT_Pi
	.globl	_Z11rank_kernelIxLj4ELb0EL18RadixRankAlgorithm2ELj512ELj16ELj10EEvPKT_Pi
	.p2align	8
	.type	_Z11rank_kernelIxLj4ELb0EL18RadixRankAlgorithm2ELj512ELj16ELj10EEvPKT_Pi,@function
_Z11rank_kernelIxLj4ELb0EL18RadixRankAlgorithm2ELj512ELj16ELj10EEvPKT_Pi: ; @_Z11rank_kernelIxLj4ELb0EL18RadixRankAlgorithm2ELj512ELj16ELj10EEvPKT_Pi
; %bb.0:
	s_clause 0x1
	s_load_b128 s[8:11], s[0:1], 0x0
	s_load_b32 s5, s[0:1], 0x1c
	v_and_b32_e32 v35, 0x3ff, v0
	s_mov_b32 s13, 0
	s_lshl_b32 s12, s15, 13
	v_mbcnt_lo_u32_b32 v36, -1, 0
	s_lshl_b64 s[2:3], s[12:13], 3
	v_lshlrev_b32_e32 v29, 7, v35
	v_bfe_u32 v37, v0, 10, 10
	v_bfe_u32 v38, v0, 20, 10
	v_and_b32_e32 v39, 15, v36
	v_add_nc_u32_e32 v41, -1, v36
	v_dual_mov_b32 v33, 0 :: v_dual_and_b32 v40, 16, v36
	v_cmp_eq_u32_e32 vcc_lo, 0, v36
	v_lshlrev_b32_e32 v0, 4, v35
	v_lshlrev_b32_e32 v34, 2, v35
	v_cmp_lt_u32_e64 s6, 31, v35
	s_mov_b32 s16, s13
	s_waitcnt lgkmcnt(0)
	s_add_u32 s0, s8, s2
	s_addc_u32 s1, s9, s3
	s_lshr_b32 s4, s5, 16
	s_clause 0x7
	global_load_b128 v[1:4], v29, s[0:1]
	global_load_b128 v[5:8], v29, s[0:1] offset:16
	global_load_b128 v[9:12], v29, s[0:1] offset:32
	global_load_b128 v[13:16], v29, s[0:1] offset:48
	global_load_b128 v[17:20], v29, s[0:1] offset:64
	global_load_b128 v[21:24], v29, s[0:1] offset:80
	global_load_b128 v[25:28], v29, s[0:1] offset:96
	global_load_b128 v[29:32], v29, s[0:1] offset:112
	v_cmp_eq_u32_e64 s0, 0, v39
	v_cmp_lt_u32_e64 s1, 1, v39
	v_cmp_lt_u32_e64 s2, 3, v39
	;; [unrolled: 1-line block ×3, first 2 shown]
	v_mad_u32_u24 v39, v38, s4, v37
	s_and_b32 s5, s5, 0xffff
	v_cmp_eq_u32_e64 s4, 0, v40
	v_or_b32_e32 v40, 31, v35
	s_delay_alu instid0(VALU_DEP_3) | instskip(SKIP_2) | instid1(VALU_DEP_4)
	v_mad_u64_u32 v[37:38], null, v39, s5, v[35:36]
	v_cmp_gt_i32_e64 s5, 0, v41
	v_lshrrev_b32_e32 v38, 3, v35
	v_cmp_eq_u32_e64 s7, v40, v35
	s_delay_alu instid0(VALU_DEP_3) | instskip(SKIP_2) | instid1(VALU_DEP_3)
	v_cndmask_b32_e64 v36, v41, v36, s5
	v_cmp_gt_u32_e64 s5, 16, v35
	v_lshrrev_b32_e32 v37, 5, v37
	v_lshlrev_b32_e32 v35, 2, v36
	v_and_b32_e32 v36, 60, v38
	s_delay_alu instid0(VALU_DEP_1)
	v_add_nc_u32_e32 v38, -4, v36
	s_waitcnt vmcnt(7)
	v_xor_b32_e32 v2, 0x80000000, v2
	v_xor_b32_e32 v4, 0x80000000, v4
	s_waitcnt vmcnt(6)
	v_xor_b32_e32 v6, 0x80000000, v6
	v_xor_b32_e32 v8, 0x80000000, v8
	;; [unrolled: 3-line block ×8, first 2 shown]
	s_branch .LBB131_2
.LBB131_1:                              ;   in Loop: Header=BB131_2 Depth=1
	s_add_i32 s16, s16, 1
	s_delay_alu instid0(SALU_CYCLE_1)
	s_cmp_eq_u32 s16, 10
	s_cbranch_scc1 .LBB131_42
.LBB131_2:                              ; =>This Loop Header: Depth=1
                                        ;     Child Loop BB131_4 Depth 2
	s_mov_b64 s[14:15], 60
	s_mov_b32 s17, -4
	s_branch .LBB131_4
.LBB131_3:                              ;   in Loop: Header=BB131_4 Depth=2
	s_or_b32 exec_lo, exec_lo, s8
	s_waitcnt lgkmcnt(0)
	v_add_nc_u32_e32 v86, v87, v86
	s_add_i32 s17, s17, 4
	s_add_u32 s14, s14, -4
	s_addc_u32 s15, s15, -1
	s_cmp_lt_u32 s17, 60
	ds_bpermute_b32 v86, v35, v86
	s_waitcnt lgkmcnt(0)
	v_cndmask_b32_e32 v86, v86, v87, vcc_lo
	ds_store_b32 v34, v86 offset:64
	s_waitcnt lgkmcnt(0)
	s_barrier
	buffer_gl0_inv
	s_cbranch_scc0 .LBB131_1
.LBB131_4:                              ;   Parent Loop BB131_2 Depth=1
                                        ; =>  This Inner Loop Header: Depth=2
	v_lshlrev_b64 v[39:40], s14, v[1:2]
	ds_store_b32 v34, v33 offset:64
	s_waitcnt lgkmcnt(0)
	s_barrier
	buffer_gl0_inv
	v_bfe_u32 v39, v40, 28, 1
	v_lshrrev_b32_e32 v42, 28, v40
	v_and_b32_e32 v40, 0xf0000000, v40
	; wave barrier
	s_delay_alu instid0(VALU_DEP_3) | instskip(NEXT) | instid1(VALU_DEP_1)
	v_add_co_u32 v39, s8, v39, -1
	v_cndmask_b32_e64 v41, 0, 1, s8
	s_delay_alu instid0(VALU_DEP_4) | instskip(SKIP_2) | instid1(VALU_DEP_4)
	v_lshlrev_b32_e32 v43, 30, v42
	v_lshlrev_b32_e32 v44, 29, v42
	v_not_b32_e32 v45, v40
	v_cmp_ne_u32_e64 s8, 0, v41
	s_delay_alu instid0(VALU_DEP_4) | instskip(SKIP_2) | instid1(VALU_DEP_4)
	v_not_b32_e32 v41, v43
	v_cmp_gt_i32_e64 s9, 0, v43
	v_not_b32_e32 v43, v44
	v_xor_b32_e32 v39, s8, v39
	s_delay_alu instid0(VALU_DEP_4) | instskip(SKIP_1) | instid1(VALU_DEP_4)
	v_ashrrev_i32_e32 v41, 31, v41
	v_cmp_gt_i32_e64 s8, 0, v44
	v_ashrrev_i32_e32 v43, 31, v43
	s_delay_alu instid0(VALU_DEP_4) | instskip(NEXT) | instid1(VALU_DEP_4)
	v_and_b32_e32 v39, exec_lo, v39
	v_xor_b32_e32 v41, s9, v41
	v_cmp_gt_i32_e64 s9, 0, v40
	v_ashrrev_i32_e32 v40, 31, v45
	v_xor_b32_e32 v43, s8, v43
	s_delay_alu instid0(VALU_DEP_4) | instskip(NEXT) | instid1(VALU_DEP_3)
	v_and_b32_e32 v39, v39, v41
	v_xor_b32_e32 v40, s9, v40
	s_delay_alu instid0(VALU_DEP_2) | instskip(NEXT) | instid1(VALU_DEP_1)
	v_and_b32_e32 v39, v39, v43
	v_and_b32_e32 v41, v39, v40
	v_mad_u32_u24 v40, v42, 17, v37
	s_delay_alu instid0(VALU_DEP_2) | instskip(SKIP_1) | instid1(VALU_DEP_3)
	v_mbcnt_lo_u32_b32 v39, v41, 0
	v_cmp_ne_u32_e64 s9, 0, v41
	v_lshl_add_u32 v40, v40, 2, 64
	s_delay_alu instid0(VALU_DEP_3) | instskip(NEXT) | instid1(VALU_DEP_1)
	v_cmp_eq_u32_e64 s8, 0, v39
	s_and_b32 s9, s9, s8
	s_delay_alu instid0(SALU_CYCLE_1)
	s_and_saveexec_b32 s8, s9
	s_cbranch_execz .LBB131_6
; %bb.5:                                ;   in Loop: Header=BB131_4 Depth=2
	v_bcnt_u32_b32 v41, v41, 0
	ds_store_b32 v40, v41
.LBB131_6:                              ;   in Loop: Header=BB131_4 Depth=2
	s_or_b32 exec_lo, exec_lo, s8
	v_lshlrev_b64 v[41:42], s14, v[3:4]
	; wave barrier
	s_delay_alu instid0(VALU_DEP_1) | instskip(SKIP_2) | instid1(VALU_DEP_3)
	v_bfe_u32 v41, v42, 28, 1
	v_lshrrev_b32_e32 v43, 28, v42
	v_and_b32_e32 v42, 0xf0000000, v42
	v_add_co_u32 v41, s8, v41, -1
	s_delay_alu instid0(VALU_DEP_1) | instskip(NEXT) | instid1(VALU_DEP_4)
	v_cndmask_b32_e64 v44, 0, 1, s8
	v_lshlrev_b32_e32 v45, 30, v43
	v_lshlrev_b32_e32 v46, 29, v43
	v_not_b32_e32 v47, v42
	v_mul_u32_u24_e32 v43, 17, v43
	v_cmp_ne_u32_e64 s8, 0, v44
	v_not_b32_e32 v44, v45
	v_cmp_gt_i32_e64 s9, 0, v45
	v_not_b32_e32 v45, v46
	v_add_lshl_u32 v43, v37, v43, 2
	v_xor_b32_e32 v41, s8, v41
	v_ashrrev_i32_e32 v44, 31, v44
	v_cmp_gt_i32_e64 s8, 0, v46
	v_ashrrev_i32_e32 v45, 31, v45
	s_delay_alu instid0(VALU_DEP_4) | instskip(NEXT) | instid1(VALU_DEP_4)
	v_and_b32_e32 v41, exec_lo, v41
	v_xor_b32_e32 v44, s9, v44
	v_cmp_gt_i32_e64 s9, 0, v42
	v_ashrrev_i32_e32 v42, 31, v47
	v_xor_b32_e32 v45, s8, v45
	s_delay_alu instid0(VALU_DEP_4) | instskip(NEXT) | instid1(VALU_DEP_3)
	v_and_b32_e32 v41, v41, v44
	v_xor_b32_e32 v42, s9, v42
	s_delay_alu instid0(VALU_DEP_2) | instskip(SKIP_3) | instid1(VALU_DEP_1)
	v_and_b32_e32 v44, v41, v45
	ds_load_b32 v41, v43 offset:64
	v_add_nc_u32_e32 v43, 64, v43
	; wave barrier
	v_and_b32_e32 v44, v44, v42
	v_mbcnt_lo_u32_b32 v42, v44, 0
	v_cmp_ne_u32_e64 s9, 0, v44
	s_delay_alu instid0(VALU_DEP_2) | instskip(NEXT) | instid1(VALU_DEP_1)
	v_cmp_eq_u32_e64 s8, 0, v42
	s_and_b32 s9, s9, s8
	s_delay_alu instid0(SALU_CYCLE_1)
	s_and_saveexec_b32 s8, s9
	s_cbranch_execz .LBB131_8
; %bb.7:                                ;   in Loop: Header=BB131_4 Depth=2
	s_waitcnt lgkmcnt(0)
	v_bcnt_u32_b32 v44, v44, v41
	ds_store_b32 v43, v44
.LBB131_8:                              ;   in Loop: Header=BB131_4 Depth=2
	s_or_b32 exec_lo, exec_lo, s8
	v_lshlrev_b64 v[44:45], s14, v[5:6]
	; wave barrier
	s_delay_alu instid0(VALU_DEP_1) | instskip(SKIP_2) | instid1(VALU_DEP_3)
	v_bfe_u32 v44, v45, 28, 1
	v_lshrrev_b32_e32 v46, 28, v45
	v_and_b32_e32 v45, 0xf0000000, v45
	v_add_co_u32 v44, s8, v44, -1
	s_delay_alu instid0(VALU_DEP_1) | instskip(NEXT) | instid1(VALU_DEP_4)
	v_cndmask_b32_e64 v47, 0, 1, s8
	v_lshlrev_b32_e32 v48, 30, v46
	v_lshlrev_b32_e32 v49, 29, v46
	v_not_b32_e32 v50, v45
	v_mul_u32_u24_e32 v46, 17, v46
	v_cmp_ne_u32_e64 s8, 0, v47
	v_not_b32_e32 v47, v48
	v_cmp_gt_i32_e64 s9, 0, v48
	v_not_b32_e32 v48, v49
	v_add_lshl_u32 v46, v37, v46, 2
	v_xor_b32_e32 v44, s8, v44
	v_ashrrev_i32_e32 v47, 31, v47
	v_cmp_gt_i32_e64 s8, 0, v49
	v_ashrrev_i32_e32 v48, 31, v48
	s_delay_alu instid0(VALU_DEP_4) | instskip(NEXT) | instid1(VALU_DEP_4)
	v_and_b32_e32 v44, exec_lo, v44
	v_xor_b32_e32 v47, s9, v47
	v_cmp_gt_i32_e64 s9, 0, v45
	v_ashrrev_i32_e32 v45, 31, v50
	v_xor_b32_e32 v48, s8, v48
	s_delay_alu instid0(VALU_DEP_4) | instskip(NEXT) | instid1(VALU_DEP_3)
	v_and_b32_e32 v44, v44, v47
	v_xor_b32_e32 v45, s9, v45
	s_delay_alu instid0(VALU_DEP_2) | instskip(SKIP_3) | instid1(VALU_DEP_1)
	v_and_b32_e32 v47, v44, v48
	ds_load_b32 v44, v46 offset:64
	v_add_nc_u32_e32 v46, 64, v46
	; wave barrier
	v_and_b32_e32 v47, v47, v45
	v_mbcnt_lo_u32_b32 v45, v47, 0
	v_cmp_ne_u32_e64 s9, 0, v47
	s_delay_alu instid0(VALU_DEP_2) | instskip(NEXT) | instid1(VALU_DEP_1)
	v_cmp_eq_u32_e64 s8, 0, v45
	s_and_b32 s9, s9, s8
	s_delay_alu instid0(SALU_CYCLE_1)
	s_and_saveexec_b32 s8, s9
	s_cbranch_execz .LBB131_10
; %bb.9:                                ;   in Loop: Header=BB131_4 Depth=2
	s_waitcnt lgkmcnt(0)
	v_bcnt_u32_b32 v47, v47, v44
	ds_store_b32 v46, v47
.LBB131_10:                             ;   in Loop: Header=BB131_4 Depth=2
	s_or_b32 exec_lo, exec_lo, s8
	v_lshlrev_b64 v[47:48], s14, v[7:8]
	; wave barrier
	s_delay_alu instid0(VALU_DEP_1) | instskip(SKIP_2) | instid1(VALU_DEP_3)
	v_bfe_u32 v47, v48, 28, 1
	v_lshrrev_b32_e32 v49, 28, v48
	v_and_b32_e32 v48, 0xf0000000, v48
	v_add_co_u32 v47, s8, v47, -1
	s_delay_alu instid0(VALU_DEP_1) | instskip(NEXT) | instid1(VALU_DEP_4)
	v_cndmask_b32_e64 v50, 0, 1, s8
	v_lshlrev_b32_e32 v51, 30, v49
	v_lshlrev_b32_e32 v52, 29, v49
	v_not_b32_e32 v53, v48
	v_mul_u32_u24_e32 v49, 17, v49
	v_cmp_ne_u32_e64 s8, 0, v50
	v_not_b32_e32 v50, v51
	v_cmp_gt_i32_e64 s9, 0, v51
	v_not_b32_e32 v51, v52
	v_add_lshl_u32 v49, v37, v49, 2
	v_xor_b32_e32 v47, s8, v47
	v_ashrrev_i32_e32 v50, 31, v50
	v_cmp_gt_i32_e64 s8, 0, v52
	v_ashrrev_i32_e32 v51, 31, v51
	s_delay_alu instid0(VALU_DEP_4) | instskip(NEXT) | instid1(VALU_DEP_4)
	v_and_b32_e32 v47, exec_lo, v47
	v_xor_b32_e32 v50, s9, v50
	v_cmp_gt_i32_e64 s9, 0, v48
	v_ashrrev_i32_e32 v48, 31, v53
	v_xor_b32_e32 v51, s8, v51
	s_delay_alu instid0(VALU_DEP_4) | instskip(NEXT) | instid1(VALU_DEP_3)
	v_and_b32_e32 v47, v47, v50
	v_xor_b32_e32 v48, s9, v48
	s_delay_alu instid0(VALU_DEP_2) | instskip(SKIP_3) | instid1(VALU_DEP_1)
	v_and_b32_e32 v50, v47, v51
	ds_load_b32 v47, v49 offset:64
	v_add_nc_u32_e32 v49, 64, v49
	; wave barrier
	v_and_b32_e32 v50, v50, v48
	v_mbcnt_lo_u32_b32 v48, v50, 0
	v_cmp_ne_u32_e64 s9, 0, v50
	s_delay_alu instid0(VALU_DEP_2) | instskip(NEXT) | instid1(VALU_DEP_1)
	v_cmp_eq_u32_e64 s8, 0, v48
	s_and_b32 s9, s9, s8
	s_delay_alu instid0(SALU_CYCLE_1)
	s_and_saveexec_b32 s8, s9
	s_cbranch_execz .LBB131_12
; %bb.11:                               ;   in Loop: Header=BB131_4 Depth=2
	s_waitcnt lgkmcnt(0)
	v_bcnt_u32_b32 v50, v50, v47
	ds_store_b32 v49, v50
.LBB131_12:                             ;   in Loop: Header=BB131_4 Depth=2
	s_or_b32 exec_lo, exec_lo, s8
	v_lshlrev_b64 v[50:51], s14, v[9:10]
	; wave barrier
	s_delay_alu instid0(VALU_DEP_1) | instskip(SKIP_2) | instid1(VALU_DEP_3)
	v_bfe_u32 v50, v51, 28, 1
	v_lshrrev_b32_e32 v52, 28, v51
	v_and_b32_e32 v51, 0xf0000000, v51
	v_add_co_u32 v50, s8, v50, -1
	s_delay_alu instid0(VALU_DEP_1) | instskip(NEXT) | instid1(VALU_DEP_4)
	v_cndmask_b32_e64 v53, 0, 1, s8
	v_lshlrev_b32_e32 v54, 30, v52
	v_lshlrev_b32_e32 v55, 29, v52
	v_not_b32_e32 v56, v51
	v_mul_u32_u24_e32 v52, 17, v52
	v_cmp_ne_u32_e64 s8, 0, v53
	v_not_b32_e32 v53, v54
	v_cmp_gt_i32_e64 s9, 0, v54
	v_not_b32_e32 v54, v55
	v_add_lshl_u32 v52, v37, v52, 2
	v_xor_b32_e32 v50, s8, v50
	v_ashrrev_i32_e32 v53, 31, v53
	v_cmp_gt_i32_e64 s8, 0, v55
	v_ashrrev_i32_e32 v54, 31, v54
	s_delay_alu instid0(VALU_DEP_4) | instskip(NEXT) | instid1(VALU_DEP_4)
	v_and_b32_e32 v50, exec_lo, v50
	v_xor_b32_e32 v53, s9, v53
	v_cmp_gt_i32_e64 s9, 0, v51
	v_ashrrev_i32_e32 v51, 31, v56
	v_xor_b32_e32 v54, s8, v54
	s_delay_alu instid0(VALU_DEP_4) | instskip(NEXT) | instid1(VALU_DEP_3)
	v_and_b32_e32 v50, v50, v53
	v_xor_b32_e32 v51, s9, v51
	s_delay_alu instid0(VALU_DEP_2) | instskip(SKIP_3) | instid1(VALU_DEP_1)
	v_and_b32_e32 v53, v50, v54
	ds_load_b32 v50, v52 offset:64
	v_add_nc_u32_e32 v52, 64, v52
	; wave barrier
	v_and_b32_e32 v53, v53, v51
	v_mbcnt_lo_u32_b32 v51, v53, 0
	v_cmp_ne_u32_e64 s9, 0, v53
	s_delay_alu instid0(VALU_DEP_2) | instskip(NEXT) | instid1(VALU_DEP_1)
	v_cmp_eq_u32_e64 s8, 0, v51
	s_and_b32 s9, s9, s8
	s_delay_alu instid0(SALU_CYCLE_1)
	s_and_saveexec_b32 s8, s9
	s_cbranch_execz .LBB131_14
; %bb.13:                               ;   in Loop: Header=BB131_4 Depth=2
	s_waitcnt lgkmcnt(0)
	v_bcnt_u32_b32 v53, v53, v50
	ds_store_b32 v52, v53
.LBB131_14:                             ;   in Loop: Header=BB131_4 Depth=2
	;; [unrolled: 51-line block ×13, first 2 shown]
	s_or_b32 exec_lo, exec_lo, s8
	; wave barrier
	s_waitcnt lgkmcnt(0)
	s_barrier
	buffer_gl0_inv
	ds_load_b32 v86, v34 offset:64
	s_waitcnt lgkmcnt(0)
	v_mov_b32_dpp v87, v86 row_shr:1 row_mask:0xf bank_mask:0xf
	s_delay_alu instid0(VALU_DEP_1) | instskip(NEXT) | instid1(VALU_DEP_1)
	v_cndmask_b32_e64 v87, v87, 0, s0
	v_add_nc_u32_e32 v86, v87, v86
	s_delay_alu instid0(VALU_DEP_1) | instskip(NEXT) | instid1(VALU_DEP_1)
	v_mov_b32_dpp v87, v86 row_shr:2 row_mask:0xf bank_mask:0xf
	v_cndmask_b32_e64 v87, 0, v87, s1
	s_delay_alu instid0(VALU_DEP_1) | instskip(NEXT) | instid1(VALU_DEP_1)
	v_add_nc_u32_e32 v86, v86, v87
	v_mov_b32_dpp v87, v86 row_shr:4 row_mask:0xf bank_mask:0xf
	s_delay_alu instid0(VALU_DEP_1) | instskip(NEXT) | instid1(VALU_DEP_1)
	v_cndmask_b32_e64 v87, 0, v87, s2
	v_add_nc_u32_e32 v86, v86, v87
	s_delay_alu instid0(VALU_DEP_1) | instskip(NEXT) | instid1(VALU_DEP_1)
	v_mov_b32_dpp v87, v86 row_shr:8 row_mask:0xf bank_mask:0xf
	v_cndmask_b32_e64 v87, 0, v87, s3
	s_delay_alu instid0(VALU_DEP_1) | instskip(SKIP_3) | instid1(VALU_DEP_1)
	v_add_nc_u32_e32 v86, v86, v87
	ds_swizzle_b32 v87, v86 offset:swizzle(BROADCAST,32,15)
	s_waitcnt lgkmcnt(0)
	v_cndmask_b32_e64 v87, v87, 0, s4
	v_add_nc_u32_e32 v86, v86, v87
	s_and_saveexec_b32 s8, s7
	s_delay_alu instid0(SALU_CYCLE_1)
	s_xor_b32 s8, exec_lo, s8
	s_cbranch_execz .LBB131_38
; %bb.37:                               ;   in Loop: Header=BB131_4 Depth=2
	ds_store_b32 v36, v86
.LBB131_38:                             ;   in Loop: Header=BB131_4 Depth=2
	s_or_b32 exec_lo, exec_lo, s8
	s_waitcnt lgkmcnt(0)
	s_barrier
	buffer_gl0_inv
	s_and_saveexec_b32 s8, s5
	s_cbranch_execz .LBB131_40
; %bb.39:                               ;   in Loop: Header=BB131_4 Depth=2
	ds_load_b32 v87, v34
	s_waitcnt lgkmcnt(0)
	v_mov_b32_dpp v88, v87 row_shr:1 row_mask:0xf bank_mask:0xf
	s_delay_alu instid0(VALU_DEP_1) | instskip(NEXT) | instid1(VALU_DEP_1)
	v_cndmask_b32_e64 v88, v88, 0, s0
	v_add_nc_u32_e32 v87, v88, v87
	s_delay_alu instid0(VALU_DEP_1) | instskip(NEXT) | instid1(VALU_DEP_1)
	v_mov_b32_dpp v88, v87 row_shr:2 row_mask:0xf bank_mask:0xf
	v_cndmask_b32_e64 v88, 0, v88, s1
	s_delay_alu instid0(VALU_DEP_1) | instskip(NEXT) | instid1(VALU_DEP_1)
	v_add_nc_u32_e32 v87, v87, v88
	v_mov_b32_dpp v88, v87 row_shr:4 row_mask:0xf bank_mask:0xf
	s_delay_alu instid0(VALU_DEP_1) | instskip(NEXT) | instid1(VALU_DEP_1)
	v_cndmask_b32_e64 v88, 0, v88, s2
	v_add_nc_u32_e32 v87, v87, v88
	s_delay_alu instid0(VALU_DEP_1) | instskip(NEXT) | instid1(VALU_DEP_1)
	v_mov_b32_dpp v88, v87 row_shr:8 row_mask:0xf bank_mask:0xf
	v_cndmask_b32_e64 v88, 0, v88, s3
	s_delay_alu instid0(VALU_DEP_1)
	v_add_nc_u32_e32 v87, v87, v88
	ds_store_b32 v34, v87
.LBB131_40:                             ;   in Loop: Header=BB131_4 Depth=2
	s_or_b32 exec_lo, exec_lo, s8
	v_mov_b32_e32 v87, 0
	s_waitcnt lgkmcnt(0)
	s_barrier
	buffer_gl0_inv
	s_and_saveexec_b32 s8, s6
	s_cbranch_execz .LBB131_3
; %bb.41:                               ;   in Loop: Header=BB131_4 Depth=2
	ds_load_b32 v87, v38
	s_branch .LBB131_3
.LBB131_42:
	ds_load_b32 v1, v85
	ds_load_b32 v2, v82
	;; [unrolled: 1-line block ×16, first 2 shown]
	s_lshl_b64 s[0:1], s[12:13], 2
	v_lshlrev_b32_e32 v0, 2, v0
	s_add_u32 s0, s10, s0
	s_addc_u32 s1, s11, s1
	s_waitcnt lgkmcnt(15)
	v_add3_u32 v4, v84, v83, v1
	s_waitcnt lgkmcnt(14)
	v_add3_u32 v3, v81, v80, v2
	s_waitcnt lgkmcnt(13)
	v_add3_u32 v2, v78, v77, v5
	s_waitcnt lgkmcnt(12)
	v_add3_u32 v1, v75, v74, v6
	s_waitcnt lgkmcnt(11)
	v_add3_u32 v8, v72, v71, v7
	s_waitcnt lgkmcnt(10)
	v_add3_u32 v7, v69, v68, v9
	s_waitcnt lgkmcnt(9)
	v_add3_u32 v6, v66, v65, v10
	s_waitcnt lgkmcnt(8)
	v_add3_u32 v5, v63, v62, v11
	s_waitcnt lgkmcnt(7)
	v_add3_u32 v12, v60, v59, v12
	s_waitcnt lgkmcnt(6)
	v_add3_u32 v11, v57, v56, v13
	s_waitcnt lgkmcnt(5)
	v_add3_u32 v10, v54, v53, v14
	s_waitcnt lgkmcnt(4)
	v_add3_u32 v16, v48, v47, v15
	s_waitcnt lgkmcnt(3)
	v_add3_u32 v15, v45, v44, v17
	s_waitcnt lgkmcnt(2)
	v_add3_u32 v14, v42, v41, v18
	s_waitcnt lgkmcnt(1)
	v_add_nc_u32_e32 v13, v19, v39
	s_waitcnt lgkmcnt(0)
	v_add3_u32 v9, v51, v50, v20
	s_clause 0x3
	global_store_b128 v0, v[13:16], s[0:1]
	global_store_b128 v0, v[9:12], s[0:1] offset:16
	global_store_b128 v0, v[5:8], s[0:1] offset:32
	;; [unrolled: 1-line block ×3, first 2 shown]
	s_nop 0
	s_sendmsg sendmsg(MSG_DEALLOC_VGPRS)
	s_endpgm
	.section	.rodata,"a",@progbits
	.p2align	6, 0x0
	.amdhsa_kernel _Z11rank_kernelIxLj4ELb0EL18RadixRankAlgorithm2ELj512ELj16ELj10EEvPKT_Pi
		.amdhsa_group_segment_fixed_size 2112
		.amdhsa_private_segment_fixed_size 0
		.amdhsa_kernarg_size 272
		.amdhsa_user_sgpr_count 15
		.amdhsa_user_sgpr_dispatch_ptr 0
		.amdhsa_user_sgpr_queue_ptr 0
		.amdhsa_user_sgpr_kernarg_segment_ptr 1
		.amdhsa_user_sgpr_dispatch_id 0
		.amdhsa_user_sgpr_private_segment_size 0
		.amdhsa_wavefront_size32 1
		.amdhsa_uses_dynamic_stack 0
		.amdhsa_enable_private_segment 0
		.amdhsa_system_sgpr_workgroup_id_x 1
		.amdhsa_system_sgpr_workgroup_id_y 0
		.amdhsa_system_sgpr_workgroup_id_z 0
		.amdhsa_system_sgpr_workgroup_info 0
		.amdhsa_system_vgpr_workitem_id 2
		.amdhsa_next_free_vgpr 90
		.amdhsa_next_free_sgpr 18
		.amdhsa_reserve_vcc 1
		.amdhsa_float_round_mode_32 0
		.amdhsa_float_round_mode_16_64 0
		.amdhsa_float_denorm_mode_32 3
		.amdhsa_float_denorm_mode_16_64 3
		.amdhsa_dx10_clamp 1
		.amdhsa_ieee_mode 1
		.amdhsa_fp16_overflow 0
		.amdhsa_workgroup_processor_mode 1
		.amdhsa_memory_ordered 1
		.amdhsa_forward_progress 0
		.amdhsa_shared_vgpr_count 0
		.amdhsa_exception_fp_ieee_invalid_op 0
		.amdhsa_exception_fp_denorm_src 0
		.amdhsa_exception_fp_ieee_div_zero 0
		.amdhsa_exception_fp_ieee_overflow 0
		.amdhsa_exception_fp_ieee_underflow 0
		.amdhsa_exception_fp_ieee_inexact 0
		.amdhsa_exception_int_div_zero 0
	.end_amdhsa_kernel
	.section	.text._Z11rank_kernelIxLj4ELb0EL18RadixRankAlgorithm2ELj512ELj16ELj10EEvPKT_Pi,"axG",@progbits,_Z11rank_kernelIxLj4ELb0EL18RadixRankAlgorithm2ELj512ELj16ELj10EEvPKT_Pi,comdat
.Lfunc_end131:
	.size	_Z11rank_kernelIxLj4ELb0EL18RadixRankAlgorithm2ELj512ELj16ELj10EEvPKT_Pi, .Lfunc_end131-_Z11rank_kernelIxLj4ELb0EL18RadixRankAlgorithm2ELj512ELj16ELj10EEvPKT_Pi
                                        ; -- End function
	.section	.AMDGPU.csdata,"",@progbits
; Kernel info:
; codeLenInByte = 5400
; NumSgprs: 20
; NumVgprs: 90
; ScratchSize: 0
; MemoryBound: 0
; FloatMode: 240
; IeeeMode: 1
; LDSByteSize: 2112 bytes/workgroup (compile time only)
; SGPRBlocks: 2
; VGPRBlocks: 11
; NumSGPRsForWavesPerEU: 20
; NumVGPRsForWavesPerEU: 90
; Occupancy: 16
; WaveLimiterHint : 0
; COMPUTE_PGM_RSRC2:SCRATCH_EN: 0
; COMPUTE_PGM_RSRC2:USER_SGPR: 15
; COMPUTE_PGM_RSRC2:TRAP_HANDLER: 0
; COMPUTE_PGM_RSRC2:TGID_X_EN: 1
; COMPUTE_PGM_RSRC2:TGID_Y_EN: 0
; COMPUTE_PGM_RSRC2:TGID_Z_EN: 0
; COMPUTE_PGM_RSRC2:TIDIG_COMP_CNT: 2
	.section	.text._Z11rank_kernelIxLj4ELb0EL18RadixRankAlgorithm0ELj512ELj32ELj10EEvPKT_Pi,"axG",@progbits,_Z11rank_kernelIxLj4ELb0EL18RadixRankAlgorithm0ELj512ELj32ELj10EEvPKT_Pi,comdat
	.protected	_Z11rank_kernelIxLj4ELb0EL18RadixRankAlgorithm0ELj512ELj32ELj10EEvPKT_Pi ; -- Begin function _Z11rank_kernelIxLj4ELb0EL18RadixRankAlgorithm0ELj512ELj32ELj10EEvPKT_Pi
	.globl	_Z11rank_kernelIxLj4ELb0EL18RadixRankAlgorithm0ELj512ELj32ELj10EEvPKT_Pi
	.p2align	8
	.type	_Z11rank_kernelIxLj4ELb0EL18RadixRankAlgorithm0ELj512ELj32ELj10EEvPKT_Pi,@function
_Z11rank_kernelIxLj4ELb0EL18RadixRankAlgorithm0ELj512ELj32ELj10EEvPKT_Pi: ; @_Z11rank_kernelIxLj4ELb0EL18RadixRankAlgorithm0ELj512ELj32ELj10EEvPKT_Pi
; %bb.0:
	s_load_b128 s[8:11], s[0:1], 0x0
	s_mov_b32 s13, 0
	s_lshl_b32 s12, s15, 14
	v_dual_mov_b32 v66, 0 :: v_dual_lshlrev_b32 v61, 8, v0
	s_lshl_b64 s[0:1], s[12:13], 3
	v_mbcnt_lo_u32_b32 v68, -1, 0
	v_or_b32_e32 v71, 31, v0
	v_lshrrev_b32_e32 v73, 3, v0
	v_lshlrev_b32_e32 v65, 5, v0
	v_cmp_gt_u32_e32 vcc_lo, 16, v0
	v_add_nc_u32_e32 v72, -1, v68
	v_and_b32_e32 v69, 15, v68
	v_and_b32_e32 v70, 16, v68
	v_lshlrev_b32_e32 v67, 2, v0
	v_cmp_eq_u32_e64 s7, v71, v0
	v_cmp_gt_i32_e64 s5, 0, v72
	v_cmp_eq_u32_e64 s2, 0, v69
	v_cmp_lt_u32_e64 s3, 1, v69
	v_cmp_lt_u32_e64 s4, 3, v69
	s_waitcnt lgkmcnt(0)
	s_add_u32 s0, s8, s0
	s_addc_u32 s1, s9, s1
	v_cndmask_b32_e64 v72, v72, v68, s5
	s_clause 0xf
	global_load_b128 v[1:4], v61, s[0:1]
	global_load_b128 v[5:8], v61, s[0:1] offset:16
	global_load_b128 v[9:12], v61, s[0:1] offset:32
	;; [unrolled: 1-line block ×15, first 2 shown]
	v_cmp_lt_u32_e64 s0, 31, v0
	v_cmp_eq_u32_e64 s1, 0, v68
	v_cmp_lt_u32_e64 s5, 7, v69
	v_cmp_eq_u32_e64 s6, 0, v70
	v_and_b32_e32 v68, 60, v73
	v_lshlrev_b32_e32 v69, 2, v72
	v_or_b32_e32 v70, 0xfffffe00, v0
	s_mov_b32 s9, s13
	s_waitcnt vmcnt(15)
	v_xor_b32_e32 v2, 0x80000000, v2
	v_xor_b32_e32 v4, 0x80000000, v4
	s_waitcnt vmcnt(14)
	v_xor_b32_e32 v6, 0x80000000, v6
	v_xor_b32_e32 v8, 0x80000000, v8
	;; [unrolled: 3-line block ×16, first 2 shown]
	s_branch .LBB132_2
.LBB132_1:                              ;   in Loop: Header=BB132_2 Depth=1
	s_add_i32 s9, s9, 1
	s_delay_alu instid0(SALU_CYCLE_1)
	s_cmp_eq_u32 s9, 10
	s_cbranch_scc1 .LBB132_12
.LBB132_2:                              ; =>This Loop Header: Depth=1
                                        ;     Child Loop BB132_4 Depth 2
                                        ;       Child Loop BB132_5 Depth 3
	s_mov_b32 s14, 0
	s_branch .LBB132_4
.LBB132_3:                              ;   in Loop: Header=BB132_4 Depth=2
	s_or_b32 exec_lo, exec_lo, s8
	s_waitcnt lgkmcnt(0)
	v_add_nc_u32_e32 v135, v136, v135
	ds_load_b32 v141, v66 offset:16444
	ds_load_2addr_b32 v[137:138], v65 offset1:1
	s_add_i32 s8, s14, 4
	s_cmp_lt_u32 s14, 60
	s_mov_b32 s14, s8
	ds_bpermute_b32 v135, v69, v135
	s_waitcnt lgkmcnt(0)
	v_cndmask_b32_e64 v142, v135, v136, s1
	ds_load_2addr_b32 v[135:136], v65 offset0:2 offset1:3
	ds_load_2addr_b32 v[139:140], v65 offset0:4 offset1:5
	v_lshl_add_u32 v141, v141, 16, v142
	ds_load_b32 v142, v65 offset:24
	v_add_nc_u32_e32 v137, v141, v137
	s_delay_alu instid0(VALU_DEP_1) | instskip(SKIP_1) | instid1(VALU_DEP_1)
	v_add_nc_u32_e32 v138, v138, v137
	s_waitcnt lgkmcnt(2)
	v_add_nc_u32_e32 v135, v135, v138
	s_delay_alu instid0(VALU_DEP_1) | instskip(SKIP_1) | instid1(VALU_DEP_1)
	v_add_nc_u32_e32 v136, v136, v135
	s_waitcnt lgkmcnt(1)
	;; [unrolled: 4-line block ×3, first 2 shown]
	v_add_nc_u32_e32 v142, v142, v140
	ds_store_2addr_b32 v65, v141, v137 offset1:1
	ds_store_2addr_b32 v65, v138, v135 offset0:2 offset1:3
	ds_store_2addr_b32 v65, v136, v139 offset0:4 offset1:5
	;; [unrolled: 1-line block ×3, first 2 shown]
	s_waitcnt lgkmcnt(0)
	s_barrier
	buffer_gl0_inv
	s_cbranch_scc0 .LBB132_1
.LBB132_4:                              ;   Parent Loop BB132_2 Depth=1
                                        ; =>  This Loop Header: Depth=2
                                        ;       Child Loop BB132_5 Depth 3
	v_dual_mov_b32 v71, v70 :: v_dual_mov_b32 v72, v67
	s_mov_b32 s15, 0
.LBB132_5:                              ;   Parent Loop BB132_2 Depth=1
                                        ;     Parent Loop BB132_4 Depth=2
                                        ; =>    This Inner Loop Header: Depth=3
	s_delay_alu instid0(VALU_DEP_1) | instskip(SKIP_3) | instid1(VALU_DEP_1)
	v_add_nc_u32_e32 v71, 0x200, v71
	ds_store_b32 v72, v66
	v_add_nc_u32_e32 v72, 0x800, v72
	v_cmp_lt_u32_e64 s8, 0xdff, v71
	s_or_b32 s15, s8, s15
	s_delay_alu instid0(SALU_CYCLE_1)
	s_and_not1_b32 exec_lo, exec_lo, s15
	s_cbranch_execnz .LBB132_5
; %bb.6:                                ;   in Loop: Header=BB132_4 Depth=2
	s_or_b32 exec_lo, exec_lo, s15
	s_sub_i32 s8, 60, s14
	s_delay_alu instid0(SALU_CYCLE_1)
	v_lshlrev_b64 v[71:72], s8, v[1:2]
	v_lshlrev_b64 v[73:74], s8, v[3:4]
	;; [unrolled: 1-line block ×6, first 2 shown]
	v_lshrrev_b32_e32 v71, 19, v72
	v_lshrrev_b32_e32 v72, 30, v72
	;; [unrolled: 1-line block ×5, first 2 shown]
	v_and_or_b32 v71, 0xe00, v71, v0
	v_and_b32_e32 v72, 2, v72
	v_and_or_b32 v73, 0xe00, v73, v0
	v_and_b32_e32 v74, 2, v74
	v_and_b32_e32 v76, 2, v76
	v_lshrrev_b32_e32 v78, 30, v79
	v_lshl_or_b32 v71, v71, 2, v72
	v_lshrrev_b32_e32 v80, 30, v81
	v_lshl_or_b32 v73, v73, 2, v74
	v_lshrrev_b32_e32 v74, 19, v77
	v_and_b32_e32 v78, 2, v78
	ds_load_u16 v72, v71
	v_and_b32_e32 v80, 2, v80
	v_lshrrev_b32_e32 v82, 30, v83
	v_and_or_b32 v74, 0xe00, v74, v0
	v_lshlrev_b64 v[84:85], s8, v[13:14]
	v_lshlrev_b64 v[94:95], s8, v[25:26]
	;; [unrolled: 1-line block ×3, first 2 shown]
	v_and_b32_e32 v82, 2, v82
	v_lshl_or_b32 v74, v74, 2, v76
	v_lshrrev_b32_e32 v76, 19, v79
	v_lshrrev_b32_e32 v84, 30, v85
	v_lshlrev_b64 v[123:124], s8, v[47:48]
	v_lshlrev_b64 v[125:126], s8, v[49:50]
	;; [unrolled: 1-line block ×3, first 2 shown]
	v_and_or_b32 v76, 0xe00, v76, v0
	v_and_b32_e32 v84, 2, v84
	v_lshlrev_b64 v[129:130], s8, v[53:54]
	s_delay_alu instid0(VALU_DEP_3)
	v_lshl_or_b32 v76, v76, 2, v78
	s_waitcnt lgkmcnt(0)
	v_add_nc_u16 v75, v72, 1
	v_lshrrev_b32_e32 v78, 19, v81
	ds_store_b16 v71, v75
	ds_load_u16 v75, v73
	v_and_or_b32 v78, 0xe00, v78, v0
	s_delay_alu instid0(VALU_DEP_1) | instskip(SKIP_1) | instid1(VALU_DEP_1)
	v_lshl_or_b32 v78, v78, 2, v80
	v_lshrrev_b32_e32 v80, 19, v83
	v_and_or_b32 v80, 0xe00, v80, v0
	s_delay_alu instid0(VALU_DEP_1) | instskip(SKIP_3) | instid1(VALU_DEP_2)
	v_lshl_or_b32 v80, v80, 2, v82
	v_lshrrev_b32_e32 v82, 19, v85
	s_waitcnt lgkmcnt(0)
	v_add_nc_u16 v77, v75, 1
	v_and_or_b32 v82, 0xe00, v82, v0
	ds_store_b16 v73, v77
	ds_load_u16 v77, v74
	v_lshl_or_b32 v82, v82, 2, v84
	s_waitcnt lgkmcnt(0)
	v_add_nc_u16 v79, v77, 1
	ds_store_b16 v74, v79
	ds_load_u16 v79, v76
	s_waitcnt lgkmcnt(0)
	v_add_nc_u16 v81, v79, 1
	ds_store_b16 v76, v81
	ds_load_u16 v81, v78
	;; [unrolled: 4-line block ×4, first 2 shown]
	v_lshlrev_b64 v[84:85], s8, v[15:16]
	s_delay_alu instid0(VALU_DEP_1) | instskip(SKIP_1) | instid1(VALU_DEP_2)
	v_lshrrev_b32_e32 v84, 19, v85
	v_lshrrev_b32_e32 v85, 30, v85
	v_and_or_b32 v84, 0xe00, v84, v0
	s_delay_alu instid0(VALU_DEP_2) | instskip(NEXT) | instid1(VALU_DEP_1)
	v_and_b32_e32 v85, 2, v85
	v_lshl_or_b32 v84, v84, 2, v85
	s_waitcnt lgkmcnt(0)
	v_add_nc_u16 v86, v87, 1
	ds_store_b16 v82, v86
	ds_load_u16 v91, v84
	v_lshlrev_b64 v[85:86], s8, v[17:18]
	s_delay_alu instid0(VALU_DEP_1) | instskip(SKIP_1) | instid1(VALU_DEP_2)
	v_lshrrev_b32_e32 v85, 19, v86
	v_lshrrev_b32_e32 v86, 30, v86
	v_and_or_b32 v85, 0xe00, v85, v0
	s_delay_alu instid0(VALU_DEP_2) | instskip(NEXT) | instid1(VALU_DEP_1)
	v_and_b32_e32 v86, 2, v86
	v_lshl_or_b32 v85, v85, 2, v86
	s_waitcnt lgkmcnt(0)
	v_add_nc_u16 v88, v91, 1
	ds_store_b16 v84, v88
	ds_load_u16 v93, v85
	v_lshlrev_b64 v[88:89], s8, v[19:20]
	s_delay_alu instid0(VALU_DEP_1) | instskip(SKIP_1) | instid1(VALU_DEP_2)
	v_lshrrev_b32_e32 v86, 19, v89
	v_lshrrev_b32_e32 v88, 30, v89
	v_and_or_b32 v86, 0xe00, v86, v0
	s_delay_alu instid0(VALU_DEP_2) | instskip(NEXT) | instid1(VALU_DEP_1)
	v_and_b32_e32 v88, 2, v88
	v_lshl_or_b32 v86, v86, 2, v88
	s_waitcnt lgkmcnt(0)
	v_add_nc_u16 v89, v93, 1
	ds_store_b16 v85, v89
	ds_load_u16 v96, v86
	v_lshlrev_b64 v[88:89], s8, v[21:22]
	s_delay_alu instid0(VALU_DEP_1) | instskip(SKIP_1) | instid1(VALU_DEP_2)
	v_lshrrev_b32_e32 v88, 19, v89
	v_lshrrev_b32_e32 v89, 30, v89
	v_and_or_b32 v88, 0xe00, v88, v0
	s_delay_alu instid0(VALU_DEP_2) | instskip(NEXT) | instid1(VALU_DEP_1)
	v_and_b32_e32 v89, 2, v89
	v_lshl_or_b32 v88, v88, 2, v89
	s_waitcnt lgkmcnt(0)
	v_add_nc_u16 v90, v96, 1
	ds_store_b16 v86, v90
	ds_load_u16 v99, v88
	v_lshlrev_b64 v[89:90], s8, v[23:24]
	s_delay_alu instid0(VALU_DEP_1) | instskip(SKIP_1) | instid1(VALU_DEP_2)
	v_lshrrev_b32_e32 v89, 19, v90
	v_lshrrev_b32_e32 v90, 30, v90
	v_and_or_b32 v89, 0xe00, v89, v0
	s_delay_alu instid0(VALU_DEP_2) | instskip(NEXT) | instid1(VALU_DEP_1)
	v_and_b32_e32 v90, 2, v90
	v_lshl_or_b32 v89, v89, 2, v90
	v_lshrrev_b32_e32 v90, 19, v95
	s_waitcnt lgkmcnt(0)
	v_add_nc_u16 v92, v99, 1
	s_delay_alu instid0(VALU_DEP_2) | instskip(SKIP_3) | instid1(VALU_DEP_1)
	v_and_or_b32 v90, 0xe00, v90, v0
	ds_store_b16 v88, v92
	ds_load_u16 v101, v89
	v_lshrrev_b32_e32 v92, 30, v95
	v_and_b32_e32 v92, 2, v92
	s_delay_alu instid0(VALU_DEP_1)
	v_lshl_or_b32 v90, v90, 2, v92
	s_waitcnt lgkmcnt(0)
	v_add_nc_u16 v94, v101, 1
	ds_store_b16 v89, v94
	ds_load_u16 v103, v90
	v_lshlrev_b64 v[94:95], s8, v[27:28]
	s_delay_alu instid0(VALU_DEP_1) | instskip(SKIP_1) | instid1(VALU_DEP_2)
	v_lshrrev_b32_e32 v92, 19, v95
	v_lshrrev_b32_e32 v94, 30, v95
	v_and_or_b32 v92, 0xe00, v92, v0
	s_delay_alu instid0(VALU_DEP_2) | instskip(NEXT) | instid1(VALU_DEP_1)
	v_and_b32_e32 v94, 2, v94
	v_lshl_or_b32 v92, v92, 2, v94
	s_waitcnt lgkmcnt(0)
	v_add_nc_u16 v95, v103, 1
	ds_store_b16 v90, v95
	ds_load_u16 v105, v92
	v_lshlrev_b64 v[94:95], s8, v[29:30]
	s_delay_alu instid0(VALU_DEP_1) | instskip(SKIP_1) | instid1(VALU_DEP_2)
	v_lshrrev_b32_e32 v94, 19, v95
	v_lshrrev_b32_e32 v95, 30, v95
	v_and_or_b32 v94, 0xe00, v94, v0
	s_delay_alu instid0(VALU_DEP_2) | instskip(NEXT) | instid1(VALU_DEP_1)
	v_and_b32_e32 v95, 2, v95
	;; [unrolled: 12-line block ×3, first 2 shown]
	v_lshl_or_b32 v97, v95, 2, v97
	v_lshrrev_b32_e32 v95, 19, v110
	s_waitcnt lgkmcnt(0)
	v_add_nc_u16 v98, v106, 1
	s_delay_alu instid0(VALU_DEP_2) | instskip(SKIP_4) | instid1(VALU_DEP_2)
	v_and_or_b32 v95, 0xe00, v95, v0
	ds_store_b16 v94, v98
	ds_load_u16 v108, v97
	v_lshrrev_b32_e32 v98, 30, v110
	v_lshlrev_b64 v[109:110], s8, v[35:36]
	v_and_b32_e32 v98, 2, v98
	s_delay_alu instid0(VALU_DEP_1) | instskip(NEXT) | instid1(VALU_DEP_3)
	v_lshl_or_b32 v95, v95, 2, v98
	v_lshrrev_b32_e32 v98, 19, v110
	s_delay_alu instid0(VALU_DEP_1)
	v_and_or_b32 v98, 0xe00, v98, v0
	s_waitcnt lgkmcnt(0)
	v_add_nc_u16 v100, v108, 1
	ds_store_b16 v97, v100
	ds_load_u16 v111, v95
	v_lshrrev_b32_e32 v100, 30, v110
	v_lshlrev_b64 v[109:110], s8, v[37:38]
	s_delay_alu instid0(VALU_DEP_2) | instskip(NEXT) | instid1(VALU_DEP_1)
	v_and_b32_e32 v100, 2, v100
	v_lshl_or_b32 v98, v98, 2, v100
	s_delay_alu instid0(VALU_DEP_3) | instskip(NEXT) | instid1(VALU_DEP_1)
	v_lshrrev_b32_e32 v100, 19, v110
	v_and_or_b32 v100, 0xe00, v100, v0
	s_waitcnt lgkmcnt(0)
	v_add_nc_u16 v102, v111, 1
	ds_store_b16 v95, v102
	ds_load_u16 v113, v98
	v_lshrrev_b32_e32 v102, 30, v110
	v_lshlrev_b64 v[109:110], s8, v[39:40]
	s_delay_alu instid0(VALU_DEP_2) | instskip(NEXT) | instid1(VALU_DEP_1)
	v_and_b32_e32 v102, 2, v102
	v_lshl_or_b32 v100, v100, 2, v102
	s_delay_alu instid0(VALU_DEP_3) | instskip(NEXT) | instid1(VALU_DEP_1)
	v_lshrrev_b32_e32 v102, 19, v110
	;; [unrolled: 12-line block ×3, first 2 shown]
	v_and_or_b32 v104, 0xe00, v104, v0
	s_waitcnt lgkmcnt(0)
	v_add_nc_u16 v107, v115, 1
	ds_store_b16 v100, v107
	ds_load_u16 v117, v102
	v_lshrrev_b32_e32 v107, 30, v110
	s_delay_alu instid0(VALU_DEP_1) | instskip(NEXT) | instid1(VALU_DEP_1)
	v_and_b32_e32 v107, 2, v107
	v_lshl_or_b32 v104, v104, 2, v107
	s_waitcnt lgkmcnt(0)
	v_add_nc_u16 v109, v117, 1
	ds_store_b16 v102, v109
	ds_load_u16 v119, v104
	v_lshlrev_b64 v[109:110], s8, v[43:44]
	s_delay_alu instid0(VALU_DEP_1) | instskip(SKIP_1) | instid1(VALU_DEP_2)
	v_lshrrev_b32_e32 v107, 19, v110
	v_lshrrev_b32_e32 v109, 30, v110
	v_and_or_b32 v107, 0xe00, v107, v0
	s_delay_alu instid0(VALU_DEP_2) | instskip(NEXT) | instid1(VALU_DEP_1)
	v_and_b32_e32 v109, 2, v109
	v_lshl_or_b32 v107, v107, 2, v109
	s_waitcnt lgkmcnt(0)
	v_add_nc_u16 v110, v119, 1
	ds_store_b16 v104, v110
	ds_load_u16 v121, v107
	v_lshlrev_b64 v[109:110], s8, v[45:46]
	s_delay_alu instid0(VALU_DEP_1) | instskip(SKIP_1) | instid1(VALU_DEP_2)
	v_lshrrev_b32_e32 v109, 19, v110
	v_lshrrev_b32_e32 v110, 30, v110
	v_and_or_b32 v109, 0xe00, v109, v0
	s_delay_alu instid0(VALU_DEP_2) | instskip(NEXT) | instid1(VALU_DEP_1)
	v_and_b32_e32 v110, 2, v110
	v_lshl_or_b32 v109, v109, 2, v110
	v_lshrrev_b32_e32 v110, 19, v124
	s_waitcnt lgkmcnt(0)
	v_add_nc_u16 v112, v121, 1
	s_delay_alu instid0(VALU_DEP_2) | instskip(SKIP_3) | instid1(VALU_DEP_1)
	v_and_or_b32 v110, 0xe00, v110, v0
	ds_store_b16 v107, v112
	ds_load_u16 v122, v109
	v_lshrrev_b32_e32 v112, 30, v124
	v_and_b32_e32 v112, 2, v112
	s_delay_alu instid0(VALU_DEP_1) | instskip(SKIP_1) | instid1(VALU_DEP_1)
	v_lshl_or_b32 v112, v110, 2, v112
	v_lshrrev_b32_e32 v110, 19, v126
	v_and_or_b32 v110, 0xe00, v110, v0
	s_waitcnt lgkmcnt(0)
	v_add_nc_u16 v114, v122, 1
	ds_store_b16 v109, v114
	ds_load_u16 v124, v112
	v_lshrrev_b32_e32 v114, 30, v126
	s_delay_alu instid0(VALU_DEP_1) | instskip(NEXT) | instid1(VALU_DEP_1)
	v_and_b32_e32 v114, 2, v114
	v_lshl_or_b32 v110, v110, 2, v114
	v_lshrrev_b32_e32 v114, 19, v128
	s_delay_alu instid0(VALU_DEP_1)
	v_and_or_b32 v114, 0xe00, v114, v0
	s_waitcnt lgkmcnt(0)
	v_add_nc_u16 v116, v124, 1
	ds_store_b16 v112, v116
	ds_load_u16 v126, v110
	v_lshrrev_b32_e32 v116, 30, v128
	s_delay_alu instid0(VALU_DEP_1) | instskip(NEXT) | instid1(VALU_DEP_1)
	v_and_b32_e32 v116, 2, v116
	v_lshl_or_b32 v114, v114, 2, v116
	v_lshrrev_b32_e32 v116, 19, v130
	s_delay_alu instid0(VALU_DEP_1)
	v_and_or_b32 v116, 0xe00, v116, v0
	s_waitcnt lgkmcnt(0)
	v_add_nc_u16 v118, v126, 1
	ds_store_b16 v110, v118
	ds_load_u16 v128, v114
	v_lshrrev_b32_e32 v118, 30, v130
	v_lshlrev_b64 v[130:131], s8, v[55:56]
	s_delay_alu instid0(VALU_DEP_2) | instskip(NEXT) | instid1(VALU_DEP_1)
	v_and_b32_e32 v118, 2, v118
	v_lshl_or_b32 v116, v116, 2, v118
	s_delay_alu instid0(VALU_DEP_3) | instskip(NEXT) | instid1(VALU_DEP_1)
	v_lshrrev_b32_e32 v118, 19, v131
	v_and_or_b32 v118, 0xe00, v118, v0
	s_waitcnt lgkmcnt(0)
	v_add_nc_u16 v120, v128, 1
	ds_store_b16 v114, v120
	ds_load_u16 v129, v116
	v_lshrrev_b32_e32 v120, 30, v131
	v_lshlrev_b64 v[131:132], s8, v[57:58]
	s_delay_alu instid0(VALU_DEP_2) | instskip(NEXT) | instid1(VALU_DEP_1)
	v_and_b32_e32 v120, 2, v120
	v_lshl_or_b32 v118, v118, 2, v120
	s_delay_alu instid0(VALU_DEP_3) | instskip(NEXT) | instid1(VALU_DEP_1)
	v_lshrrev_b32_e32 v120, 19, v132
	;; [unrolled: 12-line block ×4, first 2 shown]
	v_and_or_b32 v125, 0xe00, v125, v0
	s_waitcnt lgkmcnt(0)
	v_add_nc_u16 v127, v131, 1
	ds_store_b16 v120, v127
	ds_load_u16 v132, v123
	v_lshrrev_b32_e32 v127, 30, v134
	v_lshlrev_b64 v[134:135], s8, v[63:64]
	s_delay_alu instid0(VALU_DEP_2) | instskip(NEXT) | instid1(VALU_DEP_2)
	v_and_b32_e32 v127, 2, v127
	v_lshrrev_b32_e32 v134, 30, v135
	s_delay_alu instid0(VALU_DEP_2) | instskip(SKIP_1) | instid1(VALU_DEP_3)
	v_lshl_or_b32 v125, v125, 2, v127
	v_lshrrev_b32_e32 v127, 19, v135
	v_and_b32_e32 v134, 2, v134
	s_delay_alu instid0(VALU_DEP_2) | instskip(SKIP_2) | instid1(VALU_DEP_2)
	v_and_or_b32 v127, 0xe00, v127, v0
	s_waitcnt lgkmcnt(0)
	v_add_nc_u16 v133, v132, 1
	v_lshl_or_b32 v127, v127, 2, v134
	ds_store_b16 v123, v133
	ds_load_u16 v133, v125
	s_waitcnt lgkmcnt(0)
	v_add_nc_u16 v135, v133, 1
	ds_store_b16 v125, v135
	ds_load_u16 v134, v127
	s_waitcnt lgkmcnt(0)
	v_add_nc_u16 v135, v134, 1
	ds_store_b16 v127, v135
	s_waitcnt lgkmcnt(0)
	s_barrier
	buffer_gl0_inv
	ds_load_2addr_b32 v[135:136], v65 offset1:1
	ds_load_2addr_b32 v[137:138], v65 offset0:2 offset1:3
	ds_load_2addr_b32 v[139:140], v65 offset0:4 offset1:5
	;; [unrolled: 1-line block ×3, first 2 shown]
	s_waitcnt lgkmcnt(3)
	v_add_nc_u32_e32 v135, v136, v135
	s_waitcnt lgkmcnt(2)
	s_delay_alu instid0(VALU_DEP_1) | instskip(SKIP_1) | instid1(VALU_DEP_1)
	v_add3_u32 v135, v135, v137, v138
	s_waitcnt lgkmcnt(1)
	v_add3_u32 v135, v135, v139, v140
	s_waitcnt lgkmcnt(0)
	s_delay_alu instid0(VALU_DEP_1) | instskip(NEXT) | instid1(VALU_DEP_1)
	v_add3_u32 v135, v135, v141, v142
	v_mov_b32_dpp v136, v135 row_shr:1 row_mask:0xf bank_mask:0xf
	s_delay_alu instid0(VALU_DEP_1) | instskip(NEXT) | instid1(VALU_DEP_1)
	v_cndmask_b32_e64 v136, v136, 0, s2
	v_add_nc_u32_e32 v135, v136, v135
	s_delay_alu instid0(VALU_DEP_1) | instskip(NEXT) | instid1(VALU_DEP_1)
	v_mov_b32_dpp v136, v135 row_shr:2 row_mask:0xf bank_mask:0xf
	v_cndmask_b32_e64 v136, 0, v136, s3
	s_delay_alu instid0(VALU_DEP_1) | instskip(NEXT) | instid1(VALU_DEP_1)
	v_add_nc_u32_e32 v135, v135, v136
	v_mov_b32_dpp v136, v135 row_shr:4 row_mask:0xf bank_mask:0xf
	s_delay_alu instid0(VALU_DEP_1) | instskip(NEXT) | instid1(VALU_DEP_1)
	v_cndmask_b32_e64 v136, 0, v136, s4
	v_add_nc_u32_e32 v135, v135, v136
	s_delay_alu instid0(VALU_DEP_1) | instskip(NEXT) | instid1(VALU_DEP_1)
	v_mov_b32_dpp v136, v135 row_shr:8 row_mask:0xf bank_mask:0xf
	v_cndmask_b32_e64 v136, 0, v136, s5
	s_delay_alu instid0(VALU_DEP_1) | instskip(SKIP_3) | instid1(VALU_DEP_1)
	v_add_nc_u32_e32 v135, v135, v136
	ds_swizzle_b32 v136, v135 offset:swizzle(BROADCAST,32,15)
	s_waitcnt lgkmcnt(0)
	v_cndmask_b32_e64 v136, v136, 0, s6
	v_add_nc_u32_e32 v135, v135, v136
	s_and_saveexec_b32 s8, s7
	s_cbranch_execz .LBB132_8
; %bb.7:                                ;   in Loop: Header=BB132_4 Depth=2
	ds_store_b32 v68, v135 offset:16384
.LBB132_8:                              ;   in Loop: Header=BB132_4 Depth=2
	s_or_b32 exec_lo, exec_lo, s8
	s_waitcnt lgkmcnt(0)
	s_barrier
	buffer_gl0_inv
	s_and_saveexec_b32 s8, vcc_lo
	s_cbranch_execz .LBB132_10
; %bb.9:                                ;   in Loop: Header=BB132_4 Depth=2
	ds_load_b32 v136, v67 offset:16384
	s_waitcnt lgkmcnt(0)
	v_mov_b32_dpp v137, v136 row_shr:1 row_mask:0xf bank_mask:0xf
	s_delay_alu instid0(VALU_DEP_1) | instskip(NEXT) | instid1(VALU_DEP_1)
	v_cndmask_b32_e64 v137, v137, 0, s2
	v_add_nc_u32_e32 v136, v137, v136
	s_delay_alu instid0(VALU_DEP_1) | instskip(NEXT) | instid1(VALU_DEP_1)
	v_mov_b32_dpp v137, v136 row_shr:2 row_mask:0xf bank_mask:0xf
	v_cndmask_b32_e64 v137, 0, v137, s3
	s_delay_alu instid0(VALU_DEP_1) | instskip(NEXT) | instid1(VALU_DEP_1)
	v_add_nc_u32_e32 v136, v136, v137
	v_mov_b32_dpp v137, v136 row_shr:4 row_mask:0xf bank_mask:0xf
	s_delay_alu instid0(VALU_DEP_1) | instskip(NEXT) | instid1(VALU_DEP_1)
	v_cndmask_b32_e64 v137, 0, v137, s4
	v_add_nc_u32_e32 v136, v136, v137
	s_delay_alu instid0(VALU_DEP_1) | instskip(NEXT) | instid1(VALU_DEP_1)
	v_mov_b32_dpp v137, v136 row_shr:8 row_mask:0xf bank_mask:0xf
	v_cndmask_b32_e64 v137, 0, v137, s5
	s_delay_alu instid0(VALU_DEP_1)
	v_add_nc_u32_e32 v136, v136, v137
	ds_store_b32 v67, v136 offset:16384
.LBB132_10:                             ;   in Loop: Header=BB132_4 Depth=2
	s_or_b32 exec_lo, exec_lo, s8
	v_mov_b32_e32 v136, 0
	s_waitcnt lgkmcnt(0)
	s_barrier
	buffer_gl0_inv
	s_and_saveexec_b32 s8, s0
	s_cbranch_execz .LBB132_3
; %bb.11:                               ;   in Loop: Header=BB132_4 Depth=2
	ds_load_b32 v136, v68 offset:16380
	s_branch .LBB132_3
.LBB132_12:
	ds_load_u16 v32, v84
	ds_load_u16 v33, v82
	;; [unrolled: 1-line block ×32, first 2 shown]
	v_and_b32_e32 v0, 0xffff, v72
	v_and_b32_e32 v1, 0xffff, v75
	;; [unrolled: 1-line block ×32, first 2 shown]
	s_waitcnt lgkmcnt(24)
	v_add_nc_u32_e32 v0, v39, v0
	v_add_nc_u32_e32 v1, v38, v1
	;; [unrolled: 1-line block ×5, first 2 shown]
	s_lshl_b64 s[0:1], s[12:13], 2
	v_lshlrev_b32_e32 v32, 2, v65
	v_add_nc_u32_e32 v4, v35, v4
	v_add_nc_u32_e32 v5, v34, v5
	;; [unrolled: 1-line block ×3, first 2 shown]
	s_waitcnt lgkmcnt(16)
	v_add_nc_u32_e32 v8, v47, v8
	v_add_nc_u32_e32 v9, v46, v9
	;; [unrolled: 1-line block ×4, first 2 shown]
	s_add_u32 s0, s10, s0
	v_add_nc_u32_e32 v12, v43, v12
	v_add_nc_u32_e32 v13, v42, v13
	;; [unrolled: 1-line block ×4, first 2 shown]
	s_addc_u32 s1, s11, s1
	s_waitcnt lgkmcnt(8)
	v_add_nc_u32_e32 v16, v55, v16
	v_add_nc_u32_e32 v17, v54, v17
	v_add_nc_u32_e32 v18, v53, v18
	v_add_nc_u32_e32 v19, v52, v19
	v_add_nc_u32_e32 v20, v51, v20
	v_add_nc_u32_e32 v21, v50, v21
	v_add_nc_u32_e32 v22, v49, v22
	v_add_nc_u32_e32 v23, v48, v23
	s_waitcnt lgkmcnt(0)
	v_add_nc_u32_e32 v24, v63, v24
	v_add_nc_u32_e32 v25, v62, v25
	;; [unrolled: 1-line block ×8, first 2 shown]
	s_clause 0x7
	global_store_b128 v32, v[0:3], s[0:1]
	global_store_b128 v32, v[4:7], s[0:1] offset:16
	global_store_b128 v32, v[8:11], s[0:1] offset:32
	;; [unrolled: 1-line block ×7, first 2 shown]
	s_nop 0
	s_sendmsg sendmsg(MSG_DEALLOC_VGPRS)
	s_endpgm
	.section	.rodata,"a",@progbits
	.p2align	6, 0x0
	.amdhsa_kernel _Z11rank_kernelIxLj4ELb0EL18RadixRankAlgorithm0ELj512ELj32ELj10EEvPKT_Pi
		.amdhsa_group_segment_fixed_size 16448
		.amdhsa_private_segment_fixed_size 0
		.amdhsa_kernarg_size 16
		.amdhsa_user_sgpr_count 15
		.amdhsa_user_sgpr_dispatch_ptr 0
		.amdhsa_user_sgpr_queue_ptr 0
		.amdhsa_user_sgpr_kernarg_segment_ptr 1
		.amdhsa_user_sgpr_dispatch_id 0
		.amdhsa_user_sgpr_private_segment_size 0
		.amdhsa_wavefront_size32 1
		.amdhsa_uses_dynamic_stack 0
		.amdhsa_enable_private_segment 0
		.amdhsa_system_sgpr_workgroup_id_x 1
		.amdhsa_system_sgpr_workgroup_id_y 0
		.amdhsa_system_sgpr_workgroup_id_z 0
		.amdhsa_system_sgpr_workgroup_info 0
		.amdhsa_system_vgpr_workitem_id 0
		.amdhsa_next_free_vgpr 143
		.amdhsa_next_free_sgpr 16
		.amdhsa_reserve_vcc 1
		.amdhsa_float_round_mode_32 0
		.amdhsa_float_round_mode_16_64 0
		.amdhsa_float_denorm_mode_32 3
		.amdhsa_float_denorm_mode_16_64 3
		.amdhsa_dx10_clamp 1
		.amdhsa_ieee_mode 1
		.amdhsa_fp16_overflow 0
		.amdhsa_workgroup_processor_mode 1
		.amdhsa_memory_ordered 1
		.amdhsa_forward_progress 0
		.amdhsa_shared_vgpr_count 0
		.amdhsa_exception_fp_ieee_invalid_op 0
		.amdhsa_exception_fp_denorm_src 0
		.amdhsa_exception_fp_ieee_div_zero 0
		.amdhsa_exception_fp_ieee_overflow 0
		.amdhsa_exception_fp_ieee_underflow 0
		.amdhsa_exception_fp_ieee_inexact 0
		.amdhsa_exception_int_div_zero 0
	.end_amdhsa_kernel
	.section	.text._Z11rank_kernelIxLj4ELb0EL18RadixRankAlgorithm0ELj512ELj32ELj10EEvPKT_Pi,"axG",@progbits,_Z11rank_kernelIxLj4ELb0EL18RadixRankAlgorithm0ELj512ELj32ELj10EEvPKT_Pi,comdat
.Lfunc_end132:
	.size	_Z11rank_kernelIxLj4ELb0EL18RadixRankAlgorithm0ELj512ELj32ELj10EEvPKT_Pi, .Lfunc_end132-_Z11rank_kernelIxLj4ELb0EL18RadixRankAlgorithm0ELj512ELj32ELj10EEvPKT_Pi
                                        ; -- End function
	.section	.AMDGPU.csdata,"",@progbits
; Kernel info:
; codeLenInByte = 4512
; NumSgprs: 18
; NumVgprs: 143
; ScratchSize: 0
; MemoryBound: 1
; FloatMode: 240
; IeeeMode: 1
; LDSByteSize: 16448 bytes/workgroup (compile time only)
; SGPRBlocks: 2
; VGPRBlocks: 17
; NumSGPRsForWavesPerEU: 18
; NumVGPRsForWavesPerEU: 143
; Occupancy: 10
; WaveLimiterHint : 0
; COMPUTE_PGM_RSRC2:SCRATCH_EN: 0
; COMPUTE_PGM_RSRC2:USER_SGPR: 15
; COMPUTE_PGM_RSRC2:TRAP_HANDLER: 0
; COMPUTE_PGM_RSRC2:TGID_X_EN: 1
; COMPUTE_PGM_RSRC2:TGID_Y_EN: 0
; COMPUTE_PGM_RSRC2:TGID_Z_EN: 0
; COMPUTE_PGM_RSRC2:TIDIG_COMP_CNT: 0
	.section	.text._Z11rank_kernelIxLj4ELb0EL18RadixRankAlgorithm1ELj512ELj32ELj10EEvPKT_Pi,"axG",@progbits,_Z11rank_kernelIxLj4ELb0EL18RadixRankAlgorithm1ELj512ELj32ELj10EEvPKT_Pi,comdat
	.protected	_Z11rank_kernelIxLj4ELb0EL18RadixRankAlgorithm1ELj512ELj32ELj10EEvPKT_Pi ; -- Begin function _Z11rank_kernelIxLj4ELb0EL18RadixRankAlgorithm1ELj512ELj32ELj10EEvPKT_Pi
	.globl	_Z11rank_kernelIxLj4ELb0EL18RadixRankAlgorithm1ELj512ELj32ELj10EEvPKT_Pi
	.p2align	8
	.type	_Z11rank_kernelIxLj4ELb0EL18RadixRankAlgorithm1ELj512ELj32ELj10EEvPKT_Pi,@function
_Z11rank_kernelIxLj4ELb0EL18RadixRankAlgorithm1ELj512ELj32ELj10EEvPKT_Pi: ; @_Z11rank_kernelIxLj4ELb0EL18RadixRankAlgorithm1ELj512ELj32ELj10EEvPKT_Pi
; %bb.0:
	s_load_b128 s[8:11], s[0:1], 0x0
	s_mov_b32 s13, 0
	s_lshl_b32 s12, s15, 14
	v_dual_mov_b32 v74, 0 :: v_dual_lshlrev_b32 v61, 8, v0
	s_lshl_b64 s[0:1], s[12:13], 3
	v_mbcnt_lo_u32_b32 v65, -1, 0
	v_or_b32_e32 v68, 31, v0
	v_lshrrev_b32_e32 v70, 3, v0
	v_lshlrev_b32_e32 v73, 5, v0
	v_cmp_gt_u32_e32 vcc_lo, 16, v0
	v_add_nc_u32_e32 v69, -1, v65
	v_and_b32_e32 v66, 15, v65
	v_and_b32_e32 v67, 16, v65
	v_lshlrev_b32_e32 v75, 2, v0
	v_cmp_eq_u32_e64 s7, v68, v0
	v_cmp_gt_i32_e64 s5, 0, v69
	v_cmp_eq_u32_e64 s2, 0, v66
	v_cmp_lt_u32_e64 s3, 1, v66
	v_cmp_lt_u32_e64 s4, 3, v66
	s_waitcnt lgkmcnt(0)
	s_add_u32 s0, s8, s0
	s_addc_u32 s1, s9, s1
	v_cmp_eq_u32_e64 s6, 0, v67
	s_clause 0xf
	global_load_b128 v[1:4], v61, s[0:1]
	global_load_b128 v[5:8], v61, s[0:1] offset:16
	global_load_b128 v[9:12], v61, s[0:1] offset:32
	;; [unrolled: 1-line block ×15, first 2 shown]
	v_cmp_eq_u32_e64 s1, 0, v65
	v_cndmask_b32_e64 v65, v69, v65, s5
	v_cmp_lt_u32_e64 s0, 31, v0
	v_cmp_lt_u32_e64 s5, 7, v66
	v_and_b32_e32 v76, 60, v70
	v_or_b32_e32 v78, 0xfffffe00, v0
	v_lshlrev_b32_e32 v77, 2, v65
	s_mov_b32 s9, s13
	s_waitcnt vmcnt(15)
	v_xor_b32_e32 v2, 0x80000000, v2
	v_xor_b32_e32 v4, 0x80000000, v4
	s_waitcnt vmcnt(14)
	v_xor_b32_e32 v6, 0x80000000, v6
	v_xor_b32_e32 v8, 0x80000000, v8
	;; [unrolled: 3-line block ×16, first 2 shown]
	s_branch .LBB133_2
.LBB133_1:                              ;   in Loop: Header=BB133_2 Depth=1
	s_add_i32 s9, s9, 1
	s_delay_alu instid0(SALU_CYCLE_1)
	s_cmp_eq_u32 s9, 10
	s_cbranch_scc1 .LBB133_12
.LBB133_2:                              ; =>This Loop Header: Depth=1
                                        ;     Child Loop BB133_4 Depth 2
                                        ;       Child Loop BB133_5 Depth 3
	s_mov_b32 s14, 0
	s_branch .LBB133_4
.LBB133_3:                              ;   in Loop: Header=BB133_4 Depth=2
	s_or_b32 exec_lo, exec_lo, s8
	s_waitcnt lgkmcnt(0)
	v_add_nc_u32_e32 v66, v143, v66
	ds_load_b32 v144, v74 offset:16444
	s_add_i32 s8, s14, 4
	s_cmp_lt_u32 s14, 60
	s_mov_b32 s14, s8
	ds_bpermute_b32 v66, v77, v66
	s_waitcnt lgkmcnt(0)
	v_cndmask_b32_e64 v66, v66, v143, s1
	s_delay_alu instid0(VALU_DEP_1) | instskip(NEXT) | instid1(VALU_DEP_1)
	v_lshl_add_u32 v66, v144, 16, v66
	v_add_nc_u32_e32 v67, v66, v67
	s_delay_alu instid0(VALU_DEP_1) | instskip(NEXT) | instid1(VALU_DEP_1)
	v_add_nc_u32_e32 v68, v67, v68
	v_add_nc_u32_e32 v69, v68, v69
	s_delay_alu instid0(VALU_DEP_1) | instskip(NEXT) | instid1(VALU_DEP_1)
	v_add_nc_u32_e32 v70, v69, v70
	;; [unrolled: 3-line block ×3, first 2 shown]
	v_add_nc_u32_e32 v65, v72, v65
	ds_store_2addr_b32 v73, v66, v67 offset1:1
	ds_store_2addr_b32 v73, v68, v69 offset0:2 offset1:3
	ds_store_2addr_b32 v73, v70, v71 offset0:4 offset1:5
	;; [unrolled: 1-line block ×3, first 2 shown]
	s_waitcnt lgkmcnt(0)
	s_barrier
	buffer_gl0_inv
	s_cbranch_scc0 .LBB133_1
.LBB133_4:                              ;   Parent Loop BB133_2 Depth=1
                                        ; =>  This Loop Header: Depth=2
                                        ;       Child Loop BB133_5 Depth 3
	v_dual_mov_b32 v65, v78 :: v_dual_mov_b32 v66, v75
	s_mov_b32 s15, 0
.LBB133_5:                              ;   Parent Loop BB133_2 Depth=1
                                        ;     Parent Loop BB133_4 Depth=2
                                        ; =>    This Inner Loop Header: Depth=3
	s_delay_alu instid0(VALU_DEP_1) | instskip(SKIP_3) | instid1(VALU_DEP_1)
	v_add_nc_u32_e32 v65, 0x200, v65
	ds_store_b32 v66, v74
	v_add_nc_u32_e32 v66, 0x800, v66
	v_cmp_lt_u32_e64 s8, 0xdff, v65
	s_or_b32 s15, s8, s15
	s_delay_alu instid0(SALU_CYCLE_1)
	s_and_not1_b32 exec_lo, exec_lo, s15
	s_cbranch_execnz .LBB133_5
; %bb.6:                                ;   in Loop: Header=BB133_4 Depth=2
	s_or_b32 exec_lo, exec_lo, s15
	s_sub_i32 s8, 60, s14
	s_delay_alu instid0(SALU_CYCLE_1) | instskip(NEXT) | instid1(VALU_DEP_1)
	v_lshlrev_b64 v[65:66], s8, v[1:2]
	v_lshrrev_b32_e32 v65, 19, v66
	v_lshrrev_b32_e32 v66, 30, v66
	s_delay_alu instid0(VALU_DEP_2) | instskip(NEXT) | instid1(VALU_DEP_2)
	v_and_or_b32 v65, 0xe00, v65, v0
	v_and_b32_e32 v66, 2, v66
	s_delay_alu instid0(VALU_DEP_1) | instskip(SKIP_4) | instid1(VALU_DEP_2)
	v_lshl_or_b32 v79, v65, 2, v66
	v_lshlrev_b64 v[65:66], s8, v[3:4]
	ds_load_u16 v81, v79
	v_lshrrev_b32_e32 v65, 19, v66
	v_lshrrev_b32_e32 v66, 30, v66
	v_and_or_b32 v65, 0xe00, v65, v0
	s_delay_alu instid0(VALU_DEP_2) | instskip(NEXT) | instid1(VALU_DEP_1)
	v_and_b32_e32 v66, 2, v66
	v_lshl_or_b32 v80, v65, 2, v66
	v_lshlrev_b64 v[65:66], s8, v[5:6]
	s_delay_alu instid0(VALU_DEP_1) | instskip(SKIP_3) | instid1(VALU_DEP_3)
	v_lshrrev_b32_e32 v65, 19, v66
	s_waitcnt lgkmcnt(0)
	v_add_nc_u16 v67, v81, 1
	v_lshrrev_b32_e32 v66, 30, v66
	v_and_or_b32 v65, 0xe00, v65, v0
	ds_store_b16 v79, v67
	ds_load_u16 v82, v80
	v_and_b32_e32 v66, 2, v66
	s_delay_alu instid0(VALU_DEP_1) | instskip(SKIP_1) | instid1(VALU_DEP_1)
	v_lshl_or_b32 v83, v65, 2, v66
	v_lshlrev_b64 v[65:66], s8, v[7:8]
	v_lshrrev_b32_e32 v65, 19, v66
	v_lshrrev_b32_e32 v66, 30, v66
	s_delay_alu instid0(VALU_DEP_2) | instskip(NEXT) | instid1(VALU_DEP_2)
	v_and_or_b32 v65, 0xe00, v65, v0
	v_and_b32_e32 v66, 2, v66
	s_waitcnt lgkmcnt(0)
	v_add_nc_u16 v67, v82, 1
	s_delay_alu instid0(VALU_DEP_2) | instskip(SKIP_3) | instid1(VALU_DEP_1)
	v_lshl_or_b32 v84, v65, 2, v66
	ds_store_b16 v80, v67
	ds_load_u16 v85, v83
	v_lshlrev_b64 v[65:66], s8, v[9:10]
	v_lshrrev_b32_e32 v65, 19, v66
	v_lshrrev_b32_e32 v66, 30, v66
	s_delay_alu instid0(VALU_DEP_2) | instskip(NEXT) | instid1(VALU_DEP_2)
	v_and_or_b32 v65, 0xe00, v65, v0
	v_and_b32_e32 v66, 2, v66
	s_delay_alu instid0(VALU_DEP_1) | instskip(SKIP_3) | instid1(VALU_DEP_2)
	v_lshl_or_b32 v86, v65, 2, v66
	v_lshlrev_b64 v[65:66], s8, v[11:12]
	s_waitcnt lgkmcnt(0)
	v_add_nc_u16 v67, v85, 1
	v_lshrrev_b32_e32 v65, 19, v66
	ds_store_b16 v83, v67
	ds_load_u16 v88, v84
	v_lshrrev_b32_e32 v66, 30, v66
	v_and_or_b32 v65, 0xe00, v65, v0
	s_delay_alu instid0(VALU_DEP_2) | instskip(NEXT) | instid1(VALU_DEP_1)
	v_and_b32_e32 v66, 2, v66
	v_lshl_or_b32 v87, v65, 2, v66
	v_lshlrev_b64 v[65:66], s8, v[13:14]
	s_delay_alu instid0(VALU_DEP_1) | instskip(SKIP_3) | instid1(VALU_DEP_3)
	v_lshrrev_b32_e32 v65, 19, v66
	v_lshrrev_b32_e32 v66, 30, v66
	s_waitcnt lgkmcnt(0)
	v_add_nc_u16 v67, v88, 1
	v_and_or_b32 v65, 0xe00, v65, v0
	s_delay_alu instid0(VALU_DEP_3) | instskip(SKIP_4) | instid1(VALU_DEP_1)
	v_and_b32_e32 v66, 2, v66
	ds_store_b16 v84, v67
	ds_load_u16 v89, v86
	v_lshl_or_b32 v90, v65, 2, v66
	v_lshlrev_b64 v[65:66], s8, v[15:16]
	v_lshrrev_b32_e32 v65, 19, v66
	v_lshrrev_b32_e32 v66, 30, v66
	s_delay_alu instid0(VALU_DEP_2) | instskip(NEXT) | instid1(VALU_DEP_2)
	v_and_or_b32 v65, 0xe00, v65, v0
	v_and_b32_e32 v66, 2, v66
	s_waitcnt lgkmcnt(0)
	v_add_nc_u16 v67, v89, 1
	s_delay_alu instid0(VALU_DEP_2)
	v_lshl_or_b32 v92, v65, 2, v66
	v_lshlrev_b64 v[65:66], s8, v[17:18]
	ds_store_b16 v86, v67
	ds_load_u16 v91, v87
	v_lshrrev_b32_e32 v65, 19, v66
	v_lshrrev_b32_e32 v66, 30, v66
	s_delay_alu instid0(VALU_DEP_2) | instskip(NEXT) | instid1(VALU_DEP_2)
	v_and_or_b32 v65, 0xe00, v65, v0
	v_and_b32_e32 v66, 2, v66
	s_delay_alu instid0(VALU_DEP_1) | instskip(SKIP_1) | instid1(VALU_DEP_1)
	v_lshl_or_b32 v93, v65, 2, v66
	v_lshlrev_b64 v[65:66], s8, v[19:20]
	v_lshrrev_b32_e32 v65, 19, v66
	s_waitcnt lgkmcnt(0)
	v_add_nc_u16 v67, v91, 1
	v_lshrrev_b32_e32 v66, 30, v66
	s_delay_alu instid0(VALU_DEP_3) | instskip(SKIP_3) | instid1(VALU_DEP_1)
	v_and_or_b32 v65, 0xe00, v65, v0
	ds_store_b16 v87, v67
	ds_load_u16 v97, v90
	v_and_b32_e32 v66, 2, v66
	v_lshl_or_b32 v94, v65, 2, v66
	v_lshlrev_b64 v[65:66], s8, v[21:22]
	s_delay_alu instid0(VALU_DEP_1) | instskip(SKIP_1) | instid1(VALU_DEP_2)
	v_lshrrev_b32_e32 v65, 19, v66
	v_lshrrev_b32_e32 v66, 30, v66
	v_and_or_b32 v65, 0xe00, v65, v0
	s_delay_alu instid0(VALU_DEP_2) | instskip(SKIP_2) | instid1(VALU_DEP_2)
	v_and_b32_e32 v66, 2, v66
	s_waitcnt lgkmcnt(0)
	v_add_nc_u16 v67, v97, 1
	v_lshl_or_b32 v95, v65, 2, v66
	ds_store_b16 v90, v67
	ds_load_u16 v100, v92
	v_lshlrev_b64 v[65:66], s8, v[23:24]
	s_delay_alu instid0(VALU_DEP_1) | instskip(SKIP_1) | instid1(VALU_DEP_2)
	v_lshrrev_b32_e32 v65, 19, v66
	v_lshrrev_b32_e32 v66, 30, v66
	v_and_or_b32 v65, 0xe00, v65, v0
	s_delay_alu instid0(VALU_DEP_2) | instskip(NEXT) | instid1(VALU_DEP_1)
	v_and_b32_e32 v66, 2, v66
	v_lshl_or_b32 v96, v65, 2, v66
	v_lshlrev_b64 v[65:66], s8, v[25:26]
	s_waitcnt lgkmcnt(0)
	v_add_nc_u16 v67, v100, 1
	ds_store_b16 v92, v67
	ds_load_u16 v103, v93
	v_lshrrev_b32_e32 v65, 19, v66
	v_lshrrev_b32_e32 v66, 30, v66
	s_delay_alu instid0(VALU_DEP_2) | instskip(NEXT) | instid1(VALU_DEP_2)
	v_and_or_b32 v65, 0xe00, v65, v0
	v_and_b32_e32 v66, 2, v66
	s_delay_alu instid0(VALU_DEP_1) | instskip(SKIP_1) | instid1(VALU_DEP_1)
	v_lshl_or_b32 v98, v65, 2, v66
	v_lshlrev_b64 v[65:66], s8, v[27:28]
	v_lshrrev_b32_e32 v65, 19, v66
	s_waitcnt lgkmcnt(0)
	v_add_nc_u16 v67, v103, 1
	v_lshrrev_b32_e32 v66, 30, v66
	s_delay_alu instid0(VALU_DEP_3) | instskip(SKIP_3) | instid1(VALU_DEP_1)
	v_and_or_b32 v65, 0xe00, v65, v0
	ds_store_b16 v93, v67
	ds_load_u16 v105, v94
	v_and_b32_e32 v66, 2, v66
	v_lshl_or_b32 v99, v65, 2, v66
	v_lshlrev_b64 v[65:66], s8, v[29:30]
	s_delay_alu instid0(VALU_DEP_1) | instskip(SKIP_1) | instid1(VALU_DEP_2)
	v_lshrrev_b32_e32 v65, 19, v66
	v_lshrrev_b32_e32 v66, 30, v66
	v_and_or_b32 v65, 0xe00, v65, v0
	s_delay_alu instid0(VALU_DEP_2) | instskip(SKIP_2) | instid1(VALU_DEP_2)
	v_and_b32_e32 v66, 2, v66
	s_waitcnt lgkmcnt(0)
	v_add_nc_u16 v67, v105, 1
	v_lshl_or_b32 v101, v65, 2, v66
	ds_store_b16 v94, v67
	ds_load_u16 v107, v95
	v_lshlrev_b64 v[65:66], s8, v[31:32]
	s_delay_alu instid0(VALU_DEP_1) | instskip(SKIP_1) | instid1(VALU_DEP_2)
	v_lshrrev_b32_e32 v65, 19, v66
	v_lshrrev_b32_e32 v66, 30, v66
	v_and_or_b32 v65, 0xe00, v65, v0
	s_delay_alu instid0(VALU_DEP_2) | instskip(NEXT) | instid1(VALU_DEP_1)
	v_and_b32_e32 v66, 2, v66
	v_lshl_or_b32 v104, v65, 2, v66
	v_lshlrev_b64 v[65:66], s8, v[33:34]
	s_waitcnt lgkmcnt(0)
	v_add_nc_u16 v67, v107, 1
	;; [unrolled: 43-line block ×5, first 2 shown]
	ds_store_b16 v110, v67
	ds_load_u16 v127, v112
	v_lshrrev_b32_e32 v65, 19, v66
	v_lshrrev_b32_e32 v66, 30, v66
	s_delay_alu instid0(VALU_DEP_2) | instskip(NEXT) | instid1(VALU_DEP_2)
	v_and_or_b32 v65, 0xe00, v65, v0
	v_and_b32_e32 v66, 2, v66
	s_delay_alu instid0(VALU_DEP_1) | instskip(SKIP_1) | instid1(VALU_DEP_1)
	v_lshl_or_b32 v128, v65, 2, v66
	v_lshlrev_b64 v[65:66], s8, v[59:60]
	v_lshrrev_b32_e32 v65, 19, v66
	s_waitcnt lgkmcnt(0)
	v_add_nc_u16 v67, v127, 1
	v_lshrrev_b32_e32 v66, 30, v66
	s_delay_alu instid0(VALU_DEP_3) | instskip(SKIP_3) | instid1(VALU_DEP_1)
	v_and_or_b32 v65, 0xe00, v65, v0
	ds_store_b16 v112, v67
	ds_load_u16 v129, v115
	v_and_b32_e32 v66, 2, v66
	v_lshl_or_b32 v131, v65, 2, v66
	v_lshlrev_b64 v[65:66], s8, v[61:62]
	s_delay_alu instid0(VALU_DEP_1) | instskip(SKIP_1) | instid1(VALU_DEP_2)
	v_lshrrev_b32_e32 v65, 19, v66
	v_lshrrev_b32_e32 v66, 30, v66
	v_and_or_b32 v65, 0xe00, v65, v0
	s_delay_alu instid0(VALU_DEP_2) | instskip(SKIP_2) | instid1(VALU_DEP_2)
	v_and_b32_e32 v66, 2, v66
	s_waitcnt lgkmcnt(0)
	v_add_nc_u16 v67, v129, 1
	v_lshl_or_b32 v133, v65, 2, v66
	ds_store_b16 v115, v67
	ds_load_u16 v130, v117
	v_lshlrev_b64 v[65:66], s8, v[63:64]
	s_delay_alu instid0(VALU_DEP_1) | instskip(SKIP_1) | instid1(VALU_DEP_2)
	v_lshrrev_b32_e32 v65, 19, v66
	v_lshrrev_b32_e32 v66, 30, v66
	v_and_or_b32 v65, 0xe00, v65, v0
	s_delay_alu instid0(VALU_DEP_2) | instskip(NEXT) | instid1(VALU_DEP_1)
	v_and_b32_e32 v66, 2, v66
	v_lshl_or_b32 v135, v65, 2, v66
	s_waitcnt lgkmcnt(0)
	v_add_nc_u16 v67, v130, 1
	ds_store_b16 v117, v67
	ds_load_u16 v132, v120
	s_waitcnt lgkmcnt(0)
	v_add_nc_u16 v67, v132, 1
	ds_store_b16 v120, v67
	ds_load_u16 v134, v118
	;; [unrolled: 4-line block ×9, first 2 shown]
	s_waitcnt lgkmcnt(0)
	v_add_nc_u16 v65, v142, 1
	ds_store_b16 v135, v65
	s_waitcnt lgkmcnt(0)
	s_barrier
	buffer_gl0_inv
	ds_load_2addr_b32 v[67:68], v73 offset1:1
	ds_load_2addr_b32 v[69:70], v73 offset0:2 offset1:3
	ds_load_2addr_b32 v[71:72], v73 offset0:4 offset1:5
	;; [unrolled: 1-line block ×3, first 2 shown]
	s_waitcnt lgkmcnt(3)
	v_add_nc_u32_e32 v143, v68, v67
	s_waitcnt lgkmcnt(2)
	s_delay_alu instid0(VALU_DEP_1) | instskip(SKIP_1) | instid1(VALU_DEP_1)
	v_add3_u32 v143, v143, v69, v70
	s_waitcnt lgkmcnt(1)
	v_add3_u32 v143, v143, v71, v72
	s_waitcnt lgkmcnt(0)
	s_delay_alu instid0(VALU_DEP_1) | instskip(NEXT) | instid1(VALU_DEP_1)
	v_add3_u32 v66, v143, v65, v66
	v_mov_b32_dpp v143, v66 row_shr:1 row_mask:0xf bank_mask:0xf
	s_delay_alu instid0(VALU_DEP_1) | instskip(NEXT) | instid1(VALU_DEP_1)
	v_cndmask_b32_e64 v143, v143, 0, s2
	v_add_nc_u32_e32 v66, v143, v66
	s_delay_alu instid0(VALU_DEP_1) | instskip(NEXT) | instid1(VALU_DEP_1)
	v_mov_b32_dpp v143, v66 row_shr:2 row_mask:0xf bank_mask:0xf
	v_cndmask_b32_e64 v143, 0, v143, s3
	s_delay_alu instid0(VALU_DEP_1) | instskip(NEXT) | instid1(VALU_DEP_1)
	v_add_nc_u32_e32 v66, v66, v143
	v_mov_b32_dpp v143, v66 row_shr:4 row_mask:0xf bank_mask:0xf
	s_delay_alu instid0(VALU_DEP_1) | instskip(NEXT) | instid1(VALU_DEP_1)
	v_cndmask_b32_e64 v143, 0, v143, s4
	v_add_nc_u32_e32 v66, v66, v143
	s_delay_alu instid0(VALU_DEP_1) | instskip(NEXT) | instid1(VALU_DEP_1)
	v_mov_b32_dpp v143, v66 row_shr:8 row_mask:0xf bank_mask:0xf
	v_cndmask_b32_e64 v143, 0, v143, s5
	s_delay_alu instid0(VALU_DEP_1) | instskip(SKIP_3) | instid1(VALU_DEP_1)
	v_add_nc_u32_e32 v66, v66, v143
	ds_swizzle_b32 v143, v66 offset:swizzle(BROADCAST,32,15)
	s_waitcnt lgkmcnt(0)
	v_cndmask_b32_e64 v143, v143, 0, s6
	v_add_nc_u32_e32 v66, v66, v143
	s_and_saveexec_b32 s8, s7
	s_cbranch_execz .LBB133_8
; %bb.7:                                ;   in Loop: Header=BB133_4 Depth=2
	ds_store_b32 v76, v66 offset:16384
.LBB133_8:                              ;   in Loop: Header=BB133_4 Depth=2
	s_or_b32 exec_lo, exec_lo, s8
	s_waitcnt lgkmcnt(0)
	s_barrier
	buffer_gl0_inv
	s_and_saveexec_b32 s8, vcc_lo
	s_cbranch_execz .LBB133_10
; %bb.9:                                ;   in Loop: Header=BB133_4 Depth=2
	ds_load_b32 v143, v75 offset:16384
	s_waitcnt lgkmcnt(0)
	v_mov_b32_dpp v144, v143 row_shr:1 row_mask:0xf bank_mask:0xf
	s_delay_alu instid0(VALU_DEP_1) | instskip(NEXT) | instid1(VALU_DEP_1)
	v_cndmask_b32_e64 v144, v144, 0, s2
	v_add_nc_u32_e32 v143, v144, v143
	s_delay_alu instid0(VALU_DEP_1) | instskip(NEXT) | instid1(VALU_DEP_1)
	v_mov_b32_dpp v144, v143 row_shr:2 row_mask:0xf bank_mask:0xf
	v_cndmask_b32_e64 v144, 0, v144, s3
	s_delay_alu instid0(VALU_DEP_1) | instskip(NEXT) | instid1(VALU_DEP_1)
	v_add_nc_u32_e32 v143, v143, v144
	v_mov_b32_dpp v144, v143 row_shr:4 row_mask:0xf bank_mask:0xf
	s_delay_alu instid0(VALU_DEP_1) | instskip(NEXT) | instid1(VALU_DEP_1)
	v_cndmask_b32_e64 v144, 0, v144, s4
	v_add_nc_u32_e32 v143, v143, v144
	s_delay_alu instid0(VALU_DEP_1) | instskip(NEXT) | instid1(VALU_DEP_1)
	v_mov_b32_dpp v144, v143 row_shr:8 row_mask:0xf bank_mask:0xf
	v_cndmask_b32_e64 v144, 0, v144, s5
	s_delay_alu instid0(VALU_DEP_1)
	v_add_nc_u32_e32 v143, v143, v144
	ds_store_b32 v75, v143 offset:16384
.LBB133_10:                             ;   in Loop: Header=BB133_4 Depth=2
	s_or_b32 exec_lo, exec_lo, s8
	v_mov_b32_e32 v143, 0
	s_waitcnt lgkmcnt(0)
	s_barrier
	buffer_gl0_inv
	s_and_saveexec_b32 s8, s0
	s_cbranch_execz .LBB133_3
; %bb.11:                               ;   in Loop: Header=BB133_4 Depth=2
	ds_load_b32 v143, v76 offset:16380
	s_branch .LBB133_3
.LBB133_12:
	ds_load_u16 v32, v92
	ds_load_u16 v33, v90
	;; [unrolled: 1-line block ×32, first 2 shown]
	v_and_b32_e32 v0, 0xffff, v81
	v_and_b32_e32 v1, 0xffff, v82
	;; [unrolled: 1-line block ×32, first 2 shown]
	s_waitcnt lgkmcnt(24)
	v_add_nc_u32_e32 v0, v39, v0
	v_add_nc_u32_e32 v1, v38, v1
	;; [unrolled: 1-line block ×5, first 2 shown]
	s_lshl_b64 s[0:1], s[12:13], 2
	v_lshlrev_b32_e32 v32, 2, v73
	v_add_nc_u32_e32 v4, v35, v4
	v_add_nc_u32_e32 v5, v34, v5
	;; [unrolled: 1-line block ×3, first 2 shown]
	s_waitcnt lgkmcnt(16)
	v_add_nc_u32_e32 v8, v47, v8
	v_add_nc_u32_e32 v9, v46, v9
	;; [unrolled: 1-line block ×4, first 2 shown]
	s_add_u32 s0, s10, s0
	v_add_nc_u32_e32 v12, v43, v12
	v_add_nc_u32_e32 v13, v42, v13
	;; [unrolled: 1-line block ×4, first 2 shown]
	s_addc_u32 s1, s11, s1
	s_waitcnt lgkmcnt(8)
	v_add_nc_u32_e32 v16, v55, v16
	v_add_nc_u32_e32 v17, v54, v17
	;; [unrolled: 1-line block ×8, first 2 shown]
	s_waitcnt lgkmcnt(0)
	v_add_nc_u32_e32 v24, v63, v24
	v_add_nc_u32_e32 v25, v62, v25
	;; [unrolled: 1-line block ×8, first 2 shown]
	s_clause 0x7
	global_store_b128 v32, v[0:3], s[0:1]
	global_store_b128 v32, v[4:7], s[0:1] offset:16
	global_store_b128 v32, v[8:11], s[0:1] offset:32
	;; [unrolled: 1-line block ×7, first 2 shown]
	s_nop 0
	s_sendmsg sendmsg(MSG_DEALLOC_VGPRS)
	s_endpgm
	.section	.rodata,"a",@progbits
	.p2align	6, 0x0
	.amdhsa_kernel _Z11rank_kernelIxLj4ELb0EL18RadixRankAlgorithm1ELj512ELj32ELj10EEvPKT_Pi
		.amdhsa_group_segment_fixed_size 16448
		.amdhsa_private_segment_fixed_size 0
		.amdhsa_kernarg_size 16
		.amdhsa_user_sgpr_count 15
		.amdhsa_user_sgpr_dispatch_ptr 0
		.amdhsa_user_sgpr_queue_ptr 0
		.amdhsa_user_sgpr_kernarg_segment_ptr 1
		.amdhsa_user_sgpr_dispatch_id 0
		.amdhsa_user_sgpr_private_segment_size 0
		.amdhsa_wavefront_size32 1
		.amdhsa_uses_dynamic_stack 0
		.amdhsa_enable_private_segment 0
		.amdhsa_system_sgpr_workgroup_id_x 1
		.amdhsa_system_sgpr_workgroup_id_y 0
		.amdhsa_system_sgpr_workgroup_id_z 0
		.amdhsa_system_sgpr_workgroup_info 0
		.amdhsa_system_vgpr_workitem_id 0
		.amdhsa_next_free_vgpr 145
		.amdhsa_next_free_sgpr 16
		.amdhsa_reserve_vcc 1
		.amdhsa_float_round_mode_32 0
		.amdhsa_float_round_mode_16_64 0
		.amdhsa_float_denorm_mode_32 3
		.amdhsa_float_denorm_mode_16_64 3
		.amdhsa_dx10_clamp 1
		.amdhsa_ieee_mode 1
		.amdhsa_fp16_overflow 0
		.amdhsa_workgroup_processor_mode 1
		.amdhsa_memory_ordered 1
		.amdhsa_forward_progress 0
		.amdhsa_shared_vgpr_count 0
		.amdhsa_exception_fp_ieee_invalid_op 0
		.amdhsa_exception_fp_denorm_src 0
		.amdhsa_exception_fp_ieee_div_zero 0
		.amdhsa_exception_fp_ieee_overflow 0
		.amdhsa_exception_fp_ieee_underflow 0
		.amdhsa_exception_fp_ieee_inexact 0
		.amdhsa_exception_int_div_zero 0
	.end_amdhsa_kernel
	.section	.text._Z11rank_kernelIxLj4ELb0EL18RadixRankAlgorithm1ELj512ELj32ELj10EEvPKT_Pi,"axG",@progbits,_Z11rank_kernelIxLj4ELb0EL18RadixRankAlgorithm1ELj512ELj32ELj10EEvPKT_Pi,comdat
.Lfunc_end133:
	.size	_Z11rank_kernelIxLj4ELb0EL18RadixRankAlgorithm1ELj512ELj32ELj10EEvPKT_Pi, .Lfunc_end133-_Z11rank_kernelIxLj4ELb0EL18RadixRankAlgorithm1ELj512ELj32ELj10EEvPKT_Pi
                                        ; -- End function
	.section	.AMDGPU.csdata,"",@progbits
; Kernel info:
; codeLenInByte = 4488
; NumSgprs: 18
; NumVgprs: 145
; ScratchSize: 0
; MemoryBound: 1
; FloatMode: 240
; IeeeMode: 1
; LDSByteSize: 16448 bytes/workgroup (compile time only)
; SGPRBlocks: 2
; VGPRBlocks: 18
; NumSGPRsForWavesPerEU: 18
; NumVGPRsForWavesPerEU: 145
; Occupancy: 9
; WaveLimiterHint : 0
; COMPUTE_PGM_RSRC2:SCRATCH_EN: 0
; COMPUTE_PGM_RSRC2:USER_SGPR: 15
; COMPUTE_PGM_RSRC2:TRAP_HANDLER: 0
; COMPUTE_PGM_RSRC2:TGID_X_EN: 1
; COMPUTE_PGM_RSRC2:TGID_Y_EN: 0
; COMPUTE_PGM_RSRC2:TGID_Z_EN: 0
; COMPUTE_PGM_RSRC2:TIDIG_COMP_CNT: 0
	.section	.text._Z11rank_kernelIxLj4ELb0EL18RadixRankAlgorithm2ELj512ELj32ELj10EEvPKT_Pi,"axG",@progbits,_Z11rank_kernelIxLj4ELb0EL18RadixRankAlgorithm2ELj512ELj32ELj10EEvPKT_Pi,comdat
	.protected	_Z11rank_kernelIxLj4ELb0EL18RadixRankAlgorithm2ELj512ELj32ELj10EEvPKT_Pi ; -- Begin function _Z11rank_kernelIxLj4ELb0EL18RadixRankAlgorithm2ELj512ELj32ELj10EEvPKT_Pi
	.globl	_Z11rank_kernelIxLj4ELb0EL18RadixRankAlgorithm2ELj512ELj32ELj10EEvPKT_Pi
	.p2align	8
	.type	_Z11rank_kernelIxLj4ELb0EL18RadixRankAlgorithm2ELj512ELj32ELj10EEvPKT_Pi,@function
_Z11rank_kernelIxLj4ELb0EL18RadixRankAlgorithm2ELj512ELj32ELj10EEvPKT_Pi: ; @_Z11rank_kernelIxLj4ELb0EL18RadixRankAlgorithm2ELj512ELj32ELj10EEvPKT_Pi
; %bb.0:
	s_clause 0x1
	s_load_b128 s[8:11], s[0:1], 0x0
	s_load_b32 s5, s[0:1], 0x1c
	v_and_b32_e32 v67, 0x3ff, v0
	s_mov_b32 s13, 0
	s_lshl_b32 s12, s15, 14
	v_mbcnt_lo_u32_b32 v68, -1, 0
	s_lshl_b64 s[2:3], s[12:13], 3
	v_lshlrev_b32_e32 v61, 8, v67
	v_bfe_u32 v69, v0, 10, 10
	v_bfe_u32 v70, v0, 20, 10
	v_and_b32_e32 v71, 15, v68
	v_add_nc_u32_e32 v73, -1, v68
	v_dual_mov_b32 v65, 0 :: v_dual_and_b32 v72, 16, v68
	v_cmp_eq_u32_e32 vcc_lo, 0, v68
	v_lshlrev_b32_e32 v0, 5, v67
	v_lshlrev_b32_e32 v66, 2, v67
	v_cmp_lt_u32_e64 s6, 31, v67
	s_mov_b32 s16, s13
	s_waitcnt lgkmcnt(0)
	s_add_u32 s0, s8, s2
	s_addc_u32 s1, s9, s3
	s_lshr_b32 s4, s5, 16
	s_clause 0xf
	global_load_b128 v[1:4], v61, s[0:1]
	global_load_b128 v[5:8], v61, s[0:1] offset:16
	global_load_b128 v[9:12], v61, s[0:1] offset:32
	;; [unrolled: 1-line block ×15, first 2 shown]
	v_cmp_eq_u32_e64 s0, 0, v71
	v_cmp_lt_u32_e64 s1, 1, v71
	v_cmp_lt_u32_e64 s2, 3, v71
	;; [unrolled: 1-line block ×3, first 2 shown]
	v_mad_u32_u24 v71, v70, s4, v69
	s_and_b32 s5, s5, 0xffff
	v_cmp_eq_u32_e64 s4, 0, v72
	v_or_b32_e32 v72, 31, v67
	s_delay_alu instid0(VALU_DEP_3) | instskip(SKIP_2) | instid1(VALU_DEP_4)
	v_mad_u64_u32 v[69:70], null, v71, s5, v[67:68]
	v_cmp_gt_i32_e64 s5, 0, v73
	v_lshrrev_b32_e32 v70, 3, v67
	v_cmp_eq_u32_e64 s7, v72, v67
	s_delay_alu instid0(VALU_DEP_3) | instskip(SKIP_2) | instid1(VALU_DEP_3)
	v_cndmask_b32_e64 v68, v73, v68, s5
	v_cmp_gt_u32_e64 s5, 16, v67
	v_lshrrev_b32_e32 v69, 5, v69
	v_lshlrev_b32_e32 v67, 2, v68
	v_and_b32_e32 v68, 60, v70
	s_delay_alu instid0(VALU_DEP_1)
	v_add_nc_u32_e32 v70, -4, v68
	s_waitcnt vmcnt(15)
	v_xor_b32_e32 v2, 0x80000000, v2
	v_xor_b32_e32 v4, 0x80000000, v4
	s_waitcnt vmcnt(14)
	v_xor_b32_e32 v6, 0x80000000, v6
	v_xor_b32_e32 v8, 0x80000000, v8
	;; [unrolled: 3-line block ×16, first 2 shown]
	s_branch .LBB134_2
.LBB134_1:                              ;   in Loop: Header=BB134_2 Depth=1
	s_add_i32 s16, s16, 1
	s_delay_alu instid0(SALU_CYCLE_1)
	s_cmp_eq_u32 s16, 10
	s_cbranch_scc1 .LBB134_74
.LBB134_2:                              ; =>This Loop Header: Depth=1
                                        ;     Child Loop BB134_4 Depth 2
	s_mov_b64 s[14:15], 60
	s_mov_b32 s17, -4
	s_branch .LBB134_4
.LBB134_3:                              ;   in Loop: Header=BB134_4 Depth=2
	s_or_b32 exec_lo, exec_lo, s8
	s_waitcnt lgkmcnt(0)
	v_add_nc_u32_e32 v166, v167, v166
	s_add_i32 s17, s17, 4
	s_add_u32 s14, s14, -4
	s_addc_u32 s15, s15, -1
	s_cmp_lt_u32 s17, 60
	ds_bpermute_b32 v166, v67, v166
	s_waitcnt lgkmcnt(0)
	v_cndmask_b32_e32 v166, v166, v167, vcc_lo
	ds_store_b32 v66, v166 offset:64
	s_waitcnt lgkmcnt(0)
	s_barrier
	buffer_gl0_inv
	s_cbranch_scc0 .LBB134_1
.LBB134_4:                              ;   Parent Loop BB134_2 Depth=1
                                        ; =>  This Inner Loop Header: Depth=2
	v_lshlrev_b64 v[71:72], s14, v[1:2]
	ds_store_b32 v66, v65 offset:64
	s_waitcnt lgkmcnt(0)
	s_barrier
	buffer_gl0_inv
	v_bfe_u32 v71, v72, 28, 1
	v_lshrrev_b32_e32 v74, 28, v72
	v_and_b32_e32 v72, 0xf0000000, v72
	; wave barrier
	s_delay_alu instid0(VALU_DEP_3) | instskip(NEXT) | instid1(VALU_DEP_1)
	v_add_co_u32 v71, s8, v71, -1
	v_cndmask_b32_e64 v73, 0, 1, s8
	s_delay_alu instid0(VALU_DEP_4) | instskip(SKIP_2) | instid1(VALU_DEP_4)
	v_lshlrev_b32_e32 v75, 30, v74
	v_lshlrev_b32_e32 v76, 29, v74
	v_not_b32_e32 v77, v72
	v_cmp_ne_u32_e64 s8, 0, v73
	s_delay_alu instid0(VALU_DEP_4) | instskip(SKIP_2) | instid1(VALU_DEP_4)
	v_not_b32_e32 v73, v75
	v_cmp_gt_i32_e64 s9, 0, v75
	v_not_b32_e32 v75, v76
	v_xor_b32_e32 v71, s8, v71
	s_delay_alu instid0(VALU_DEP_4) | instskip(SKIP_1) | instid1(VALU_DEP_4)
	v_ashrrev_i32_e32 v73, 31, v73
	v_cmp_gt_i32_e64 s8, 0, v76
	v_ashrrev_i32_e32 v75, 31, v75
	s_delay_alu instid0(VALU_DEP_4) | instskip(NEXT) | instid1(VALU_DEP_4)
	v_and_b32_e32 v71, exec_lo, v71
	v_xor_b32_e32 v73, s9, v73
	v_cmp_gt_i32_e64 s9, 0, v72
	v_ashrrev_i32_e32 v72, 31, v77
	v_xor_b32_e32 v75, s8, v75
	s_delay_alu instid0(VALU_DEP_4) | instskip(NEXT) | instid1(VALU_DEP_3)
	v_and_b32_e32 v71, v71, v73
	v_xor_b32_e32 v72, s9, v72
	s_delay_alu instid0(VALU_DEP_2) | instskip(NEXT) | instid1(VALU_DEP_1)
	v_and_b32_e32 v71, v71, v75
	v_and_b32_e32 v73, v71, v72
	v_mad_u32_u24 v72, v74, 17, v69
	s_delay_alu instid0(VALU_DEP_2) | instskip(SKIP_1) | instid1(VALU_DEP_3)
	v_mbcnt_lo_u32_b32 v71, v73, 0
	v_cmp_ne_u32_e64 s9, 0, v73
	v_lshl_add_u32 v72, v72, 2, 64
	s_delay_alu instid0(VALU_DEP_3) | instskip(NEXT) | instid1(VALU_DEP_1)
	v_cmp_eq_u32_e64 s8, 0, v71
	s_and_b32 s9, s8, s9
	s_delay_alu instid0(SALU_CYCLE_1)
	s_and_saveexec_b32 s8, s9
	s_cbranch_execz .LBB134_6
; %bb.5:                                ;   in Loop: Header=BB134_4 Depth=2
	v_bcnt_u32_b32 v73, v73, 0
	ds_store_b32 v72, v73
.LBB134_6:                              ;   in Loop: Header=BB134_4 Depth=2
	s_or_b32 exec_lo, exec_lo, s8
	v_lshlrev_b64 v[73:74], s14, v[3:4]
	; wave barrier
	s_delay_alu instid0(VALU_DEP_1) | instskip(SKIP_2) | instid1(VALU_DEP_3)
	v_bfe_u32 v73, v74, 28, 1
	v_lshrrev_b32_e32 v75, 28, v74
	v_and_b32_e32 v74, 0xf0000000, v74
	v_add_co_u32 v73, s8, v73, -1
	s_delay_alu instid0(VALU_DEP_1) | instskip(NEXT) | instid1(VALU_DEP_4)
	v_cndmask_b32_e64 v76, 0, 1, s8
	v_lshlrev_b32_e32 v77, 30, v75
	v_lshlrev_b32_e32 v78, 29, v75
	v_not_b32_e32 v79, v74
	v_mul_u32_u24_e32 v75, 17, v75
	v_cmp_ne_u32_e64 s8, 0, v76
	v_not_b32_e32 v76, v77
	v_cmp_gt_i32_e64 s9, 0, v77
	v_not_b32_e32 v77, v78
	v_add_lshl_u32 v75, v75, v69, 2
	v_xor_b32_e32 v73, s8, v73
	v_ashrrev_i32_e32 v76, 31, v76
	v_cmp_gt_i32_e64 s8, 0, v78
	v_ashrrev_i32_e32 v77, 31, v77
	s_delay_alu instid0(VALU_DEP_4) | instskip(NEXT) | instid1(VALU_DEP_4)
	v_and_b32_e32 v73, exec_lo, v73
	v_xor_b32_e32 v76, s9, v76
	v_cmp_gt_i32_e64 s9, 0, v74
	v_ashrrev_i32_e32 v74, 31, v79
	v_xor_b32_e32 v77, s8, v77
	s_delay_alu instid0(VALU_DEP_4) | instskip(NEXT) | instid1(VALU_DEP_3)
	v_and_b32_e32 v73, v73, v76
	v_xor_b32_e32 v74, s9, v74
	s_delay_alu instid0(VALU_DEP_2) | instskip(SKIP_3) | instid1(VALU_DEP_1)
	v_and_b32_e32 v76, v73, v77
	ds_load_b32 v73, v75 offset:64
	v_add_nc_u32_e32 v75, 64, v75
	; wave barrier
	v_and_b32_e32 v76, v76, v74
	v_mbcnt_lo_u32_b32 v74, v76, 0
	v_cmp_ne_u32_e64 s9, 0, v76
	s_delay_alu instid0(VALU_DEP_2) | instskip(NEXT) | instid1(VALU_DEP_1)
	v_cmp_eq_u32_e64 s8, 0, v74
	s_and_b32 s9, s9, s8
	s_delay_alu instid0(SALU_CYCLE_1)
	s_and_saveexec_b32 s8, s9
	s_cbranch_execz .LBB134_8
; %bb.7:                                ;   in Loop: Header=BB134_4 Depth=2
	s_waitcnt lgkmcnt(0)
	v_bcnt_u32_b32 v76, v76, v73
	ds_store_b32 v75, v76
.LBB134_8:                              ;   in Loop: Header=BB134_4 Depth=2
	s_or_b32 exec_lo, exec_lo, s8
	v_lshlrev_b64 v[76:77], s14, v[5:6]
	; wave barrier
	s_delay_alu instid0(VALU_DEP_1) | instskip(SKIP_2) | instid1(VALU_DEP_3)
	v_bfe_u32 v76, v77, 28, 1
	v_lshrrev_b32_e32 v78, 28, v77
	v_and_b32_e32 v77, 0xf0000000, v77
	v_add_co_u32 v76, s8, v76, -1
	s_delay_alu instid0(VALU_DEP_1) | instskip(NEXT) | instid1(VALU_DEP_4)
	v_cndmask_b32_e64 v79, 0, 1, s8
	v_lshlrev_b32_e32 v80, 30, v78
	v_lshlrev_b32_e32 v81, 29, v78
	v_not_b32_e32 v82, v77
	v_mul_u32_u24_e32 v78, 17, v78
	v_cmp_ne_u32_e64 s8, 0, v79
	v_not_b32_e32 v79, v80
	v_cmp_gt_i32_e64 s9, 0, v80
	v_not_b32_e32 v80, v81
	v_add_lshl_u32 v78, v78, v69, 2
	v_xor_b32_e32 v76, s8, v76
	v_ashrrev_i32_e32 v79, 31, v79
	v_cmp_gt_i32_e64 s8, 0, v81
	v_ashrrev_i32_e32 v80, 31, v80
	s_delay_alu instid0(VALU_DEP_4) | instskip(NEXT) | instid1(VALU_DEP_4)
	v_and_b32_e32 v76, exec_lo, v76
	v_xor_b32_e32 v79, s9, v79
	v_cmp_gt_i32_e64 s9, 0, v77
	v_ashrrev_i32_e32 v77, 31, v82
	v_xor_b32_e32 v80, s8, v80
	s_delay_alu instid0(VALU_DEP_4) | instskip(NEXT) | instid1(VALU_DEP_3)
	v_and_b32_e32 v76, v76, v79
	v_xor_b32_e32 v77, s9, v77
	s_delay_alu instid0(VALU_DEP_2) | instskip(SKIP_3) | instid1(VALU_DEP_1)
	v_and_b32_e32 v79, v76, v80
	ds_load_b32 v76, v78 offset:64
	v_add_nc_u32_e32 v78, 64, v78
	; wave barrier
	v_and_b32_e32 v79, v79, v77
	v_mbcnt_lo_u32_b32 v77, v79, 0
	v_cmp_ne_u32_e64 s9, 0, v79
	s_delay_alu instid0(VALU_DEP_2) | instskip(NEXT) | instid1(VALU_DEP_1)
	v_cmp_eq_u32_e64 s8, 0, v77
	s_and_b32 s9, s9, s8
	s_delay_alu instid0(SALU_CYCLE_1)
	s_and_saveexec_b32 s8, s9
	s_cbranch_execz .LBB134_10
; %bb.9:                                ;   in Loop: Header=BB134_4 Depth=2
	s_waitcnt lgkmcnt(0)
	v_bcnt_u32_b32 v79, v79, v76
	ds_store_b32 v78, v79
.LBB134_10:                             ;   in Loop: Header=BB134_4 Depth=2
	s_or_b32 exec_lo, exec_lo, s8
	v_lshlrev_b64 v[79:80], s14, v[7:8]
	; wave barrier
	s_delay_alu instid0(VALU_DEP_1) | instskip(SKIP_2) | instid1(VALU_DEP_3)
	v_bfe_u32 v79, v80, 28, 1
	v_lshrrev_b32_e32 v81, 28, v80
	v_and_b32_e32 v80, 0xf0000000, v80
	v_add_co_u32 v79, s8, v79, -1
	s_delay_alu instid0(VALU_DEP_1) | instskip(NEXT) | instid1(VALU_DEP_4)
	v_cndmask_b32_e64 v82, 0, 1, s8
	v_lshlrev_b32_e32 v83, 30, v81
	v_lshlrev_b32_e32 v84, 29, v81
	v_not_b32_e32 v85, v80
	v_mul_u32_u24_e32 v81, 17, v81
	v_cmp_ne_u32_e64 s8, 0, v82
	v_not_b32_e32 v82, v83
	v_cmp_gt_i32_e64 s9, 0, v83
	v_not_b32_e32 v83, v84
	v_add_lshl_u32 v81, v81, v69, 2
	v_xor_b32_e32 v79, s8, v79
	v_ashrrev_i32_e32 v82, 31, v82
	v_cmp_gt_i32_e64 s8, 0, v84
	v_ashrrev_i32_e32 v83, 31, v83
	s_delay_alu instid0(VALU_DEP_4) | instskip(NEXT) | instid1(VALU_DEP_4)
	v_and_b32_e32 v79, exec_lo, v79
	v_xor_b32_e32 v82, s9, v82
	v_cmp_gt_i32_e64 s9, 0, v80
	v_ashrrev_i32_e32 v80, 31, v85
	v_xor_b32_e32 v83, s8, v83
	s_delay_alu instid0(VALU_DEP_4) | instskip(NEXT) | instid1(VALU_DEP_3)
	v_and_b32_e32 v79, v79, v82
	v_xor_b32_e32 v80, s9, v80
	s_delay_alu instid0(VALU_DEP_2) | instskip(SKIP_3) | instid1(VALU_DEP_1)
	v_and_b32_e32 v82, v79, v83
	ds_load_b32 v79, v81 offset:64
	v_add_nc_u32_e32 v81, 64, v81
	; wave barrier
	v_and_b32_e32 v82, v82, v80
	v_mbcnt_lo_u32_b32 v80, v82, 0
	v_cmp_ne_u32_e64 s9, 0, v82
	s_delay_alu instid0(VALU_DEP_2) | instskip(NEXT) | instid1(VALU_DEP_1)
	v_cmp_eq_u32_e64 s8, 0, v80
	s_and_b32 s9, s9, s8
	s_delay_alu instid0(SALU_CYCLE_1)
	s_and_saveexec_b32 s8, s9
	s_cbranch_execz .LBB134_12
; %bb.11:                               ;   in Loop: Header=BB134_4 Depth=2
	s_waitcnt lgkmcnt(0)
	v_bcnt_u32_b32 v82, v82, v79
	ds_store_b32 v81, v82
.LBB134_12:                             ;   in Loop: Header=BB134_4 Depth=2
	s_or_b32 exec_lo, exec_lo, s8
	v_lshlrev_b64 v[82:83], s14, v[9:10]
	; wave barrier
	s_delay_alu instid0(VALU_DEP_1) | instskip(SKIP_2) | instid1(VALU_DEP_3)
	v_bfe_u32 v82, v83, 28, 1
	v_lshrrev_b32_e32 v84, 28, v83
	v_and_b32_e32 v83, 0xf0000000, v83
	v_add_co_u32 v82, s8, v82, -1
	s_delay_alu instid0(VALU_DEP_1) | instskip(NEXT) | instid1(VALU_DEP_4)
	v_cndmask_b32_e64 v85, 0, 1, s8
	v_lshlrev_b32_e32 v86, 30, v84
	v_lshlrev_b32_e32 v87, 29, v84
	v_not_b32_e32 v88, v83
	v_mul_u32_u24_e32 v84, 17, v84
	v_cmp_ne_u32_e64 s8, 0, v85
	v_not_b32_e32 v85, v86
	v_cmp_gt_i32_e64 s9, 0, v86
	v_not_b32_e32 v86, v87
	v_add_lshl_u32 v84, v84, v69, 2
	v_xor_b32_e32 v82, s8, v82
	v_ashrrev_i32_e32 v85, 31, v85
	v_cmp_gt_i32_e64 s8, 0, v87
	v_ashrrev_i32_e32 v86, 31, v86
	s_delay_alu instid0(VALU_DEP_4) | instskip(NEXT) | instid1(VALU_DEP_4)
	v_and_b32_e32 v82, exec_lo, v82
	v_xor_b32_e32 v85, s9, v85
	v_cmp_gt_i32_e64 s9, 0, v83
	v_ashrrev_i32_e32 v83, 31, v88
	v_xor_b32_e32 v86, s8, v86
	s_delay_alu instid0(VALU_DEP_4) | instskip(NEXT) | instid1(VALU_DEP_3)
	v_and_b32_e32 v82, v82, v85
	v_xor_b32_e32 v83, s9, v83
	s_delay_alu instid0(VALU_DEP_2) | instskip(SKIP_3) | instid1(VALU_DEP_1)
	v_and_b32_e32 v85, v82, v86
	ds_load_b32 v82, v84 offset:64
	v_add_nc_u32_e32 v84, 64, v84
	; wave barrier
	v_and_b32_e32 v85, v85, v83
	v_mbcnt_lo_u32_b32 v83, v85, 0
	v_cmp_ne_u32_e64 s9, 0, v85
	s_delay_alu instid0(VALU_DEP_2) | instskip(NEXT) | instid1(VALU_DEP_1)
	v_cmp_eq_u32_e64 s8, 0, v83
	s_and_b32 s9, s9, s8
	s_delay_alu instid0(SALU_CYCLE_1)
	s_and_saveexec_b32 s8, s9
	s_cbranch_execz .LBB134_14
; %bb.13:                               ;   in Loop: Header=BB134_4 Depth=2
	s_waitcnt lgkmcnt(0)
	v_bcnt_u32_b32 v85, v85, v82
	ds_store_b32 v84, v85
.LBB134_14:                             ;   in Loop: Header=BB134_4 Depth=2
	s_or_b32 exec_lo, exec_lo, s8
	v_lshlrev_b64 v[85:86], s14, v[11:12]
	; wave barrier
	s_delay_alu instid0(VALU_DEP_1) | instskip(SKIP_2) | instid1(VALU_DEP_3)
	v_bfe_u32 v85, v86, 28, 1
	v_lshrrev_b32_e32 v87, 28, v86
	v_and_b32_e32 v86, 0xf0000000, v86
	v_add_co_u32 v85, s8, v85, -1
	s_delay_alu instid0(VALU_DEP_1) | instskip(NEXT) | instid1(VALU_DEP_4)
	v_cndmask_b32_e64 v88, 0, 1, s8
	v_lshlrev_b32_e32 v89, 30, v87
	v_lshlrev_b32_e32 v90, 29, v87
	v_not_b32_e32 v91, v86
	v_mul_u32_u24_e32 v87, 17, v87
	v_cmp_ne_u32_e64 s8, 0, v88
	v_not_b32_e32 v88, v89
	v_cmp_gt_i32_e64 s9, 0, v89
	v_not_b32_e32 v89, v90
	v_add_lshl_u32 v87, v87, v69, 2
	v_xor_b32_e32 v85, s8, v85
	v_ashrrev_i32_e32 v88, 31, v88
	v_cmp_gt_i32_e64 s8, 0, v90
	v_ashrrev_i32_e32 v89, 31, v89
	s_delay_alu instid0(VALU_DEP_4) | instskip(NEXT) | instid1(VALU_DEP_4)
	v_and_b32_e32 v85, exec_lo, v85
	v_xor_b32_e32 v88, s9, v88
	v_cmp_gt_i32_e64 s9, 0, v86
	v_ashrrev_i32_e32 v86, 31, v91
	v_xor_b32_e32 v89, s8, v89
	s_delay_alu instid0(VALU_DEP_4) | instskip(NEXT) | instid1(VALU_DEP_3)
	v_and_b32_e32 v85, v85, v88
	v_xor_b32_e32 v86, s9, v86
	s_delay_alu instid0(VALU_DEP_2) | instskip(SKIP_3) | instid1(VALU_DEP_1)
	v_and_b32_e32 v88, v85, v89
	ds_load_b32 v85, v87 offset:64
	v_add_nc_u32_e32 v87, 64, v87
	; wave barrier
	v_and_b32_e32 v88, v88, v86
	v_mbcnt_lo_u32_b32 v86, v88, 0
	v_cmp_ne_u32_e64 s9, 0, v88
	s_delay_alu instid0(VALU_DEP_2) | instskip(NEXT) | instid1(VALU_DEP_1)
	v_cmp_eq_u32_e64 s8, 0, v86
	s_and_b32 s9, s9, s8
	s_delay_alu instid0(SALU_CYCLE_1)
	s_and_saveexec_b32 s8, s9
	s_cbranch_execz .LBB134_16
; %bb.15:                               ;   in Loop: Header=BB134_4 Depth=2
	s_waitcnt lgkmcnt(0)
	v_bcnt_u32_b32 v88, v88, v85
	ds_store_b32 v87, v88
.LBB134_16:                             ;   in Loop: Header=BB134_4 Depth=2
	s_or_b32 exec_lo, exec_lo, s8
	v_lshlrev_b64 v[88:89], s14, v[13:14]
	; wave barrier
	s_delay_alu instid0(VALU_DEP_1) | instskip(SKIP_2) | instid1(VALU_DEP_3)
	v_bfe_u32 v88, v89, 28, 1
	v_lshrrev_b32_e32 v90, 28, v89
	v_and_b32_e32 v89, 0xf0000000, v89
	v_add_co_u32 v88, s8, v88, -1
	s_delay_alu instid0(VALU_DEP_1) | instskip(NEXT) | instid1(VALU_DEP_4)
	v_cndmask_b32_e64 v91, 0, 1, s8
	v_lshlrev_b32_e32 v92, 30, v90
	v_lshlrev_b32_e32 v93, 29, v90
	v_not_b32_e32 v94, v89
	v_mul_u32_u24_e32 v90, 17, v90
	v_cmp_ne_u32_e64 s8, 0, v91
	v_not_b32_e32 v91, v92
	v_cmp_gt_i32_e64 s9, 0, v92
	v_not_b32_e32 v92, v93
	v_add_lshl_u32 v90, v90, v69, 2
	v_xor_b32_e32 v88, s8, v88
	v_ashrrev_i32_e32 v91, 31, v91
	v_cmp_gt_i32_e64 s8, 0, v93
	v_ashrrev_i32_e32 v92, 31, v92
	s_delay_alu instid0(VALU_DEP_4) | instskip(NEXT) | instid1(VALU_DEP_4)
	v_and_b32_e32 v88, exec_lo, v88
	v_xor_b32_e32 v91, s9, v91
	v_cmp_gt_i32_e64 s9, 0, v89
	v_ashrrev_i32_e32 v89, 31, v94
	v_xor_b32_e32 v92, s8, v92
	s_delay_alu instid0(VALU_DEP_4) | instskip(NEXT) | instid1(VALU_DEP_3)
	v_and_b32_e32 v88, v88, v91
	v_xor_b32_e32 v89, s9, v89
	s_delay_alu instid0(VALU_DEP_2) | instskip(SKIP_3) | instid1(VALU_DEP_1)
	v_and_b32_e32 v91, v88, v92
	ds_load_b32 v88, v90 offset:64
	v_add_nc_u32_e32 v90, 64, v90
	; wave barrier
	v_and_b32_e32 v91, v91, v89
	v_mbcnt_lo_u32_b32 v89, v91, 0
	v_cmp_ne_u32_e64 s9, 0, v91
	s_delay_alu instid0(VALU_DEP_2) | instskip(NEXT) | instid1(VALU_DEP_1)
	v_cmp_eq_u32_e64 s8, 0, v89
	s_and_b32 s9, s9, s8
	s_delay_alu instid0(SALU_CYCLE_1)
	s_and_saveexec_b32 s8, s9
	s_cbranch_execz .LBB134_18
; %bb.17:                               ;   in Loop: Header=BB134_4 Depth=2
	s_waitcnt lgkmcnt(0)
	v_bcnt_u32_b32 v91, v91, v88
	ds_store_b32 v90, v91
.LBB134_18:                             ;   in Loop: Header=BB134_4 Depth=2
	s_or_b32 exec_lo, exec_lo, s8
	v_lshlrev_b64 v[91:92], s14, v[15:16]
	; wave barrier
	s_delay_alu instid0(VALU_DEP_1) | instskip(SKIP_2) | instid1(VALU_DEP_3)
	v_bfe_u32 v91, v92, 28, 1
	v_lshrrev_b32_e32 v93, 28, v92
	v_and_b32_e32 v92, 0xf0000000, v92
	v_add_co_u32 v91, s8, v91, -1
	s_delay_alu instid0(VALU_DEP_1) | instskip(NEXT) | instid1(VALU_DEP_4)
	v_cndmask_b32_e64 v94, 0, 1, s8
	v_lshlrev_b32_e32 v95, 30, v93
	v_lshlrev_b32_e32 v96, 29, v93
	v_not_b32_e32 v97, v92
	v_mul_u32_u24_e32 v93, 17, v93
	v_cmp_ne_u32_e64 s8, 0, v94
	v_not_b32_e32 v94, v95
	v_cmp_gt_i32_e64 s9, 0, v95
	v_not_b32_e32 v95, v96
	v_add_lshl_u32 v93, v93, v69, 2
	v_xor_b32_e32 v91, s8, v91
	v_ashrrev_i32_e32 v94, 31, v94
	v_cmp_gt_i32_e64 s8, 0, v96
	v_ashrrev_i32_e32 v95, 31, v95
	s_delay_alu instid0(VALU_DEP_4) | instskip(NEXT) | instid1(VALU_DEP_4)
	v_and_b32_e32 v91, exec_lo, v91
	v_xor_b32_e32 v94, s9, v94
	v_cmp_gt_i32_e64 s9, 0, v92
	v_ashrrev_i32_e32 v92, 31, v97
	v_xor_b32_e32 v95, s8, v95
	s_delay_alu instid0(VALU_DEP_4) | instskip(NEXT) | instid1(VALU_DEP_3)
	v_and_b32_e32 v91, v91, v94
	v_xor_b32_e32 v92, s9, v92
	s_delay_alu instid0(VALU_DEP_2) | instskip(SKIP_3) | instid1(VALU_DEP_1)
	v_and_b32_e32 v94, v91, v95
	ds_load_b32 v91, v93 offset:64
	v_add_nc_u32_e32 v93, 64, v93
	; wave barrier
	v_and_b32_e32 v94, v94, v92
	v_mbcnt_lo_u32_b32 v92, v94, 0
	v_cmp_ne_u32_e64 s9, 0, v94
	s_delay_alu instid0(VALU_DEP_2) | instskip(NEXT) | instid1(VALU_DEP_1)
	v_cmp_eq_u32_e64 s8, 0, v92
	s_and_b32 s9, s9, s8
	s_delay_alu instid0(SALU_CYCLE_1)
	s_and_saveexec_b32 s8, s9
	s_cbranch_execz .LBB134_20
; %bb.19:                               ;   in Loop: Header=BB134_4 Depth=2
	s_waitcnt lgkmcnt(0)
	v_bcnt_u32_b32 v94, v94, v91
	ds_store_b32 v93, v94
.LBB134_20:                             ;   in Loop: Header=BB134_4 Depth=2
	s_or_b32 exec_lo, exec_lo, s8
	v_lshlrev_b64 v[94:95], s14, v[17:18]
	; wave barrier
	s_delay_alu instid0(VALU_DEP_1) | instskip(SKIP_2) | instid1(VALU_DEP_3)
	v_bfe_u32 v94, v95, 28, 1
	v_lshrrev_b32_e32 v96, 28, v95
	v_and_b32_e32 v95, 0xf0000000, v95
	v_add_co_u32 v94, s8, v94, -1
	s_delay_alu instid0(VALU_DEP_1) | instskip(NEXT) | instid1(VALU_DEP_4)
	v_cndmask_b32_e64 v97, 0, 1, s8
	v_lshlrev_b32_e32 v98, 30, v96
	v_lshlrev_b32_e32 v99, 29, v96
	v_not_b32_e32 v100, v95
	v_mul_u32_u24_e32 v96, 17, v96
	v_cmp_ne_u32_e64 s8, 0, v97
	v_not_b32_e32 v97, v98
	v_cmp_gt_i32_e64 s9, 0, v98
	v_not_b32_e32 v98, v99
	v_add_lshl_u32 v96, v96, v69, 2
	v_xor_b32_e32 v94, s8, v94
	v_ashrrev_i32_e32 v97, 31, v97
	v_cmp_gt_i32_e64 s8, 0, v99
	v_ashrrev_i32_e32 v98, 31, v98
	s_delay_alu instid0(VALU_DEP_4) | instskip(NEXT) | instid1(VALU_DEP_4)
	v_and_b32_e32 v94, exec_lo, v94
	v_xor_b32_e32 v97, s9, v97
	v_cmp_gt_i32_e64 s9, 0, v95
	v_ashrrev_i32_e32 v95, 31, v100
	v_xor_b32_e32 v98, s8, v98
	s_delay_alu instid0(VALU_DEP_4) | instskip(NEXT) | instid1(VALU_DEP_3)
	v_and_b32_e32 v94, v94, v97
	v_xor_b32_e32 v95, s9, v95
	s_delay_alu instid0(VALU_DEP_2) | instskip(SKIP_3) | instid1(VALU_DEP_1)
	v_and_b32_e32 v97, v94, v98
	ds_load_b32 v94, v96 offset:64
	v_add_nc_u32_e32 v96, 64, v96
	; wave barrier
	v_and_b32_e32 v97, v97, v95
	v_mbcnt_lo_u32_b32 v95, v97, 0
	v_cmp_ne_u32_e64 s9, 0, v97
	s_delay_alu instid0(VALU_DEP_2) | instskip(NEXT) | instid1(VALU_DEP_1)
	v_cmp_eq_u32_e64 s8, 0, v95
	s_and_b32 s9, s9, s8
	s_delay_alu instid0(SALU_CYCLE_1)
	s_and_saveexec_b32 s8, s9
	s_cbranch_execz .LBB134_22
; %bb.21:                               ;   in Loop: Header=BB134_4 Depth=2
	s_waitcnt lgkmcnt(0)
	v_bcnt_u32_b32 v97, v97, v94
	ds_store_b32 v96, v97
.LBB134_22:                             ;   in Loop: Header=BB134_4 Depth=2
	s_or_b32 exec_lo, exec_lo, s8
	v_lshlrev_b64 v[97:98], s14, v[19:20]
	; wave barrier
	s_delay_alu instid0(VALU_DEP_1) | instskip(SKIP_2) | instid1(VALU_DEP_3)
	v_bfe_u32 v97, v98, 28, 1
	v_lshrrev_b32_e32 v99, 28, v98
	v_and_b32_e32 v98, 0xf0000000, v98
	v_add_co_u32 v97, s8, v97, -1
	s_delay_alu instid0(VALU_DEP_1) | instskip(NEXT) | instid1(VALU_DEP_4)
	v_cndmask_b32_e64 v100, 0, 1, s8
	v_lshlrev_b32_e32 v101, 30, v99
	v_lshlrev_b32_e32 v102, 29, v99
	v_not_b32_e32 v103, v98
	v_mul_u32_u24_e32 v99, 17, v99
	v_cmp_ne_u32_e64 s8, 0, v100
	v_not_b32_e32 v100, v101
	v_cmp_gt_i32_e64 s9, 0, v101
	v_not_b32_e32 v101, v102
	v_add_lshl_u32 v99, v99, v69, 2
	v_xor_b32_e32 v97, s8, v97
	v_ashrrev_i32_e32 v100, 31, v100
	v_cmp_gt_i32_e64 s8, 0, v102
	v_ashrrev_i32_e32 v101, 31, v101
	s_delay_alu instid0(VALU_DEP_4) | instskip(NEXT) | instid1(VALU_DEP_4)
	v_and_b32_e32 v97, exec_lo, v97
	v_xor_b32_e32 v100, s9, v100
	v_cmp_gt_i32_e64 s9, 0, v98
	v_ashrrev_i32_e32 v98, 31, v103
	v_xor_b32_e32 v101, s8, v101
	s_delay_alu instid0(VALU_DEP_4) | instskip(NEXT) | instid1(VALU_DEP_3)
	v_and_b32_e32 v97, v97, v100
	v_xor_b32_e32 v98, s9, v98
	s_delay_alu instid0(VALU_DEP_2) | instskip(SKIP_3) | instid1(VALU_DEP_1)
	v_and_b32_e32 v100, v97, v101
	ds_load_b32 v97, v99 offset:64
	v_add_nc_u32_e32 v99, 64, v99
	; wave barrier
	v_and_b32_e32 v100, v100, v98
	v_mbcnt_lo_u32_b32 v98, v100, 0
	v_cmp_ne_u32_e64 s9, 0, v100
	s_delay_alu instid0(VALU_DEP_2) | instskip(NEXT) | instid1(VALU_DEP_1)
	v_cmp_eq_u32_e64 s8, 0, v98
	s_and_b32 s9, s9, s8
	s_delay_alu instid0(SALU_CYCLE_1)
	s_and_saveexec_b32 s8, s9
	s_cbranch_execz .LBB134_24
; %bb.23:                               ;   in Loop: Header=BB134_4 Depth=2
	s_waitcnt lgkmcnt(0)
	v_bcnt_u32_b32 v100, v100, v97
	ds_store_b32 v99, v100
.LBB134_24:                             ;   in Loop: Header=BB134_4 Depth=2
	s_or_b32 exec_lo, exec_lo, s8
	v_lshlrev_b64 v[100:101], s14, v[21:22]
	; wave barrier
	s_delay_alu instid0(VALU_DEP_1) | instskip(SKIP_2) | instid1(VALU_DEP_3)
	v_bfe_u32 v100, v101, 28, 1
	v_lshrrev_b32_e32 v102, 28, v101
	v_and_b32_e32 v101, 0xf0000000, v101
	v_add_co_u32 v100, s8, v100, -1
	s_delay_alu instid0(VALU_DEP_1) | instskip(NEXT) | instid1(VALU_DEP_4)
	v_cndmask_b32_e64 v103, 0, 1, s8
	v_lshlrev_b32_e32 v104, 30, v102
	v_lshlrev_b32_e32 v105, 29, v102
	v_not_b32_e32 v106, v101
	v_mul_u32_u24_e32 v102, 17, v102
	v_cmp_ne_u32_e64 s8, 0, v103
	v_not_b32_e32 v103, v104
	v_cmp_gt_i32_e64 s9, 0, v104
	v_not_b32_e32 v104, v105
	v_add_lshl_u32 v102, v102, v69, 2
	v_xor_b32_e32 v100, s8, v100
	v_ashrrev_i32_e32 v103, 31, v103
	v_cmp_gt_i32_e64 s8, 0, v105
	v_ashrrev_i32_e32 v104, 31, v104
	s_delay_alu instid0(VALU_DEP_4) | instskip(NEXT) | instid1(VALU_DEP_4)
	v_and_b32_e32 v100, exec_lo, v100
	v_xor_b32_e32 v103, s9, v103
	v_cmp_gt_i32_e64 s9, 0, v101
	v_ashrrev_i32_e32 v101, 31, v106
	v_xor_b32_e32 v104, s8, v104
	s_delay_alu instid0(VALU_DEP_4) | instskip(NEXT) | instid1(VALU_DEP_3)
	v_and_b32_e32 v100, v100, v103
	v_xor_b32_e32 v101, s9, v101
	s_delay_alu instid0(VALU_DEP_2) | instskip(SKIP_3) | instid1(VALU_DEP_1)
	v_and_b32_e32 v103, v100, v104
	ds_load_b32 v100, v102 offset:64
	v_add_nc_u32_e32 v102, 64, v102
	; wave barrier
	v_and_b32_e32 v103, v103, v101
	v_mbcnt_lo_u32_b32 v101, v103, 0
	v_cmp_ne_u32_e64 s9, 0, v103
	s_delay_alu instid0(VALU_DEP_2) | instskip(NEXT) | instid1(VALU_DEP_1)
	v_cmp_eq_u32_e64 s8, 0, v101
	s_and_b32 s9, s9, s8
	s_delay_alu instid0(SALU_CYCLE_1)
	s_and_saveexec_b32 s8, s9
	s_cbranch_execz .LBB134_26
; %bb.25:                               ;   in Loop: Header=BB134_4 Depth=2
	s_waitcnt lgkmcnt(0)
	v_bcnt_u32_b32 v103, v103, v100
	ds_store_b32 v102, v103
.LBB134_26:                             ;   in Loop: Header=BB134_4 Depth=2
	s_or_b32 exec_lo, exec_lo, s8
	v_lshlrev_b64 v[103:104], s14, v[23:24]
	; wave barrier
	s_delay_alu instid0(VALU_DEP_1) | instskip(SKIP_2) | instid1(VALU_DEP_3)
	v_bfe_u32 v103, v104, 28, 1
	v_lshrrev_b32_e32 v105, 28, v104
	v_and_b32_e32 v104, 0xf0000000, v104
	v_add_co_u32 v103, s8, v103, -1
	s_delay_alu instid0(VALU_DEP_1) | instskip(NEXT) | instid1(VALU_DEP_4)
	v_cndmask_b32_e64 v106, 0, 1, s8
	v_lshlrev_b32_e32 v107, 30, v105
	v_lshlrev_b32_e32 v108, 29, v105
	v_not_b32_e32 v109, v104
	v_mul_u32_u24_e32 v105, 17, v105
	v_cmp_ne_u32_e64 s8, 0, v106
	v_not_b32_e32 v106, v107
	v_cmp_gt_i32_e64 s9, 0, v107
	v_not_b32_e32 v107, v108
	v_add_lshl_u32 v105, v105, v69, 2
	v_xor_b32_e32 v103, s8, v103
	v_ashrrev_i32_e32 v106, 31, v106
	v_cmp_gt_i32_e64 s8, 0, v108
	v_ashrrev_i32_e32 v107, 31, v107
	s_delay_alu instid0(VALU_DEP_4) | instskip(NEXT) | instid1(VALU_DEP_4)
	v_and_b32_e32 v103, exec_lo, v103
	v_xor_b32_e32 v106, s9, v106
	v_cmp_gt_i32_e64 s9, 0, v104
	v_ashrrev_i32_e32 v104, 31, v109
	v_xor_b32_e32 v107, s8, v107
	s_delay_alu instid0(VALU_DEP_4) | instskip(NEXT) | instid1(VALU_DEP_3)
	v_and_b32_e32 v103, v103, v106
	v_xor_b32_e32 v104, s9, v104
	s_delay_alu instid0(VALU_DEP_2) | instskip(SKIP_3) | instid1(VALU_DEP_1)
	v_and_b32_e32 v106, v103, v107
	ds_load_b32 v103, v105 offset:64
	v_add_nc_u32_e32 v105, 64, v105
	; wave barrier
	v_and_b32_e32 v106, v106, v104
	v_mbcnt_lo_u32_b32 v104, v106, 0
	v_cmp_ne_u32_e64 s9, 0, v106
	s_delay_alu instid0(VALU_DEP_2) | instskip(NEXT) | instid1(VALU_DEP_1)
	v_cmp_eq_u32_e64 s8, 0, v104
	s_and_b32 s9, s9, s8
	s_delay_alu instid0(SALU_CYCLE_1)
	s_and_saveexec_b32 s8, s9
	s_cbranch_execz .LBB134_28
; %bb.27:                               ;   in Loop: Header=BB134_4 Depth=2
	s_waitcnt lgkmcnt(0)
	v_bcnt_u32_b32 v106, v106, v103
	ds_store_b32 v105, v106
.LBB134_28:                             ;   in Loop: Header=BB134_4 Depth=2
	s_or_b32 exec_lo, exec_lo, s8
	v_lshlrev_b64 v[106:107], s14, v[25:26]
	; wave barrier
	s_delay_alu instid0(VALU_DEP_1) | instskip(SKIP_2) | instid1(VALU_DEP_3)
	v_bfe_u32 v106, v107, 28, 1
	v_lshrrev_b32_e32 v108, 28, v107
	v_and_b32_e32 v107, 0xf0000000, v107
	v_add_co_u32 v106, s8, v106, -1
	s_delay_alu instid0(VALU_DEP_1) | instskip(NEXT) | instid1(VALU_DEP_4)
	v_cndmask_b32_e64 v109, 0, 1, s8
	v_lshlrev_b32_e32 v110, 30, v108
	v_lshlrev_b32_e32 v111, 29, v108
	v_not_b32_e32 v112, v107
	v_mul_u32_u24_e32 v108, 17, v108
	v_cmp_ne_u32_e64 s8, 0, v109
	v_not_b32_e32 v109, v110
	v_cmp_gt_i32_e64 s9, 0, v110
	v_not_b32_e32 v110, v111
	v_add_lshl_u32 v108, v108, v69, 2
	v_xor_b32_e32 v106, s8, v106
	v_ashrrev_i32_e32 v109, 31, v109
	v_cmp_gt_i32_e64 s8, 0, v111
	v_ashrrev_i32_e32 v110, 31, v110
	s_delay_alu instid0(VALU_DEP_4) | instskip(NEXT) | instid1(VALU_DEP_4)
	v_and_b32_e32 v106, exec_lo, v106
	v_xor_b32_e32 v109, s9, v109
	v_cmp_gt_i32_e64 s9, 0, v107
	v_ashrrev_i32_e32 v107, 31, v112
	v_xor_b32_e32 v110, s8, v110
	s_delay_alu instid0(VALU_DEP_4) | instskip(NEXT) | instid1(VALU_DEP_3)
	v_and_b32_e32 v106, v106, v109
	v_xor_b32_e32 v107, s9, v107
	s_delay_alu instid0(VALU_DEP_2) | instskip(SKIP_3) | instid1(VALU_DEP_1)
	v_and_b32_e32 v109, v106, v110
	ds_load_b32 v106, v108 offset:64
	v_add_nc_u32_e32 v108, 64, v108
	; wave barrier
	v_and_b32_e32 v109, v109, v107
	v_mbcnt_lo_u32_b32 v107, v109, 0
	v_cmp_ne_u32_e64 s9, 0, v109
	s_delay_alu instid0(VALU_DEP_2) | instskip(NEXT) | instid1(VALU_DEP_1)
	v_cmp_eq_u32_e64 s8, 0, v107
	s_and_b32 s9, s9, s8
	s_delay_alu instid0(SALU_CYCLE_1)
	s_and_saveexec_b32 s8, s9
	s_cbranch_execz .LBB134_30
; %bb.29:                               ;   in Loop: Header=BB134_4 Depth=2
	s_waitcnt lgkmcnt(0)
	v_bcnt_u32_b32 v109, v109, v106
	ds_store_b32 v108, v109
.LBB134_30:                             ;   in Loop: Header=BB134_4 Depth=2
	s_or_b32 exec_lo, exec_lo, s8
	v_lshlrev_b64 v[109:110], s14, v[27:28]
	; wave barrier
	s_delay_alu instid0(VALU_DEP_1) | instskip(SKIP_2) | instid1(VALU_DEP_3)
	v_bfe_u32 v109, v110, 28, 1
	v_lshrrev_b32_e32 v111, 28, v110
	v_and_b32_e32 v110, 0xf0000000, v110
	v_add_co_u32 v109, s8, v109, -1
	s_delay_alu instid0(VALU_DEP_1) | instskip(NEXT) | instid1(VALU_DEP_4)
	v_cndmask_b32_e64 v112, 0, 1, s8
	v_lshlrev_b32_e32 v113, 30, v111
	v_lshlrev_b32_e32 v114, 29, v111
	v_not_b32_e32 v115, v110
	v_mul_u32_u24_e32 v111, 17, v111
	v_cmp_ne_u32_e64 s8, 0, v112
	v_not_b32_e32 v112, v113
	v_cmp_gt_i32_e64 s9, 0, v113
	v_not_b32_e32 v113, v114
	v_add_lshl_u32 v111, v111, v69, 2
	v_xor_b32_e32 v109, s8, v109
	v_ashrrev_i32_e32 v112, 31, v112
	v_cmp_gt_i32_e64 s8, 0, v114
	v_ashrrev_i32_e32 v113, 31, v113
	s_delay_alu instid0(VALU_DEP_4) | instskip(NEXT) | instid1(VALU_DEP_4)
	v_and_b32_e32 v109, exec_lo, v109
	v_xor_b32_e32 v112, s9, v112
	v_cmp_gt_i32_e64 s9, 0, v110
	v_ashrrev_i32_e32 v110, 31, v115
	v_xor_b32_e32 v113, s8, v113
	s_delay_alu instid0(VALU_DEP_4) | instskip(NEXT) | instid1(VALU_DEP_3)
	v_and_b32_e32 v109, v109, v112
	v_xor_b32_e32 v110, s9, v110
	s_delay_alu instid0(VALU_DEP_2) | instskip(SKIP_3) | instid1(VALU_DEP_1)
	v_and_b32_e32 v112, v109, v113
	ds_load_b32 v109, v111 offset:64
	v_add_nc_u32_e32 v111, 64, v111
	; wave barrier
	v_and_b32_e32 v112, v112, v110
	v_mbcnt_lo_u32_b32 v110, v112, 0
	v_cmp_ne_u32_e64 s9, 0, v112
	s_delay_alu instid0(VALU_DEP_2) | instskip(NEXT) | instid1(VALU_DEP_1)
	v_cmp_eq_u32_e64 s8, 0, v110
	s_and_b32 s9, s9, s8
	s_delay_alu instid0(SALU_CYCLE_1)
	s_and_saveexec_b32 s8, s9
	s_cbranch_execz .LBB134_32
; %bb.31:                               ;   in Loop: Header=BB134_4 Depth=2
	s_waitcnt lgkmcnt(0)
	v_bcnt_u32_b32 v112, v112, v109
	ds_store_b32 v111, v112
.LBB134_32:                             ;   in Loop: Header=BB134_4 Depth=2
	s_or_b32 exec_lo, exec_lo, s8
	v_lshlrev_b64 v[112:113], s14, v[29:30]
	; wave barrier
	s_delay_alu instid0(VALU_DEP_1) | instskip(SKIP_2) | instid1(VALU_DEP_3)
	v_bfe_u32 v112, v113, 28, 1
	v_lshrrev_b32_e32 v114, 28, v113
	v_and_b32_e32 v113, 0xf0000000, v113
	v_add_co_u32 v112, s8, v112, -1
	s_delay_alu instid0(VALU_DEP_1) | instskip(NEXT) | instid1(VALU_DEP_4)
	v_cndmask_b32_e64 v115, 0, 1, s8
	v_lshlrev_b32_e32 v116, 30, v114
	v_lshlrev_b32_e32 v117, 29, v114
	v_not_b32_e32 v118, v113
	v_mul_u32_u24_e32 v114, 17, v114
	v_cmp_ne_u32_e64 s8, 0, v115
	v_not_b32_e32 v115, v116
	v_cmp_gt_i32_e64 s9, 0, v116
	v_not_b32_e32 v116, v117
	v_add_lshl_u32 v114, v114, v69, 2
	v_xor_b32_e32 v112, s8, v112
	v_ashrrev_i32_e32 v115, 31, v115
	v_cmp_gt_i32_e64 s8, 0, v117
	v_ashrrev_i32_e32 v116, 31, v116
	s_delay_alu instid0(VALU_DEP_4) | instskip(NEXT) | instid1(VALU_DEP_4)
	v_and_b32_e32 v112, exec_lo, v112
	v_xor_b32_e32 v115, s9, v115
	v_cmp_gt_i32_e64 s9, 0, v113
	v_ashrrev_i32_e32 v113, 31, v118
	v_xor_b32_e32 v116, s8, v116
	s_delay_alu instid0(VALU_DEP_4) | instskip(NEXT) | instid1(VALU_DEP_3)
	v_and_b32_e32 v112, v112, v115
	v_xor_b32_e32 v113, s9, v113
	s_delay_alu instid0(VALU_DEP_2) | instskip(SKIP_3) | instid1(VALU_DEP_1)
	v_and_b32_e32 v115, v112, v116
	ds_load_b32 v112, v114 offset:64
	v_add_nc_u32_e32 v114, 64, v114
	; wave barrier
	v_and_b32_e32 v115, v115, v113
	v_mbcnt_lo_u32_b32 v113, v115, 0
	v_cmp_ne_u32_e64 s9, 0, v115
	s_delay_alu instid0(VALU_DEP_2) | instskip(NEXT) | instid1(VALU_DEP_1)
	v_cmp_eq_u32_e64 s8, 0, v113
	s_and_b32 s9, s9, s8
	s_delay_alu instid0(SALU_CYCLE_1)
	s_and_saveexec_b32 s8, s9
	s_cbranch_execz .LBB134_34
; %bb.33:                               ;   in Loop: Header=BB134_4 Depth=2
	s_waitcnt lgkmcnt(0)
	v_bcnt_u32_b32 v115, v115, v112
	ds_store_b32 v114, v115
.LBB134_34:                             ;   in Loop: Header=BB134_4 Depth=2
	s_or_b32 exec_lo, exec_lo, s8
	v_lshlrev_b64 v[115:116], s14, v[31:32]
	; wave barrier
	s_delay_alu instid0(VALU_DEP_1) | instskip(SKIP_2) | instid1(VALU_DEP_3)
	v_bfe_u32 v115, v116, 28, 1
	v_lshrrev_b32_e32 v117, 28, v116
	v_and_b32_e32 v116, 0xf0000000, v116
	v_add_co_u32 v115, s8, v115, -1
	s_delay_alu instid0(VALU_DEP_1) | instskip(NEXT) | instid1(VALU_DEP_4)
	v_cndmask_b32_e64 v118, 0, 1, s8
	v_lshlrev_b32_e32 v119, 30, v117
	v_lshlrev_b32_e32 v120, 29, v117
	v_not_b32_e32 v121, v116
	v_mul_u32_u24_e32 v117, 17, v117
	v_cmp_ne_u32_e64 s8, 0, v118
	v_not_b32_e32 v118, v119
	v_cmp_gt_i32_e64 s9, 0, v119
	v_not_b32_e32 v119, v120
	v_add_lshl_u32 v117, v117, v69, 2
	v_xor_b32_e32 v115, s8, v115
	v_ashrrev_i32_e32 v118, 31, v118
	v_cmp_gt_i32_e64 s8, 0, v120
	v_ashrrev_i32_e32 v119, 31, v119
	s_delay_alu instid0(VALU_DEP_4) | instskip(NEXT) | instid1(VALU_DEP_4)
	v_and_b32_e32 v115, exec_lo, v115
	v_xor_b32_e32 v118, s9, v118
	v_cmp_gt_i32_e64 s9, 0, v116
	v_ashrrev_i32_e32 v116, 31, v121
	v_xor_b32_e32 v119, s8, v119
	s_delay_alu instid0(VALU_DEP_4) | instskip(NEXT) | instid1(VALU_DEP_3)
	v_and_b32_e32 v115, v115, v118
	v_xor_b32_e32 v116, s9, v116
	s_delay_alu instid0(VALU_DEP_2) | instskip(SKIP_3) | instid1(VALU_DEP_1)
	v_and_b32_e32 v118, v115, v119
	ds_load_b32 v115, v117 offset:64
	v_add_nc_u32_e32 v117, 64, v117
	; wave barrier
	v_and_b32_e32 v118, v118, v116
	v_mbcnt_lo_u32_b32 v116, v118, 0
	v_cmp_ne_u32_e64 s9, 0, v118
	s_delay_alu instid0(VALU_DEP_2) | instskip(NEXT) | instid1(VALU_DEP_1)
	v_cmp_eq_u32_e64 s8, 0, v116
	s_and_b32 s9, s9, s8
	s_delay_alu instid0(SALU_CYCLE_1)
	s_and_saveexec_b32 s8, s9
	s_cbranch_execz .LBB134_36
; %bb.35:                               ;   in Loop: Header=BB134_4 Depth=2
	s_waitcnt lgkmcnt(0)
	v_bcnt_u32_b32 v118, v118, v115
	ds_store_b32 v117, v118
.LBB134_36:                             ;   in Loop: Header=BB134_4 Depth=2
	s_or_b32 exec_lo, exec_lo, s8
	v_lshlrev_b64 v[118:119], s14, v[33:34]
	; wave barrier
	s_delay_alu instid0(VALU_DEP_1) | instskip(SKIP_2) | instid1(VALU_DEP_3)
	v_bfe_u32 v118, v119, 28, 1
	v_lshrrev_b32_e32 v120, 28, v119
	v_and_b32_e32 v119, 0xf0000000, v119
	v_add_co_u32 v118, s8, v118, -1
	s_delay_alu instid0(VALU_DEP_1) | instskip(NEXT) | instid1(VALU_DEP_4)
	v_cndmask_b32_e64 v121, 0, 1, s8
	v_lshlrev_b32_e32 v122, 30, v120
	v_lshlrev_b32_e32 v123, 29, v120
	v_not_b32_e32 v124, v119
	v_mul_u32_u24_e32 v120, 17, v120
	v_cmp_ne_u32_e64 s8, 0, v121
	v_not_b32_e32 v121, v122
	v_cmp_gt_i32_e64 s9, 0, v122
	v_not_b32_e32 v122, v123
	v_add_lshl_u32 v120, v120, v69, 2
	v_xor_b32_e32 v118, s8, v118
	v_ashrrev_i32_e32 v121, 31, v121
	v_cmp_gt_i32_e64 s8, 0, v123
	v_ashrrev_i32_e32 v122, 31, v122
	s_delay_alu instid0(VALU_DEP_4) | instskip(NEXT) | instid1(VALU_DEP_4)
	v_and_b32_e32 v118, exec_lo, v118
	v_xor_b32_e32 v121, s9, v121
	v_cmp_gt_i32_e64 s9, 0, v119
	v_ashrrev_i32_e32 v119, 31, v124
	v_xor_b32_e32 v122, s8, v122
	s_delay_alu instid0(VALU_DEP_4) | instskip(NEXT) | instid1(VALU_DEP_3)
	v_and_b32_e32 v118, v118, v121
	v_xor_b32_e32 v119, s9, v119
	s_delay_alu instid0(VALU_DEP_2) | instskip(SKIP_3) | instid1(VALU_DEP_1)
	v_and_b32_e32 v121, v118, v122
	ds_load_b32 v118, v120 offset:64
	v_add_nc_u32_e32 v120, 64, v120
	; wave barrier
	v_and_b32_e32 v121, v121, v119
	v_mbcnt_lo_u32_b32 v119, v121, 0
	v_cmp_ne_u32_e64 s9, 0, v121
	s_delay_alu instid0(VALU_DEP_2) | instskip(NEXT) | instid1(VALU_DEP_1)
	v_cmp_eq_u32_e64 s8, 0, v119
	s_and_b32 s9, s9, s8
	s_delay_alu instid0(SALU_CYCLE_1)
	s_and_saveexec_b32 s8, s9
	s_cbranch_execz .LBB134_38
; %bb.37:                               ;   in Loop: Header=BB134_4 Depth=2
	s_waitcnt lgkmcnt(0)
	v_bcnt_u32_b32 v121, v121, v118
	ds_store_b32 v120, v121
.LBB134_38:                             ;   in Loop: Header=BB134_4 Depth=2
	s_or_b32 exec_lo, exec_lo, s8
	v_lshlrev_b64 v[121:122], s14, v[35:36]
	; wave barrier
	s_delay_alu instid0(VALU_DEP_1) | instskip(SKIP_2) | instid1(VALU_DEP_3)
	v_bfe_u32 v121, v122, 28, 1
	v_lshrrev_b32_e32 v123, 28, v122
	v_and_b32_e32 v122, 0xf0000000, v122
	v_add_co_u32 v121, s8, v121, -1
	s_delay_alu instid0(VALU_DEP_1) | instskip(NEXT) | instid1(VALU_DEP_4)
	v_cndmask_b32_e64 v124, 0, 1, s8
	v_lshlrev_b32_e32 v125, 30, v123
	v_lshlrev_b32_e32 v126, 29, v123
	v_not_b32_e32 v127, v122
	v_mul_u32_u24_e32 v123, 17, v123
	v_cmp_ne_u32_e64 s8, 0, v124
	v_not_b32_e32 v124, v125
	v_cmp_gt_i32_e64 s9, 0, v125
	v_not_b32_e32 v125, v126
	v_add_lshl_u32 v123, v123, v69, 2
	v_xor_b32_e32 v121, s8, v121
	v_ashrrev_i32_e32 v124, 31, v124
	v_cmp_gt_i32_e64 s8, 0, v126
	v_ashrrev_i32_e32 v125, 31, v125
	s_delay_alu instid0(VALU_DEP_4) | instskip(NEXT) | instid1(VALU_DEP_4)
	v_and_b32_e32 v121, exec_lo, v121
	v_xor_b32_e32 v124, s9, v124
	v_cmp_gt_i32_e64 s9, 0, v122
	v_ashrrev_i32_e32 v122, 31, v127
	v_xor_b32_e32 v125, s8, v125
	s_delay_alu instid0(VALU_DEP_4) | instskip(NEXT) | instid1(VALU_DEP_3)
	v_and_b32_e32 v121, v121, v124
	v_xor_b32_e32 v122, s9, v122
	s_delay_alu instid0(VALU_DEP_2) | instskip(SKIP_3) | instid1(VALU_DEP_1)
	v_and_b32_e32 v124, v121, v125
	ds_load_b32 v121, v123 offset:64
	v_add_nc_u32_e32 v123, 64, v123
	; wave barrier
	v_and_b32_e32 v124, v124, v122
	v_mbcnt_lo_u32_b32 v122, v124, 0
	v_cmp_ne_u32_e64 s9, 0, v124
	s_delay_alu instid0(VALU_DEP_2) | instskip(NEXT) | instid1(VALU_DEP_1)
	v_cmp_eq_u32_e64 s8, 0, v122
	s_and_b32 s9, s9, s8
	s_delay_alu instid0(SALU_CYCLE_1)
	s_and_saveexec_b32 s8, s9
	s_cbranch_execz .LBB134_40
; %bb.39:                               ;   in Loop: Header=BB134_4 Depth=2
	s_waitcnt lgkmcnt(0)
	v_bcnt_u32_b32 v124, v124, v121
	ds_store_b32 v123, v124
.LBB134_40:                             ;   in Loop: Header=BB134_4 Depth=2
	s_or_b32 exec_lo, exec_lo, s8
	v_lshlrev_b64 v[124:125], s14, v[37:38]
	; wave barrier
	s_delay_alu instid0(VALU_DEP_1) | instskip(SKIP_2) | instid1(VALU_DEP_3)
	v_bfe_u32 v124, v125, 28, 1
	v_lshrrev_b32_e32 v126, 28, v125
	v_and_b32_e32 v125, 0xf0000000, v125
	v_add_co_u32 v124, s8, v124, -1
	s_delay_alu instid0(VALU_DEP_1) | instskip(NEXT) | instid1(VALU_DEP_4)
	v_cndmask_b32_e64 v127, 0, 1, s8
	v_lshlrev_b32_e32 v128, 30, v126
	v_lshlrev_b32_e32 v129, 29, v126
	v_not_b32_e32 v130, v125
	v_mul_u32_u24_e32 v126, 17, v126
	v_cmp_ne_u32_e64 s8, 0, v127
	v_not_b32_e32 v127, v128
	v_cmp_gt_i32_e64 s9, 0, v128
	v_not_b32_e32 v128, v129
	v_add_lshl_u32 v126, v126, v69, 2
	v_xor_b32_e32 v124, s8, v124
	v_ashrrev_i32_e32 v127, 31, v127
	v_cmp_gt_i32_e64 s8, 0, v129
	v_ashrrev_i32_e32 v128, 31, v128
	s_delay_alu instid0(VALU_DEP_4) | instskip(NEXT) | instid1(VALU_DEP_4)
	v_and_b32_e32 v124, exec_lo, v124
	v_xor_b32_e32 v127, s9, v127
	v_cmp_gt_i32_e64 s9, 0, v125
	v_ashrrev_i32_e32 v125, 31, v130
	v_xor_b32_e32 v128, s8, v128
	s_delay_alu instid0(VALU_DEP_4) | instskip(NEXT) | instid1(VALU_DEP_3)
	v_and_b32_e32 v124, v124, v127
	v_xor_b32_e32 v125, s9, v125
	s_delay_alu instid0(VALU_DEP_2) | instskip(SKIP_3) | instid1(VALU_DEP_1)
	v_and_b32_e32 v127, v124, v128
	ds_load_b32 v124, v126 offset:64
	v_add_nc_u32_e32 v126, 64, v126
	; wave barrier
	v_and_b32_e32 v127, v127, v125
	v_mbcnt_lo_u32_b32 v125, v127, 0
	v_cmp_ne_u32_e64 s9, 0, v127
	s_delay_alu instid0(VALU_DEP_2) | instskip(NEXT) | instid1(VALU_DEP_1)
	v_cmp_eq_u32_e64 s8, 0, v125
	s_and_b32 s9, s9, s8
	s_delay_alu instid0(SALU_CYCLE_1)
	s_and_saveexec_b32 s8, s9
	s_cbranch_execz .LBB134_42
; %bb.41:                               ;   in Loop: Header=BB134_4 Depth=2
	s_waitcnt lgkmcnt(0)
	v_bcnt_u32_b32 v127, v127, v124
	ds_store_b32 v126, v127
.LBB134_42:                             ;   in Loop: Header=BB134_4 Depth=2
	s_or_b32 exec_lo, exec_lo, s8
	v_lshlrev_b64 v[127:128], s14, v[39:40]
	; wave barrier
	s_delay_alu instid0(VALU_DEP_1) | instskip(SKIP_2) | instid1(VALU_DEP_3)
	v_bfe_u32 v127, v128, 28, 1
	v_lshrrev_b32_e32 v129, 28, v128
	v_and_b32_e32 v128, 0xf0000000, v128
	v_add_co_u32 v127, s8, v127, -1
	s_delay_alu instid0(VALU_DEP_1) | instskip(NEXT) | instid1(VALU_DEP_4)
	v_cndmask_b32_e64 v130, 0, 1, s8
	v_lshlrev_b32_e32 v131, 30, v129
	v_lshlrev_b32_e32 v132, 29, v129
	v_not_b32_e32 v133, v128
	v_mul_u32_u24_e32 v129, 17, v129
	v_cmp_ne_u32_e64 s8, 0, v130
	v_not_b32_e32 v130, v131
	v_cmp_gt_i32_e64 s9, 0, v131
	v_not_b32_e32 v131, v132
	v_add_lshl_u32 v129, v129, v69, 2
	v_xor_b32_e32 v127, s8, v127
	v_ashrrev_i32_e32 v130, 31, v130
	v_cmp_gt_i32_e64 s8, 0, v132
	v_ashrrev_i32_e32 v131, 31, v131
	s_delay_alu instid0(VALU_DEP_4) | instskip(NEXT) | instid1(VALU_DEP_4)
	v_and_b32_e32 v127, exec_lo, v127
	v_xor_b32_e32 v130, s9, v130
	v_cmp_gt_i32_e64 s9, 0, v128
	v_ashrrev_i32_e32 v128, 31, v133
	v_xor_b32_e32 v131, s8, v131
	s_delay_alu instid0(VALU_DEP_4) | instskip(NEXT) | instid1(VALU_DEP_3)
	v_and_b32_e32 v127, v127, v130
	v_xor_b32_e32 v128, s9, v128
	s_delay_alu instid0(VALU_DEP_2) | instskip(SKIP_3) | instid1(VALU_DEP_1)
	v_and_b32_e32 v130, v127, v131
	ds_load_b32 v127, v129 offset:64
	v_add_nc_u32_e32 v129, 64, v129
	; wave barrier
	v_and_b32_e32 v130, v130, v128
	v_mbcnt_lo_u32_b32 v128, v130, 0
	v_cmp_ne_u32_e64 s9, 0, v130
	s_delay_alu instid0(VALU_DEP_2) | instskip(NEXT) | instid1(VALU_DEP_1)
	v_cmp_eq_u32_e64 s8, 0, v128
	s_and_b32 s9, s9, s8
	s_delay_alu instid0(SALU_CYCLE_1)
	s_and_saveexec_b32 s8, s9
	s_cbranch_execz .LBB134_44
; %bb.43:                               ;   in Loop: Header=BB134_4 Depth=2
	s_waitcnt lgkmcnt(0)
	v_bcnt_u32_b32 v130, v130, v127
	ds_store_b32 v129, v130
.LBB134_44:                             ;   in Loop: Header=BB134_4 Depth=2
	s_or_b32 exec_lo, exec_lo, s8
	v_lshlrev_b64 v[130:131], s14, v[41:42]
	; wave barrier
	s_delay_alu instid0(VALU_DEP_1) | instskip(SKIP_2) | instid1(VALU_DEP_3)
	v_bfe_u32 v130, v131, 28, 1
	v_lshrrev_b32_e32 v132, 28, v131
	v_and_b32_e32 v131, 0xf0000000, v131
	v_add_co_u32 v130, s8, v130, -1
	s_delay_alu instid0(VALU_DEP_1) | instskip(NEXT) | instid1(VALU_DEP_4)
	v_cndmask_b32_e64 v133, 0, 1, s8
	v_lshlrev_b32_e32 v134, 30, v132
	v_lshlrev_b32_e32 v135, 29, v132
	v_not_b32_e32 v136, v131
	v_mul_u32_u24_e32 v132, 17, v132
	v_cmp_ne_u32_e64 s8, 0, v133
	v_not_b32_e32 v133, v134
	v_cmp_gt_i32_e64 s9, 0, v134
	v_not_b32_e32 v134, v135
	v_add_lshl_u32 v132, v132, v69, 2
	v_xor_b32_e32 v130, s8, v130
	v_ashrrev_i32_e32 v133, 31, v133
	v_cmp_gt_i32_e64 s8, 0, v135
	v_ashrrev_i32_e32 v134, 31, v134
	s_delay_alu instid0(VALU_DEP_4) | instskip(NEXT) | instid1(VALU_DEP_4)
	v_and_b32_e32 v130, exec_lo, v130
	v_xor_b32_e32 v133, s9, v133
	v_cmp_gt_i32_e64 s9, 0, v131
	v_ashrrev_i32_e32 v131, 31, v136
	v_xor_b32_e32 v134, s8, v134
	s_delay_alu instid0(VALU_DEP_4) | instskip(NEXT) | instid1(VALU_DEP_3)
	v_and_b32_e32 v130, v130, v133
	v_xor_b32_e32 v131, s9, v131
	s_delay_alu instid0(VALU_DEP_2) | instskip(SKIP_3) | instid1(VALU_DEP_1)
	v_and_b32_e32 v133, v130, v134
	ds_load_b32 v130, v132 offset:64
	v_add_nc_u32_e32 v132, 64, v132
	; wave barrier
	v_and_b32_e32 v133, v133, v131
	v_mbcnt_lo_u32_b32 v131, v133, 0
	v_cmp_ne_u32_e64 s9, 0, v133
	s_delay_alu instid0(VALU_DEP_2) | instskip(NEXT) | instid1(VALU_DEP_1)
	v_cmp_eq_u32_e64 s8, 0, v131
	s_and_b32 s9, s9, s8
	s_delay_alu instid0(SALU_CYCLE_1)
	s_and_saveexec_b32 s8, s9
	s_cbranch_execz .LBB134_46
; %bb.45:                               ;   in Loop: Header=BB134_4 Depth=2
	s_waitcnt lgkmcnt(0)
	v_bcnt_u32_b32 v133, v133, v130
	ds_store_b32 v132, v133
.LBB134_46:                             ;   in Loop: Header=BB134_4 Depth=2
	s_or_b32 exec_lo, exec_lo, s8
	v_lshlrev_b64 v[133:134], s14, v[43:44]
	; wave barrier
	s_delay_alu instid0(VALU_DEP_1) | instskip(SKIP_2) | instid1(VALU_DEP_3)
	v_bfe_u32 v133, v134, 28, 1
	v_lshrrev_b32_e32 v135, 28, v134
	v_and_b32_e32 v134, 0xf0000000, v134
	v_add_co_u32 v133, s8, v133, -1
	s_delay_alu instid0(VALU_DEP_1) | instskip(NEXT) | instid1(VALU_DEP_4)
	v_cndmask_b32_e64 v136, 0, 1, s8
	v_lshlrev_b32_e32 v137, 30, v135
	v_lshlrev_b32_e32 v138, 29, v135
	v_not_b32_e32 v139, v134
	v_mul_u32_u24_e32 v135, 17, v135
	v_cmp_ne_u32_e64 s8, 0, v136
	v_not_b32_e32 v136, v137
	v_cmp_gt_i32_e64 s9, 0, v137
	v_not_b32_e32 v137, v138
	v_add_lshl_u32 v135, v135, v69, 2
	v_xor_b32_e32 v133, s8, v133
	v_ashrrev_i32_e32 v136, 31, v136
	v_cmp_gt_i32_e64 s8, 0, v138
	v_ashrrev_i32_e32 v137, 31, v137
	s_delay_alu instid0(VALU_DEP_4) | instskip(NEXT) | instid1(VALU_DEP_4)
	v_and_b32_e32 v133, exec_lo, v133
	v_xor_b32_e32 v136, s9, v136
	v_cmp_gt_i32_e64 s9, 0, v134
	v_ashrrev_i32_e32 v134, 31, v139
	v_xor_b32_e32 v137, s8, v137
	s_delay_alu instid0(VALU_DEP_4) | instskip(NEXT) | instid1(VALU_DEP_3)
	v_and_b32_e32 v133, v133, v136
	v_xor_b32_e32 v134, s9, v134
	s_delay_alu instid0(VALU_DEP_2) | instskip(SKIP_3) | instid1(VALU_DEP_1)
	v_and_b32_e32 v136, v133, v137
	ds_load_b32 v133, v135 offset:64
	v_add_nc_u32_e32 v135, 64, v135
	; wave barrier
	v_and_b32_e32 v136, v136, v134
	v_mbcnt_lo_u32_b32 v134, v136, 0
	v_cmp_ne_u32_e64 s9, 0, v136
	s_delay_alu instid0(VALU_DEP_2) | instskip(NEXT) | instid1(VALU_DEP_1)
	v_cmp_eq_u32_e64 s8, 0, v134
	s_and_b32 s9, s9, s8
	s_delay_alu instid0(SALU_CYCLE_1)
	s_and_saveexec_b32 s8, s9
	s_cbranch_execz .LBB134_48
; %bb.47:                               ;   in Loop: Header=BB134_4 Depth=2
	s_waitcnt lgkmcnt(0)
	v_bcnt_u32_b32 v136, v136, v133
	ds_store_b32 v135, v136
.LBB134_48:                             ;   in Loop: Header=BB134_4 Depth=2
	s_or_b32 exec_lo, exec_lo, s8
	v_lshlrev_b64 v[136:137], s14, v[45:46]
	; wave barrier
	s_delay_alu instid0(VALU_DEP_1) | instskip(SKIP_2) | instid1(VALU_DEP_3)
	v_bfe_u32 v136, v137, 28, 1
	v_lshrrev_b32_e32 v138, 28, v137
	v_and_b32_e32 v137, 0xf0000000, v137
	v_add_co_u32 v136, s8, v136, -1
	s_delay_alu instid0(VALU_DEP_1) | instskip(NEXT) | instid1(VALU_DEP_4)
	v_cndmask_b32_e64 v139, 0, 1, s8
	v_lshlrev_b32_e32 v140, 30, v138
	v_lshlrev_b32_e32 v141, 29, v138
	v_not_b32_e32 v142, v137
	v_mul_u32_u24_e32 v138, 17, v138
	v_cmp_ne_u32_e64 s8, 0, v139
	v_not_b32_e32 v139, v140
	v_cmp_gt_i32_e64 s9, 0, v140
	v_not_b32_e32 v140, v141
	v_add_lshl_u32 v138, v138, v69, 2
	v_xor_b32_e32 v136, s8, v136
	v_ashrrev_i32_e32 v139, 31, v139
	v_cmp_gt_i32_e64 s8, 0, v141
	v_ashrrev_i32_e32 v140, 31, v140
	s_delay_alu instid0(VALU_DEP_4) | instskip(NEXT) | instid1(VALU_DEP_4)
	v_and_b32_e32 v136, exec_lo, v136
	v_xor_b32_e32 v139, s9, v139
	v_cmp_gt_i32_e64 s9, 0, v137
	v_ashrrev_i32_e32 v137, 31, v142
	v_xor_b32_e32 v140, s8, v140
	s_delay_alu instid0(VALU_DEP_4) | instskip(NEXT) | instid1(VALU_DEP_3)
	v_and_b32_e32 v136, v136, v139
	v_xor_b32_e32 v137, s9, v137
	s_delay_alu instid0(VALU_DEP_2) | instskip(SKIP_3) | instid1(VALU_DEP_1)
	v_and_b32_e32 v139, v136, v140
	ds_load_b32 v136, v138 offset:64
	v_add_nc_u32_e32 v138, 64, v138
	; wave barrier
	v_and_b32_e32 v139, v139, v137
	v_mbcnt_lo_u32_b32 v137, v139, 0
	v_cmp_ne_u32_e64 s9, 0, v139
	s_delay_alu instid0(VALU_DEP_2) | instskip(NEXT) | instid1(VALU_DEP_1)
	v_cmp_eq_u32_e64 s8, 0, v137
	s_and_b32 s9, s9, s8
	s_delay_alu instid0(SALU_CYCLE_1)
	s_and_saveexec_b32 s8, s9
	s_cbranch_execz .LBB134_50
; %bb.49:                               ;   in Loop: Header=BB134_4 Depth=2
	s_waitcnt lgkmcnt(0)
	v_bcnt_u32_b32 v139, v139, v136
	ds_store_b32 v138, v139
.LBB134_50:                             ;   in Loop: Header=BB134_4 Depth=2
	s_or_b32 exec_lo, exec_lo, s8
	v_lshlrev_b64 v[139:140], s14, v[47:48]
	; wave barrier
	s_delay_alu instid0(VALU_DEP_1) | instskip(SKIP_2) | instid1(VALU_DEP_3)
	v_bfe_u32 v139, v140, 28, 1
	v_lshrrev_b32_e32 v141, 28, v140
	v_and_b32_e32 v140, 0xf0000000, v140
	v_add_co_u32 v139, s8, v139, -1
	s_delay_alu instid0(VALU_DEP_1) | instskip(NEXT) | instid1(VALU_DEP_4)
	v_cndmask_b32_e64 v142, 0, 1, s8
	v_lshlrev_b32_e32 v143, 30, v141
	v_lshlrev_b32_e32 v144, 29, v141
	v_not_b32_e32 v145, v140
	v_mul_u32_u24_e32 v141, 17, v141
	v_cmp_ne_u32_e64 s8, 0, v142
	v_not_b32_e32 v142, v143
	v_cmp_gt_i32_e64 s9, 0, v143
	v_not_b32_e32 v143, v144
	v_add_lshl_u32 v141, v141, v69, 2
	v_xor_b32_e32 v139, s8, v139
	v_ashrrev_i32_e32 v142, 31, v142
	v_cmp_gt_i32_e64 s8, 0, v144
	v_ashrrev_i32_e32 v143, 31, v143
	s_delay_alu instid0(VALU_DEP_4) | instskip(NEXT) | instid1(VALU_DEP_4)
	v_and_b32_e32 v139, exec_lo, v139
	v_xor_b32_e32 v142, s9, v142
	v_cmp_gt_i32_e64 s9, 0, v140
	v_ashrrev_i32_e32 v140, 31, v145
	v_xor_b32_e32 v143, s8, v143
	s_delay_alu instid0(VALU_DEP_4) | instskip(NEXT) | instid1(VALU_DEP_3)
	v_and_b32_e32 v139, v139, v142
	v_xor_b32_e32 v140, s9, v140
	s_delay_alu instid0(VALU_DEP_2) | instskip(SKIP_3) | instid1(VALU_DEP_1)
	v_and_b32_e32 v142, v139, v143
	ds_load_b32 v139, v141 offset:64
	v_add_nc_u32_e32 v141, 64, v141
	; wave barrier
	v_and_b32_e32 v142, v142, v140
	v_mbcnt_lo_u32_b32 v140, v142, 0
	v_cmp_ne_u32_e64 s9, 0, v142
	s_delay_alu instid0(VALU_DEP_2) | instskip(NEXT) | instid1(VALU_DEP_1)
	v_cmp_eq_u32_e64 s8, 0, v140
	s_and_b32 s9, s9, s8
	s_delay_alu instid0(SALU_CYCLE_1)
	s_and_saveexec_b32 s8, s9
	s_cbranch_execz .LBB134_52
; %bb.51:                               ;   in Loop: Header=BB134_4 Depth=2
	s_waitcnt lgkmcnt(0)
	v_bcnt_u32_b32 v142, v142, v139
	ds_store_b32 v141, v142
.LBB134_52:                             ;   in Loop: Header=BB134_4 Depth=2
	s_or_b32 exec_lo, exec_lo, s8
	v_lshlrev_b64 v[142:143], s14, v[49:50]
	; wave barrier
	s_delay_alu instid0(VALU_DEP_1) | instskip(SKIP_2) | instid1(VALU_DEP_3)
	v_bfe_u32 v142, v143, 28, 1
	v_lshrrev_b32_e32 v144, 28, v143
	v_and_b32_e32 v143, 0xf0000000, v143
	v_add_co_u32 v142, s8, v142, -1
	s_delay_alu instid0(VALU_DEP_1) | instskip(NEXT) | instid1(VALU_DEP_4)
	v_cndmask_b32_e64 v145, 0, 1, s8
	v_lshlrev_b32_e32 v146, 30, v144
	v_lshlrev_b32_e32 v147, 29, v144
	v_not_b32_e32 v148, v143
	v_mul_u32_u24_e32 v144, 17, v144
	v_cmp_ne_u32_e64 s8, 0, v145
	v_not_b32_e32 v145, v146
	v_cmp_gt_i32_e64 s9, 0, v146
	v_not_b32_e32 v146, v147
	v_add_lshl_u32 v144, v144, v69, 2
	v_xor_b32_e32 v142, s8, v142
	v_ashrrev_i32_e32 v145, 31, v145
	v_cmp_gt_i32_e64 s8, 0, v147
	v_ashrrev_i32_e32 v146, 31, v146
	s_delay_alu instid0(VALU_DEP_4) | instskip(NEXT) | instid1(VALU_DEP_4)
	v_and_b32_e32 v142, exec_lo, v142
	v_xor_b32_e32 v145, s9, v145
	v_cmp_gt_i32_e64 s9, 0, v143
	v_ashrrev_i32_e32 v143, 31, v148
	v_xor_b32_e32 v146, s8, v146
	s_delay_alu instid0(VALU_DEP_4) | instskip(NEXT) | instid1(VALU_DEP_3)
	v_and_b32_e32 v142, v142, v145
	v_xor_b32_e32 v143, s9, v143
	s_delay_alu instid0(VALU_DEP_2) | instskip(SKIP_3) | instid1(VALU_DEP_1)
	v_and_b32_e32 v145, v142, v146
	ds_load_b32 v142, v144 offset:64
	v_add_nc_u32_e32 v144, 64, v144
	; wave barrier
	v_and_b32_e32 v145, v145, v143
	v_mbcnt_lo_u32_b32 v143, v145, 0
	v_cmp_ne_u32_e64 s9, 0, v145
	s_delay_alu instid0(VALU_DEP_2) | instskip(NEXT) | instid1(VALU_DEP_1)
	v_cmp_eq_u32_e64 s8, 0, v143
	s_and_b32 s9, s9, s8
	s_delay_alu instid0(SALU_CYCLE_1)
	s_and_saveexec_b32 s8, s9
	s_cbranch_execz .LBB134_54
; %bb.53:                               ;   in Loop: Header=BB134_4 Depth=2
	s_waitcnt lgkmcnt(0)
	v_bcnt_u32_b32 v145, v145, v142
	ds_store_b32 v144, v145
.LBB134_54:                             ;   in Loop: Header=BB134_4 Depth=2
	s_or_b32 exec_lo, exec_lo, s8
	v_lshlrev_b64 v[145:146], s14, v[51:52]
	; wave barrier
	s_delay_alu instid0(VALU_DEP_1) | instskip(SKIP_2) | instid1(VALU_DEP_3)
	v_bfe_u32 v145, v146, 28, 1
	v_lshrrev_b32_e32 v147, 28, v146
	v_and_b32_e32 v146, 0xf0000000, v146
	v_add_co_u32 v145, s8, v145, -1
	s_delay_alu instid0(VALU_DEP_1) | instskip(NEXT) | instid1(VALU_DEP_4)
	v_cndmask_b32_e64 v148, 0, 1, s8
	v_lshlrev_b32_e32 v149, 30, v147
	v_lshlrev_b32_e32 v150, 29, v147
	v_not_b32_e32 v151, v146
	v_mul_u32_u24_e32 v147, 17, v147
	v_cmp_ne_u32_e64 s8, 0, v148
	v_not_b32_e32 v148, v149
	v_cmp_gt_i32_e64 s9, 0, v149
	v_not_b32_e32 v149, v150
	v_add_lshl_u32 v147, v147, v69, 2
	v_xor_b32_e32 v145, s8, v145
	v_ashrrev_i32_e32 v148, 31, v148
	v_cmp_gt_i32_e64 s8, 0, v150
	v_ashrrev_i32_e32 v149, 31, v149
	s_delay_alu instid0(VALU_DEP_4) | instskip(NEXT) | instid1(VALU_DEP_4)
	v_and_b32_e32 v145, exec_lo, v145
	v_xor_b32_e32 v148, s9, v148
	v_cmp_gt_i32_e64 s9, 0, v146
	v_ashrrev_i32_e32 v146, 31, v151
	v_xor_b32_e32 v149, s8, v149
	s_delay_alu instid0(VALU_DEP_4) | instskip(NEXT) | instid1(VALU_DEP_3)
	v_and_b32_e32 v145, v145, v148
	v_xor_b32_e32 v146, s9, v146
	s_delay_alu instid0(VALU_DEP_2) | instskip(SKIP_3) | instid1(VALU_DEP_1)
	v_and_b32_e32 v148, v145, v149
	ds_load_b32 v145, v147 offset:64
	v_add_nc_u32_e32 v147, 64, v147
	; wave barrier
	v_and_b32_e32 v148, v148, v146
	v_mbcnt_lo_u32_b32 v146, v148, 0
	v_cmp_ne_u32_e64 s9, 0, v148
	s_delay_alu instid0(VALU_DEP_2) | instskip(NEXT) | instid1(VALU_DEP_1)
	v_cmp_eq_u32_e64 s8, 0, v146
	s_and_b32 s9, s9, s8
	s_delay_alu instid0(SALU_CYCLE_1)
	s_and_saveexec_b32 s8, s9
	s_cbranch_execz .LBB134_56
; %bb.55:                               ;   in Loop: Header=BB134_4 Depth=2
	s_waitcnt lgkmcnt(0)
	v_bcnt_u32_b32 v148, v148, v145
	ds_store_b32 v147, v148
.LBB134_56:                             ;   in Loop: Header=BB134_4 Depth=2
	s_or_b32 exec_lo, exec_lo, s8
	v_lshlrev_b64 v[148:149], s14, v[53:54]
	; wave barrier
	s_delay_alu instid0(VALU_DEP_1) | instskip(SKIP_2) | instid1(VALU_DEP_3)
	v_bfe_u32 v148, v149, 28, 1
	v_lshrrev_b32_e32 v150, 28, v149
	v_and_b32_e32 v149, 0xf0000000, v149
	v_add_co_u32 v148, s8, v148, -1
	s_delay_alu instid0(VALU_DEP_1) | instskip(NEXT) | instid1(VALU_DEP_4)
	v_cndmask_b32_e64 v151, 0, 1, s8
	v_lshlrev_b32_e32 v152, 30, v150
	v_lshlrev_b32_e32 v153, 29, v150
	v_not_b32_e32 v154, v149
	v_mul_u32_u24_e32 v150, 17, v150
	v_cmp_ne_u32_e64 s8, 0, v151
	v_not_b32_e32 v151, v152
	v_cmp_gt_i32_e64 s9, 0, v152
	v_not_b32_e32 v152, v153
	v_add_lshl_u32 v150, v150, v69, 2
	v_xor_b32_e32 v148, s8, v148
	v_ashrrev_i32_e32 v151, 31, v151
	v_cmp_gt_i32_e64 s8, 0, v153
	v_ashrrev_i32_e32 v152, 31, v152
	s_delay_alu instid0(VALU_DEP_4) | instskip(NEXT) | instid1(VALU_DEP_4)
	v_and_b32_e32 v148, exec_lo, v148
	v_xor_b32_e32 v151, s9, v151
	v_cmp_gt_i32_e64 s9, 0, v149
	v_ashrrev_i32_e32 v149, 31, v154
	v_xor_b32_e32 v152, s8, v152
	s_delay_alu instid0(VALU_DEP_4) | instskip(NEXT) | instid1(VALU_DEP_3)
	v_and_b32_e32 v148, v148, v151
	v_xor_b32_e32 v149, s9, v149
	s_delay_alu instid0(VALU_DEP_2) | instskip(SKIP_3) | instid1(VALU_DEP_1)
	v_and_b32_e32 v151, v148, v152
	ds_load_b32 v148, v150 offset:64
	v_add_nc_u32_e32 v150, 64, v150
	; wave barrier
	v_and_b32_e32 v151, v151, v149
	v_mbcnt_lo_u32_b32 v149, v151, 0
	v_cmp_ne_u32_e64 s9, 0, v151
	s_delay_alu instid0(VALU_DEP_2) | instskip(NEXT) | instid1(VALU_DEP_1)
	v_cmp_eq_u32_e64 s8, 0, v149
	s_and_b32 s9, s9, s8
	s_delay_alu instid0(SALU_CYCLE_1)
	s_and_saveexec_b32 s8, s9
	s_cbranch_execz .LBB134_58
; %bb.57:                               ;   in Loop: Header=BB134_4 Depth=2
	s_waitcnt lgkmcnt(0)
	v_bcnt_u32_b32 v151, v151, v148
	ds_store_b32 v150, v151
.LBB134_58:                             ;   in Loop: Header=BB134_4 Depth=2
	s_or_b32 exec_lo, exec_lo, s8
	v_lshlrev_b64 v[151:152], s14, v[55:56]
	; wave barrier
	s_delay_alu instid0(VALU_DEP_1) | instskip(SKIP_2) | instid1(VALU_DEP_3)
	v_bfe_u32 v151, v152, 28, 1
	v_lshrrev_b32_e32 v153, 28, v152
	v_and_b32_e32 v152, 0xf0000000, v152
	v_add_co_u32 v151, s8, v151, -1
	s_delay_alu instid0(VALU_DEP_1) | instskip(NEXT) | instid1(VALU_DEP_4)
	v_cndmask_b32_e64 v154, 0, 1, s8
	v_lshlrev_b32_e32 v155, 30, v153
	v_lshlrev_b32_e32 v156, 29, v153
	v_not_b32_e32 v157, v152
	v_mul_u32_u24_e32 v153, 17, v153
	v_cmp_ne_u32_e64 s8, 0, v154
	v_not_b32_e32 v154, v155
	v_cmp_gt_i32_e64 s9, 0, v155
	v_not_b32_e32 v155, v156
	v_add_lshl_u32 v153, v153, v69, 2
	v_xor_b32_e32 v151, s8, v151
	v_ashrrev_i32_e32 v154, 31, v154
	v_cmp_gt_i32_e64 s8, 0, v156
	v_ashrrev_i32_e32 v155, 31, v155
	s_delay_alu instid0(VALU_DEP_4) | instskip(NEXT) | instid1(VALU_DEP_4)
	v_and_b32_e32 v151, exec_lo, v151
	v_xor_b32_e32 v154, s9, v154
	v_cmp_gt_i32_e64 s9, 0, v152
	v_ashrrev_i32_e32 v152, 31, v157
	v_xor_b32_e32 v155, s8, v155
	s_delay_alu instid0(VALU_DEP_4) | instskip(NEXT) | instid1(VALU_DEP_3)
	v_and_b32_e32 v151, v151, v154
	v_xor_b32_e32 v152, s9, v152
	s_delay_alu instid0(VALU_DEP_2) | instskip(SKIP_3) | instid1(VALU_DEP_1)
	v_and_b32_e32 v154, v151, v155
	ds_load_b32 v151, v153 offset:64
	v_add_nc_u32_e32 v153, 64, v153
	; wave barrier
	v_and_b32_e32 v154, v154, v152
	v_mbcnt_lo_u32_b32 v152, v154, 0
	v_cmp_ne_u32_e64 s9, 0, v154
	s_delay_alu instid0(VALU_DEP_2) | instskip(NEXT) | instid1(VALU_DEP_1)
	v_cmp_eq_u32_e64 s8, 0, v152
	s_and_b32 s9, s9, s8
	s_delay_alu instid0(SALU_CYCLE_1)
	s_and_saveexec_b32 s8, s9
	s_cbranch_execz .LBB134_60
; %bb.59:                               ;   in Loop: Header=BB134_4 Depth=2
	s_waitcnt lgkmcnt(0)
	v_bcnt_u32_b32 v154, v154, v151
	ds_store_b32 v153, v154
.LBB134_60:                             ;   in Loop: Header=BB134_4 Depth=2
	s_or_b32 exec_lo, exec_lo, s8
	v_lshlrev_b64 v[154:155], s14, v[57:58]
	; wave barrier
	s_delay_alu instid0(VALU_DEP_1) | instskip(SKIP_2) | instid1(VALU_DEP_3)
	v_bfe_u32 v154, v155, 28, 1
	v_lshrrev_b32_e32 v156, 28, v155
	v_and_b32_e32 v155, 0xf0000000, v155
	v_add_co_u32 v154, s8, v154, -1
	s_delay_alu instid0(VALU_DEP_1) | instskip(NEXT) | instid1(VALU_DEP_4)
	v_cndmask_b32_e64 v157, 0, 1, s8
	v_lshlrev_b32_e32 v158, 30, v156
	v_lshlrev_b32_e32 v159, 29, v156
	v_not_b32_e32 v160, v155
	v_mul_u32_u24_e32 v156, 17, v156
	v_cmp_ne_u32_e64 s8, 0, v157
	v_not_b32_e32 v157, v158
	v_cmp_gt_i32_e64 s9, 0, v158
	v_not_b32_e32 v158, v159
	v_add_lshl_u32 v156, v156, v69, 2
	v_xor_b32_e32 v154, s8, v154
	v_ashrrev_i32_e32 v157, 31, v157
	v_cmp_gt_i32_e64 s8, 0, v159
	v_ashrrev_i32_e32 v158, 31, v158
	s_delay_alu instid0(VALU_DEP_4) | instskip(NEXT) | instid1(VALU_DEP_4)
	v_and_b32_e32 v154, exec_lo, v154
	v_xor_b32_e32 v157, s9, v157
	v_cmp_gt_i32_e64 s9, 0, v155
	v_ashrrev_i32_e32 v155, 31, v160
	v_xor_b32_e32 v158, s8, v158
	s_delay_alu instid0(VALU_DEP_4) | instskip(NEXT) | instid1(VALU_DEP_3)
	v_and_b32_e32 v154, v154, v157
	v_xor_b32_e32 v155, s9, v155
	s_delay_alu instid0(VALU_DEP_2) | instskip(SKIP_3) | instid1(VALU_DEP_1)
	v_and_b32_e32 v157, v154, v158
	ds_load_b32 v154, v156 offset:64
	v_add_nc_u32_e32 v156, 64, v156
	; wave barrier
	v_and_b32_e32 v157, v157, v155
	v_mbcnt_lo_u32_b32 v155, v157, 0
	v_cmp_ne_u32_e64 s9, 0, v157
	s_delay_alu instid0(VALU_DEP_2) | instskip(NEXT) | instid1(VALU_DEP_1)
	v_cmp_eq_u32_e64 s8, 0, v155
	s_and_b32 s9, s9, s8
	s_delay_alu instid0(SALU_CYCLE_1)
	s_and_saveexec_b32 s8, s9
	s_cbranch_execz .LBB134_62
; %bb.61:                               ;   in Loop: Header=BB134_4 Depth=2
	s_waitcnt lgkmcnt(0)
	v_bcnt_u32_b32 v157, v157, v154
	ds_store_b32 v156, v157
.LBB134_62:                             ;   in Loop: Header=BB134_4 Depth=2
	s_or_b32 exec_lo, exec_lo, s8
	v_lshlrev_b64 v[157:158], s14, v[59:60]
	; wave barrier
	s_delay_alu instid0(VALU_DEP_1) | instskip(SKIP_2) | instid1(VALU_DEP_3)
	v_bfe_u32 v157, v158, 28, 1
	v_lshrrev_b32_e32 v159, 28, v158
	v_and_b32_e32 v158, 0xf0000000, v158
	v_add_co_u32 v157, s8, v157, -1
	s_delay_alu instid0(VALU_DEP_1) | instskip(NEXT) | instid1(VALU_DEP_4)
	v_cndmask_b32_e64 v160, 0, 1, s8
	v_lshlrev_b32_e32 v161, 30, v159
	v_lshlrev_b32_e32 v162, 29, v159
	v_not_b32_e32 v163, v158
	v_mul_u32_u24_e32 v159, 17, v159
	v_cmp_ne_u32_e64 s8, 0, v160
	v_not_b32_e32 v160, v161
	v_cmp_gt_i32_e64 s9, 0, v161
	v_not_b32_e32 v161, v162
	v_add_lshl_u32 v159, v159, v69, 2
	v_xor_b32_e32 v157, s8, v157
	v_ashrrev_i32_e32 v160, 31, v160
	v_cmp_gt_i32_e64 s8, 0, v162
	v_ashrrev_i32_e32 v161, 31, v161
	s_delay_alu instid0(VALU_DEP_4) | instskip(NEXT) | instid1(VALU_DEP_4)
	v_and_b32_e32 v157, exec_lo, v157
	v_xor_b32_e32 v160, s9, v160
	v_cmp_gt_i32_e64 s9, 0, v158
	v_ashrrev_i32_e32 v158, 31, v163
	v_xor_b32_e32 v161, s8, v161
	s_delay_alu instid0(VALU_DEP_4) | instskip(NEXT) | instid1(VALU_DEP_3)
	v_and_b32_e32 v157, v157, v160
	v_xor_b32_e32 v158, s9, v158
	s_delay_alu instid0(VALU_DEP_2) | instskip(SKIP_3) | instid1(VALU_DEP_1)
	v_and_b32_e32 v160, v157, v161
	ds_load_b32 v157, v159 offset:64
	v_add_nc_u32_e32 v159, 64, v159
	; wave barrier
	v_and_b32_e32 v160, v160, v158
	v_mbcnt_lo_u32_b32 v158, v160, 0
	v_cmp_ne_u32_e64 s9, 0, v160
	s_delay_alu instid0(VALU_DEP_2) | instskip(NEXT) | instid1(VALU_DEP_1)
	v_cmp_eq_u32_e64 s8, 0, v158
	s_and_b32 s9, s9, s8
	s_delay_alu instid0(SALU_CYCLE_1)
	s_and_saveexec_b32 s8, s9
	s_cbranch_execz .LBB134_64
; %bb.63:                               ;   in Loop: Header=BB134_4 Depth=2
	s_waitcnt lgkmcnt(0)
	v_bcnt_u32_b32 v160, v160, v157
	ds_store_b32 v159, v160
.LBB134_64:                             ;   in Loop: Header=BB134_4 Depth=2
	s_or_b32 exec_lo, exec_lo, s8
	v_lshlrev_b64 v[160:161], s14, v[61:62]
	; wave barrier
	s_delay_alu instid0(VALU_DEP_1) | instskip(SKIP_2) | instid1(VALU_DEP_3)
	v_bfe_u32 v160, v161, 28, 1
	v_lshrrev_b32_e32 v162, 28, v161
	v_and_b32_e32 v161, 0xf0000000, v161
	v_add_co_u32 v160, s8, v160, -1
	s_delay_alu instid0(VALU_DEP_1) | instskip(NEXT) | instid1(VALU_DEP_4)
	v_cndmask_b32_e64 v163, 0, 1, s8
	v_lshlrev_b32_e32 v164, 30, v162
	v_lshlrev_b32_e32 v165, 29, v162
	v_not_b32_e32 v166, v161
	v_mul_u32_u24_e32 v162, 17, v162
	v_cmp_ne_u32_e64 s8, 0, v163
	v_not_b32_e32 v163, v164
	v_cmp_gt_i32_e64 s9, 0, v164
	v_not_b32_e32 v164, v165
	v_add_lshl_u32 v162, v162, v69, 2
	v_xor_b32_e32 v160, s8, v160
	v_ashrrev_i32_e32 v163, 31, v163
	v_cmp_gt_i32_e64 s8, 0, v165
	v_ashrrev_i32_e32 v164, 31, v164
	s_delay_alu instid0(VALU_DEP_4) | instskip(NEXT) | instid1(VALU_DEP_4)
	v_and_b32_e32 v160, exec_lo, v160
	v_xor_b32_e32 v163, s9, v163
	v_cmp_gt_i32_e64 s9, 0, v161
	v_ashrrev_i32_e32 v161, 31, v166
	v_xor_b32_e32 v164, s8, v164
	s_delay_alu instid0(VALU_DEP_4) | instskip(NEXT) | instid1(VALU_DEP_3)
	v_and_b32_e32 v160, v160, v163
	v_xor_b32_e32 v161, s9, v161
	s_delay_alu instid0(VALU_DEP_2) | instskip(SKIP_3) | instid1(VALU_DEP_1)
	v_and_b32_e32 v163, v160, v164
	ds_load_b32 v160, v162 offset:64
	v_add_nc_u32_e32 v162, 64, v162
	; wave barrier
	v_and_b32_e32 v163, v163, v161
	v_mbcnt_lo_u32_b32 v161, v163, 0
	v_cmp_ne_u32_e64 s9, 0, v163
	s_delay_alu instid0(VALU_DEP_2) | instskip(NEXT) | instid1(VALU_DEP_1)
	v_cmp_eq_u32_e64 s8, 0, v161
	s_and_b32 s9, s9, s8
	s_delay_alu instid0(SALU_CYCLE_1)
	s_and_saveexec_b32 s8, s9
	s_cbranch_execz .LBB134_66
; %bb.65:                               ;   in Loop: Header=BB134_4 Depth=2
	s_waitcnt lgkmcnt(0)
	v_bcnt_u32_b32 v163, v163, v160
	ds_store_b32 v162, v163
.LBB134_66:                             ;   in Loop: Header=BB134_4 Depth=2
	s_or_b32 exec_lo, exec_lo, s8
	v_lshlrev_b64 v[163:164], s14, v[63:64]
	; wave barrier
	s_delay_alu instid0(VALU_DEP_1) | instskip(SKIP_2) | instid1(VALU_DEP_3)
	v_bfe_u32 v163, v164, 28, 1
	v_lshrrev_b32_e32 v165, 28, v164
	v_and_b32_e32 v164, 0xf0000000, v164
	v_add_co_u32 v163, s8, v163, -1
	s_delay_alu instid0(VALU_DEP_1) | instskip(NEXT) | instid1(VALU_DEP_4)
	v_cndmask_b32_e64 v166, 0, 1, s8
	v_lshlrev_b32_e32 v167, 30, v165
	v_lshlrev_b32_e32 v168, 29, v165
	v_not_b32_e32 v169, v164
	v_mul_u32_u24_e32 v165, 17, v165
	v_cmp_ne_u32_e64 s8, 0, v166
	v_not_b32_e32 v166, v167
	v_cmp_gt_i32_e64 s9, 0, v167
	v_not_b32_e32 v167, v168
	v_add_lshl_u32 v165, v165, v69, 2
	v_xor_b32_e32 v163, s8, v163
	v_ashrrev_i32_e32 v166, 31, v166
	v_cmp_gt_i32_e64 s8, 0, v168
	v_ashrrev_i32_e32 v167, 31, v167
	s_delay_alu instid0(VALU_DEP_4) | instskip(NEXT) | instid1(VALU_DEP_4)
	v_and_b32_e32 v163, exec_lo, v163
	v_xor_b32_e32 v166, s9, v166
	v_cmp_gt_i32_e64 s9, 0, v164
	v_ashrrev_i32_e32 v164, 31, v169
	v_xor_b32_e32 v167, s8, v167
	s_delay_alu instid0(VALU_DEP_4) | instskip(NEXT) | instid1(VALU_DEP_3)
	v_and_b32_e32 v163, v163, v166
	v_xor_b32_e32 v164, s9, v164
	s_delay_alu instid0(VALU_DEP_2) | instskip(SKIP_3) | instid1(VALU_DEP_1)
	v_and_b32_e32 v166, v163, v167
	ds_load_b32 v163, v165 offset:64
	v_add_nc_u32_e32 v165, 64, v165
	; wave barrier
	v_and_b32_e32 v166, v166, v164
	v_mbcnt_lo_u32_b32 v164, v166, 0
	v_cmp_ne_u32_e64 s9, 0, v166
	s_delay_alu instid0(VALU_DEP_2) | instskip(NEXT) | instid1(VALU_DEP_1)
	v_cmp_eq_u32_e64 s8, 0, v164
	s_and_b32 s9, s9, s8
	s_delay_alu instid0(SALU_CYCLE_1)
	s_and_saveexec_b32 s8, s9
	s_cbranch_execz .LBB134_68
; %bb.67:                               ;   in Loop: Header=BB134_4 Depth=2
	s_waitcnt lgkmcnt(0)
	v_bcnt_u32_b32 v166, v166, v163
	ds_store_b32 v165, v166
.LBB134_68:                             ;   in Loop: Header=BB134_4 Depth=2
	s_or_b32 exec_lo, exec_lo, s8
	; wave barrier
	s_waitcnt lgkmcnt(0)
	s_barrier
	buffer_gl0_inv
	ds_load_b32 v166, v66 offset:64
	s_waitcnt lgkmcnt(0)
	v_mov_b32_dpp v167, v166 row_shr:1 row_mask:0xf bank_mask:0xf
	s_delay_alu instid0(VALU_DEP_1) | instskip(NEXT) | instid1(VALU_DEP_1)
	v_cndmask_b32_e64 v167, v167, 0, s0
	v_add_nc_u32_e32 v166, v167, v166
	s_delay_alu instid0(VALU_DEP_1) | instskip(NEXT) | instid1(VALU_DEP_1)
	v_mov_b32_dpp v167, v166 row_shr:2 row_mask:0xf bank_mask:0xf
	v_cndmask_b32_e64 v167, 0, v167, s1
	s_delay_alu instid0(VALU_DEP_1) | instskip(NEXT) | instid1(VALU_DEP_1)
	v_add_nc_u32_e32 v166, v166, v167
	v_mov_b32_dpp v167, v166 row_shr:4 row_mask:0xf bank_mask:0xf
	s_delay_alu instid0(VALU_DEP_1) | instskip(NEXT) | instid1(VALU_DEP_1)
	v_cndmask_b32_e64 v167, 0, v167, s2
	v_add_nc_u32_e32 v166, v166, v167
	s_delay_alu instid0(VALU_DEP_1) | instskip(NEXT) | instid1(VALU_DEP_1)
	v_mov_b32_dpp v167, v166 row_shr:8 row_mask:0xf bank_mask:0xf
	v_cndmask_b32_e64 v167, 0, v167, s3
	s_delay_alu instid0(VALU_DEP_1) | instskip(SKIP_3) | instid1(VALU_DEP_1)
	v_add_nc_u32_e32 v166, v166, v167
	ds_swizzle_b32 v167, v166 offset:swizzle(BROADCAST,32,15)
	s_waitcnt lgkmcnt(0)
	v_cndmask_b32_e64 v167, v167, 0, s4
	v_add_nc_u32_e32 v166, v166, v167
	s_and_saveexec_b32 s8, s7
	s_delay_alu instid0(SALU_CYCLE_1)
	s_xor_b32 s8, exec_lo, s8
	s_cbranch_execz .LBB134_70
; %bb.69:                               ;   in Loop: Header=BB134_4 Depth=2
	ds_store_b32 v68, v166
.LBB134_70:                             ;   in Loop: Header=BB134_4 Depth=2
	s_or_b32 exec_lo, exec_lo, s8
	s_waitcnt lgkmcnt(0)
	s_barrier
	buffer_gl0_inv
	s_and_saveexec_b32 s8, s5
	s_cbranch_execz .LBB134_72
; %bb.71:                               ;   in Loop: Header=BB134_4 Depth=2
	ds_load_b32 v167, v66
	s_waitcnt lgkmcnt(0)
	v_mov_b32_dpp v168, v167 row_shr:1 row_mask:0xf bank_mask:0xf
	s_delay_alu instid0(VALU_DEP_1) | instskip(NEXT) | instid1(VALU_DEP_1)
	v_cndmask_b32_e64 v168, v168, 0, s0
	v_add_nc_u32_e32 v167, v168, v167
	s_delay_alu instid0(VALU_DEP_1) | instskip(NEXT) | instid1(VALU_DEP_1)
	v_mov_b32_dpp v168, v167 row_shr:2 row_mask:0xf bank_mask:0xf
	v_cndmask_b32_e64 v168, 0, v168, s1
	s_delay_alu instid0(VALU_DEP_1) | instskip(NEXT) | instid1(VALU_DEP_1)
	v_add_nc_u32_e32 v167, v167, v168
	v_mov_b32_dpp v168, v167 row_shr:4 row_mask:0xf bank_mask:0xf
	s_delay_alu instid0(VALU_DEP_1) | instskip(NEXT) | instid1(VALU_DEP_1)
	v_cndmask_b32_e64 v168, 0, v168, s2
	v_add_nc_u32_e32 v167, v167, v168
	s_delay_alu instid0(VALU_DEP_1) | instskip(NEXT) | instid1(VALU_DEP_1)
	v_mov_b32_dpp v168, v167 row_shr:8 row_mask:0xf bank_mask:0xf
	v_cndmask_b32_e64 v168, 0, v168, s3
	s_delay_alu instid0(VALU_DEP_1)
	v_add_nc_u32_e32 v167, v167, v168
	ds_store_b32 v66, v167
.LBB134_72:                             ;   in Loop: Header=BB134_4 Depth=2
	s_or_b32 exec_lo, exec_lo, s8
	v_mov_b32_e32 v167, 0
	s_waitcnt lgkmcnt(0)
	s_barrier
	buffer_gl0_inv
	s_and_saveexec_b32 s8, s6
	s_cbranch_execz .LBB134_3
; %bb.73:                               ;   in Loop: Header=BB134_4 Depth=2
	ds_load_b32 v167, v70
	s_branch .LBB134_3
.LBB134_74:
	ds_load_b32 v1, v75
	ds_load_b32 v3, v78
	;; [unrolled: 1-line block ×32, first 2 shown]
	s_lshl_b64 s[0:1], s[12:13], 2
	v_lshlrev_b32_e32 v0, 2, v0
	s_add_u32 s0, s10, s0
	s_waitcnt lgkmcnt(31)
	v_add3_u32 v2, v74, v73, v1
	s_waitcnt lgkmcnt(30)
	v_add3_u32 v3, v77, v76, v3
	;; [unrolled: 2-line block ×3, first 2 shown]
	s_waitcnt lgkmcnt(28)
	v_add_nc_u32_e32 v1, v5, v71
	s_waitcnt lgkmcnt(27)
	v_add3_u32 v8, v92, v91, v8
	s_waitcnt lgkmcnt(26)
	v_add3_u32 v7, v89, v88, v7
	;; [unrolled: 2-line block ×12, first 2 shown]
	s_addc_u32 s1, s11, s1
	s_waitcnt lgkmcnt(8)
	v_add3_u32 v17, v119, v118, v25
	v_add3_u32 v18, v122, v121, v18
	;; [unrolled: 1-line block ×8, first 2 shown]
	s_waitcnt lgkmcnt(0)
	v_add3_u32 v25, v143, v142, v33
	v_add3_u32 v26, v146, v145, v26
	;; [unrolled: 1-line block ×8, first 2 shown]
	s_clause 0x7
	global_store_b128 v0, v[1:4], s[0:1]
	global_store_b128 v0, v[5:8], s[0:1] offset:16
	global_store_b128 v0, v[9:12], s[0:1] offset:32
	;; [unrolled: 1-line block ×7, first 2 shown]
	s_nop 0
	s_sendmsg sendmsg(MSG_DEALLOC_VGPRS)
	s_endpgm
	.section	.rodata,"a",@progbits
	.p2align	6, 0x0
	.amdhsa_kernel _Z11rank_kernelIxLj4ELb0EL18RadixRankAlgorithm2ELj512ELj32ELj10EEvPKT_Pi
		.amdhsa_group_segment_fixed_size 2112
		.amdhsa_private_segment_fixed_size 0
		.amdhsa_kernarg_size 272
		.amdhsa_user_sgpr_count 15
		.amdhsa_user_sgpr_dispatch_ptr 0
		.amdhsa_user_sgpr_queue_ptr 0
		.amdhsa_user_sgpr_kernarg_segment_ptr 1
		.amdhsa_user_sgpr_dispatch_id 0
		.amdhsa_user_sgpr_private_segment_size 0
		.amdhsa_wavefront_size32 1
		.amdhsa_uses_dynamic_stack 0
		.amdhsa_enable_private_segment 0
		.amdhsa_system_sgpr_workgroup_id_x 1
		.amdhsa_system_sgpr_workgroup_id_y 0
		.amdhsa_system_sgpr_workgroup_id_z 0
		.amdhsa_system_sgpr_workgroup_info 0
		.amdhsa_system_vgpr_workitem_id 2
		.amdhsa_next_free_vgpr 170
		.amdhsa_next_free_sgpr 18
		.amdhsa_reserve_vcc 1
		.amdhsa_float_round_mode_32 0
		.amdhsa_float_round_mode_16_64 0
		.amdhsa_float_denorm_mode_32 3
		.amdhsa_float_denorm_mode_16_64 3
		.amdhsa_dx10_clamp 1
		.amdhsa_ieee_mode 1
		.amdhsa_fp16_overflow 0
		.amdhsa_workgroup_processor_mode 1
		.amdhsa_memory_ordered 1
		.amdhsa_forward_progress 0
		.amdhsa_shared_vgpr_count 0
		.amdhsa_exception_fp_ieee_invalid_op 0
		.amdhsa_exception_fp_denorm_src 0
		.amdhsa_exception_fp_ieee_div_zero 0
		.amdhsa_exception_fp_ieee_overflow 0
		.amdhsa_exception_fp_ieee_underflow 0
		.amdhsa_exception_fp_ieee_inexact 0
		.amdhsa_exception_int_div_zero 0
	.end_amdhsa_kernel
	.section	.text._Z11rank_kernelIxLj4ELb0EL18RadixRankAlgorithm2ELj512ELj32ELj10EEvPKT_Pi,"axG",@progbits,_Z11rank_kernelIxLj4ELb0EL18RadixRankAlgorithm2ELj512ELj32ELj10EEvPKT_Pi,comdat
.Lfunc_end134:
	.size	_Z11rank_kernelIxLj4ELb0EL18RadixRankAlgorithm2ELj512ELj32ELj10EEvPKT_Pi, .Lfunc_end134-_Z11rank_kernelIxLj4ELb0EL18RadixRankAlgorithm2ELj512ELj32ELj10EEvPKT_Pi
                                        ; -- End function
	.section	.AMDGPU.csdata,"",@progbits
; Kernel info:
; codeLenInByte = 9952
; NumSgprs: 20
; NumVgprs: 170
; ScratchSize: 0
; MemoryBound: 1
; FloatMode: 240
; IeeeMode: 1
; LDSByteSize: 2112 bytes/workgroup (compile time only)
; SGPRBlocks: 2
; VGPRBlocks: 21
; NumSGPRsForWavesPerEU: 20
; NumVGPRsForWavesPerEU: 170
; Occupancy: 8
; WaveLimiterHint : 0
; COMPUTE_PGM_RSRC2:SCRATCH_EN: 0
; COMPUTE_PGM_RSRC2:USER_SGPR: 15
; COMPUTE_PGM_RSRC2:TRAP_HANDLER: 0
; COMPUTE_PGM_RSRC2:TGID_X_EN: 1
; COMPUTE_PGM_RSRC2:TGID_Y_EN: 0
; COMPUTE_PGM_RSRC2:TGID_Z_EN: 0
; COMPUTE_PGM_RSRC2:TIDIG_COMP_CNT: 2
	.text
	.p2alignl 7, 3214868480
	.fill 96, 4, 3214868480
	.type	__hip_cuid_44c0a5645df0986d,@object ; @__hip_cuid_44c0a5645df0986d
	.section	.bss,"aw",@nobits
	.globl	__hip_cuid_44c0a5645df0986d
__hip_cuid_44c0a5645df0986d:
	.byte	0                               ; 0x0
	.size	__hip_cuid_44c0a5645df0986d, 1

	.ident	"AMD clang version 19.0.0git (https://github.com/RadeonOpenCompute/llvm-project roc-6.4.0 25133 c7fe45cf4b819c5991fe208aaa96edf142730f1d)"
	.section	".note.GNU-stack","",@progbits
	.addrsig
	.addrsig_sym __hip_cuid_44c0a5645df0986d
	.amdgpu_metadata
---
amdhsa.kernels:
  - .args:
      - .address_space:  global
        .offset:         0
        .size:           8
        .value_kind:     global_buffer
      - .address_space:  global
        .offset:         8
        .size:           8
        .value_kind:     global_buffer
    .group_segment_fixed_size: 4112
    .kernarg_segment_align: 8
    .kernarg_segment_size: 16
    .language:       OpenCL C
    .language_version:
      - 2
      - 0
    .max_flat_workgroup_size: 128
    .name:           _Z11rank_kernelIiLj4ELb0EL18RadixRankAlgorithm0ELj128ELj1ELj10EEvPKT_Pi
    .private_segment_fixed_size: 0
    .sgpr_count:     22
    .sgpr_spill_count: 0
    .symbol:         _Z11rank_kernelIiLj4ELb0EL18RadixRankAlgorithm0ELj128ELj1ELj10EEvPKT_Pi.kd
    .uniform_work_group_size: 1
    .uses_dynamic_stack: false
    .vgpr_count:     18
    .vgpr_spill_count: 0
    .wavefront_size: 32
    .workgroup_processor_mode: 1
  - .args:
      - .address_space:  global
        .offset:         0
        .size:           8
        .value_kind:     global_buffer
      - .address_space:  global
        .offset:         8
        .size:           8
        .value_kind:     global_buffer
    .group_segment_fixed_size: 4112
    .kernarg_segment_align: 8
    .kernarg_segment_size: 16
    .language:       OpenCL C
    .language_version:
      - 2
      - 0
    .max_flat_workgroup_size: 128
    .name:           _Z11rank_kernelIiLj4ELb0EL18RadixRankAlgorithm1ELj128ELj1ELj10EEvPKT_Pi
    .private_segment_fixed_size: 0
    .sgpr_count:     22
    .sgpr_spill_count: 0
    .symbol:         _Z11rank_kernelIiLj4ELb0EL18RadixRankAlgorithm1ELj128ELj1ELj10EEvPKT_Pi.kd
    .uniform_work_group_size: 1
    .uses_dynamic_stack: false
    .vgpr_count:     20
    .vgpr_spill_count: 0
    .wavefront_size: 32
    .workgroup_processor_mode: 1
  - .args:
      - .address_space:  global
        .offset:         0
        .size:           8
        .value_kind:     global_buffer
      - .address_space:  global
        .offset:         8
        .size:           8
        .value_kind:     global_buffer
      - .offset:         16
        .size:           4
        .value_kind:     hidden_block_count_x
      - .offset:         20
        .size:           4
        .value_kind:     hidden_block_count_y
      - .offset:         24
        .size:           4
        .value_kind:     hidden_block_count_z
      - .offset:         28
        .size:           2
        .value_kind:     hidden_group_size_x
      - .offset:         30
        .size:           2
        .value_kind:     hidden_group_size_y
      - .offset:         32
        .size:           2
        .value_kind:     hidden_group_size_z
      - .offset:         34
        .size:           2
        .value_kind:     hidden_remainder_x
      - .offset:         36
        .size:           2
        .value_kind:     hidden_remainder_y
      - .offset:         38
        .size:           2
        .value_kind:     hidden_remainder_z
      - .offset:         56
        .size:           8
        .value_kind:     hidden_global_offset_x
      - .offset:         64
        .size:           8
        .value_kind:     hidden_global_offset_y
      - .offset:         72
        .size:           8
        .value_kind:     hidden_global_offset_z
      - .offset:         80
        .size:           2
        .value_kind:     hidden_grid_dims
    .group_segment_fixed_size: 528
    .kernarg_segment_align: 8
    .kernarg_segment_size: 272
    .language:       OpenCL C
    .language_version:
      - 2
      - 0
    .max_flat_workgroup_size: 128
    .name:           _Z11rank_kernelIiLj4ELb0EL18RadixRankAlgorithm2ELj128ELj1ELj10EEvPKT_Pi
    .private_segment_fixed_size: 0
    .sgpr_count:     24
    .sgpr_spill_count: 0
    .symbol:         _Z11rank_kernelIiLj4ELb0EL18RadixRankAlgorithm2ELj128ELj1ELj10EEvPKT_Pi.kd
    .uniform_work_group_size: 1
    .uses_dynamic_stack: false
    .vgpr_count:     15
    .vgpr_spill_count: 0
    .wavefront_size: 32
    .workgroup_processor_mode: 1
  - .args:
      - .address_space:  global
        .offset:         0
        .size:           8
        .value_kind:     global_buffer
      - .address_space:  global
        .offset:         8
        .size:           8
        .value_kind:     global_buffer
    .group_segment_fixed_size: 4112
    .kernarg_segment_align: 8
    .kernarg_segment_size: 16
    .language:       OpenCL C
    .language_version:
      - 2
      - 0
    .max_flat_workgroup_size: 128
    .name:           _Z11rank_kernelIiLj4ELb0EL18RadixRankAlgorithm0ELj128ELj4ELj10EEvPKT_Pi
    .private_segment_fixed_size: 0
    .sgpr_count:     22
    .sgpr_spill_count: 0
    .symbol:         _Z11rank_kernelIiLj4ELb0EL18RadixRankAlgorithm0ELj128ELj4ELj10EEvPKT_Pi.kd
    .uniform_work_group_size: 1
    .uses_dynamic_stack: false
    .vgpr_count:     27
    .vgpr_spill_count: 0
    .wavefront_size: 32
    .workgroup_processor_mode: 1
  - .args:
      - .address_space:  global
        .offset:         0
        .size:           8
        .value_kind:     global_buffer
      - .address_space:  global
        .offset:         8
        .size:           8
        .value_kind:     global_buffer
    .group_segment_fixed_size: 4112
    .kernarg_segment_align: 8
    .kernarg_segment_size: 16
    .language:       OpenCL C
    .language_version:
      - 2
      - 0
    .max_flat_workgroup_size: 128
    .name:           _Z11rank_kernelIiLj4ELb0EL18RadixRankAlgorithm1ELj128ELj4ELj10EEvPKT_Pi
    .private_segment_fixed_size: 0
    .sgpr_count:     22
    .sgpr_spill_count: 0
    .symbol:         _Z11rank_kernelIiLj4ELb0EL18RadixRankAlgorithm1ELj128ELj4ELj10EEvPKT_Pi.kd
    .uniform_work_group_size: 1
    .uses_dynamic_stack: false
    .vgpr_count:     29
    .vgpr_spill_count: 0
    .wavefront_size: 32
    .workgroup_processor_mode: 1
  - .args:
      - .address_space:  global
        .offset:         0
        .size:           8
        .value_kind:     global_buffer
      - .address_space:  global
        .offset:         8
        .size:           8
        .value_kind:     global_buffer
      - .offset:         16
        .size:           4
        .value_kind:     hidden_block_count_x
      - .offset:         20
        .size:           4
        .value_kind:     hidden_block_count_y
      - .offset:         24
        .size:           4
        .value_kind:     hidden_block_count_z
      - .offset:         28
        .size:           2
        .value_kind:     hidden_group_size_x
      - .offset:         30
        .size:           2
        .value_kind:     hidden_group_size_y
      - .offset:         32
        .size:           2
        .value_kind:     hidden_group_size_z
      - .offset:         34
        .size:           2
        .value_kind:     hidden_remainder_x
      - .offset:         36
        .size:           2
        .value_kind:     hidden_remainder_y
      - .offset:         38
        .size:           2
        .value_kind:     hidden_remainder_z
      - .offset:         56
        .size:           8
        .value_kind:     hidden_global_offset_x
      - .offset:         64
        .size:           8
        .value_kind:     hidden_global_offset_y
      - .offset:         72
        .size:           8
        .value_kind:     hidden_global_offset_z
      - .offset:         80
        .size:           2
        .value_kind:     hidden_grid_dims
    .group_segment_fixed_size: 528
    .kernarg_segment_align: 8
    .kernarg_segment_size: 272
    .language:       OpenCL C
    .language_version:
      - 2
      - 0
    .max_flat_workgroup_size: 128
    .name:           _Z11rank_kernelIiLj4ELb0EL18RadixRankAlgorithm2ELj128ELj4ELj10EEvPKT_Pi
    .private_segment_fixed_size: 0
    .sgpr_count:     24
    .sgpr_spill_count: 0
    .symbol:         _Z11rank_kernelIiLj4ELb0EL18RadixRankAlgorithm2ELj128ELj4ELj10EEvPKT_Pi.kd
    .uniform_work_group_size: 1
    .uses_dynamic_stack: false
    .vgpr_count:     25
    .vgpr_spill_count: 0
    .wavefront_size: 32
    .workgroup_processor_mode: 1
  - .args:
      - .address_space:  global
        .offset:         0
        .size:           8
        .value_kind:     global_buffer
      - .address_space:  global
        .offset:         8
        .size:           8
        .value_kind:     global_buffer
    .group_segment_fixed_size: 4112
    .kernarg_segment_align: 8
    .kernarg_segment_size: 16
    .language:       OpenCL C
    .language_version:
      - 2
      - 0
    .max_flat_workgroup_size: 128
    .name:           _Z11rank_kernelIiLj4ELb0EL18RadixRankAlgorithm0ELj128ELj8ELj10EEvPKT_Pi
    .private_segment_fixed_size: 0
    .sgpr_count:     22
    .sgpr_spill_count: 0
    .symbol:         _Z11rank_kernelIiLj4ELb0EL18RadixRankAlgorithm0ELj128ELj8ELj10EEvPKT_Pi.kd
    .uniform_work_group_size: 1
    .uses_dynamic_stack: false
    .vgpr_count:     40
    .vgpr_spill_count: 0
    .wavefront_size: 32
    .workgroup_processor_mode: 1
  - .args:
      - .address_space:  global
        .offset:         0
        .size:           8
        .value_kind:     global_buffer
      - .address_space:  global
        .offset:         8
        .size:           8
        .value_kind:     global_buffer
    .group_segment_fixed_size: 4112
    .kernarg_segment_align: 8
    .kernarg_segment_size: 16
    .language:       OpenCL C
    .language_version:
      - 2
      - 0
    .max_flat_workgroup_size: 128
    .name:           _Z11rank_kernelIiLj4ELb0EL18RadixRankAlgorithm1ELj128ELj8ELj10EEvPKT_Pi
    .private_segment_fixed_size: 0
    .sgpr_count:     22
    .sgpr_spill_count: 0
    .symbol:         _Z11rank_kernelIiLj4ELb0EL18RadixRankAlgorithm1ELj128ELj8ELj10EEvPKT_Pi.kd
    .uniform_work_group_size: 1
    .uses_dynamic_stack: false
    .vgpr_count:     42
    .vgpr_spill_count: 0
    .wavefront_size: 32
    .workgroup_processor_mode: 1
  - .args:
      - .address_space:  global
        .offset:         0
        .size:           8
        .value_kind:     global_buffer
      - .address_space:  global
        .offset:         8
        .size:           8
        .value_kind:     global_buffer
      - .offset:         16
        .size:           4
        .value_kind:     hidden_block_count_x
      - .offset:         20
        .size:           4
        .value_kind:     hidden_block_count_y
      - .offset:         24
        .size:           4
        .value_kind:     hidden_block_count_z
      - .offset:         28
        .size:           2
        .value_kind:     hidden_group_size_x
      - .offset:         30
        .size:           2
        .value_kind:     hidden_group_size_y
      - .offset:         32
        .size:           2
        .value_kind:     hidden_group_size_z
      - .offset:         34
        .size:           2
        .value_kind:     hidden_remainder_x
      - .offset:         36
        .size:           2
        .value_kind:     hidden_remainder_y
      - .offset:         38
        .size:           2
        .value_kind:     hidden_remainder_z
      - .offset:         56
        .size:           8
        .value_kind:     hidden_global_offset_x
      - .offset:         64
        .size:           8
        .value_kind:     hidden_global_offset_y
      - .offset:         72
        .size:           8
        .value_kind:     hidden_global_offset_z
      - .offset:         80
        .size:           2
        .value_kind:     hidden_grid_dims
    .group_segment_fixed_size: 528
    .kernarg_segment_align: 8
    .kernarg_segment_size: 272
    .language:       OpenCL C
    .language_version:
      - 2
      - 0
    .max_flat_workgroup_size: 128
    .name:           _Z11rank_kernelIiLj4ELb0EL18RadixRankAlgorithm2ELj128ELj8ELj10EEvPKT_Pi
    .private_segment_fixed_size: 0
    .sgpr_count:     24
    .sgpr_spill_count: 0
    .symbol:         _Z11rank_kernelIiLj4ELb0EL18RadixRankAlgorithm2ELj128ELj8ELj10EEvPKT_Pi.kd
    .uniform_work_group_size: 1
    .uses_dynamic_stack: false
    .vgpr_count:     42
    .vgpr_spill_count: 0
    .wavefront_size: 32
    .workgroup_processor_mode: 1
  - .args:
      - .address_space:  global
        .offset:         0
        .size:           8
        .value_kind:     global_buffer
      - .address_space:  global
        .offset:         8
        .size:           8
        .value_kind:     global_buffer
    .group_segment_fixed_size: 4112
    .kernarg_segment_align: 8
    .kernarg_segment_size: 16
    .language:       OpenCL C
    .language_version:
      - 2
      - 0
    .max_flat_workgroup_size: 128
    .name:           _Z11rank_kernelIiLj4ELb0EL18RadixRankAlgorithm0ELj128ELj16ELj10EEvPKT_Pi
    .private_segment_fixed_size: 0
    .sgpr_count:     22
    .sgpr_spill_count: 0
    .symbol:         _Z11rank_kernelIiLj4ELb0EL18RadixRankAlgorithm0ELj128ELj16ELj10EEvPKT_Pi.kd
    .uniform_work_group_size: 1
    .uses_dynamic_stack: false
    .vgpr_count:     64
    .vgpr_spill_count: 0
    .wavefront_size: 32
    .workgroup_processor_mode: 1
  - .args:
      - .address_space:  global
        .offset:         0
        .size:           8
        .value_kind:     global_buffer
      - .address_space:  global
        .offset:         8
        .size:           8
        .value_kind:     global_buffer
    .group_segment_fixed_size: 4112
    .kernarg_segment_align: 8
    .kernarg_segment_size: 16
    .language:       OpenCL C
    .language_version:
      - 2
      - 0
    .max_flat_workgroup_size: 128
    .name:           _Z11rank_kernelIiLj4ELb0EL18RadixRankAlgorithm1ELj128ELj16ELj10EEvPKT_Pi
    .private_segment_fixed_size: 0
    .sgpr_count:     22
    .sgpr_spill_count: 0
    .symbol:         _Z11rank_kernelIiLj4ELb0EL18RadixRankAlgorithm1ELj128ELj16ELj10EEvPKT_Pi.kd
    .uniform_work_group_size: 1
    .uses_dynamic_stack: false
    .vgpr_count:     66
    .vgpr_spill_count: 0
    .wavefront_size: 32
    .workgroup_processor_mode: 1
  - .args:
      - .address_space:  global
        .offset:         0
        .size:           8
        .value_kind:     global_buffer
      - .address_space:  global
        .offset:         8
        .size:           8
        .value_kind:     global_buffer
      - .offset:         16
        .size:           4
        .value_kind:     hidden_block_count_x
      - .offset:         20
        .size:           4
        .value_kind:     hidden_block_count_y
      - .offset:         24
        .size:           4
        .value_kind:     hidden_block_count_z
      - .offset:         28
        .size:           2
        .value_kind:     hidden_group_size_x
      - .offset:         30
        .size:           2
        .value_kind:     hidden_group_size_y
      - .offset:         32
        .size:           2
        .value_kind:     hidden_group_size_z
      - .offset:         34
        .size:           2
        .value_kind:     hidden_remainder_x
      - .offset:         36
        .size:           2
        .value_kind:     hidden_remainder_y
      - .offset:         38
        .size:           2
        .value_kind:     hidden_remainder_z
      - .offset:         56
        .size:           8
        .value_kind:     hidden_global_offset_x
      - .offset:         64
        .size:           8
        .value_kind:     hidden_global_offset_y
      - .offset:         72
        .size:           8
        .value_kind:     hidden_global_offset_z
      - .offset:         80
        .size:           2
        .value_kind:     hidden_grid_dims
    .group_segment_fixed_size: 528
    .kernarg_segment_align: 8
    .kernarg_segment_size: 272
    .language:       OpenCL C
    .language_version:
      - 2
      - 0
    .max_flat_workgroup_size: 128
    .name:           _Z11rank_kernelIiLj4ELb0EL18RadixRankAlgorithm2ELj128ELj16ELj10EEvPKT_Pi
    .private_segment_fixed_size: 0
    .sgpr_count:     24
    .sgpr_spill_count: 0
    .symbol:         _Z11rank_kernelIiLj4ELb0EL18RadixRankAlgorithm2ELj128ELj16ELj10EEvPKT_Pi.kd
    .uniform_work_group_size: 1
    .uses_dynamic_stack: false
    .vgpr_count:     74
    .vgpr_spill_count: 0
    .wavefront_size: 32
    .workgroup_processor_mode: 1
  - .args:
      - .address_space:  global
        .offset:         0
        .size:           8
        .value_kind:     global_buffer
      - .address_space:  global
        .offset:         8
        .size:           8
        .value_kind:     global_buffer
    .group_segment_fixed_size: 4112
    .kernarg_segment_align: 8
    .kernarg_segment_size: 16
    .language:       OpenCL C
    .language_version:
      - 2
      - 0
    .max_flat_workgroup_size: 128
    .name:           _Z11rank_kernelIiLj4ELb0EL18RadixRankAlgorithm0ELj128ELj32ELj10EEvPKT_Pi
    .private_segment_fixed_size: 0
    .sgpr_count:     22
    .sgpr_spill_count: 0
    .symbol:         _Z11rank_kernelIiLj4ELb0EL18RadixRankAlgorithm0ELj128ELj32ELj10EEvPKT_Pi.kd
    .uniform_work_group_size: 1
    .uses_dynamic_stack: false
    .vgpr_count:     111
    .vgpr_spill_count: 0
    .wavefront_size: 32
    .workgroup_processor_mode: 1
  - .args:
      - .address_space:  global
        .offset:         0
        .size:           8
        .value_kind:     global_buffer
      - .address_space:  global
        .offset:         8
        .size:           8
        .value_kind:     global_buffer
    .group_segment_fixed_size: 4112
    .kernarg_segment_align: 8
    .kernarg_segment_size: 16
    .language:       OpenCL C
    .language_version:
      - 2
      - 0
    .max_flat_workgroup_size: 128
    .name:           _Z11rank_kernelIiLj4ELb0EL18RadixRankAlgorithm1ELj128ELj32ELj10EEvPKT_Pi
    .private_segment_fixed_size: 0
    .sgpr_count:     22
    .sgpr_spill_count: 0
    .symbol:         _Z11rank_kernelIiLj4ELb0EL18RadixRankAlgorithm1ELj128ELj32ELj10EEvPKT_Pi.kd
    .uniform_work_group_size: 1
    .uses_dynamic_stack: false
    .vgpr_count:     113
    .vgpr_spill_count: 0
    .wavefront_size: 32
    .workgroup_processor_mode: 1
  - .args:
      - .address_space:  global
        .offset:         0
        .size:           8
        .value_kind:     global_buffer
      - .address_space:  global
        .offset:         8
        .size:           8
        .value_kind:     global_buffer
      - .offset:         16
        .size:           4
        .value_kind:     hidden_block_count_x
      - .offset:         20
        .size:           4
        .value_kind:     hidden_block_count_y
      - .offset:         24
        .size:           4
        .value_kind:     hidden_block_count_z
      - .offset:         28
        .size:           2
        .value_kind:     hidden_group_size_x
      - .offset:         30
        .size:           2
        .value_kind:     hidden_group_size_y
      - .offset:         32
        .size:           2
        .value_kind:     hidden_group_size_z
      - .offset:         34
        .size:           2
        .value_kind:     hidden_remainder_x
      - .offset:         36
        .size:           2
        .value_kind:     hidden_remainder_y
      - .offset:         38
        .size:           2
        .value_kind:     hidden_remainder_z
      - .offset:         56
        .size:           8
        .value_kind:     hidden_global_offset_x
      - .offset:         64
        .size:           8
        .value_kind:     hidden_global_offset_y
      - .offset:         72
        .size:           8
        .value_kind:     hidden_global_offset_z
      - .offset:         80
        .size:           2
        .value_kind:     hidden_grid_dims
    .group_segment_fixed_size: 528
    .kernarg_segment_align: 8
    .kernarg_segment_size: 272
    .language:       OpenCL C
    .language_version:
      - 2
      - 0
    .max_flat_workgroup_size: 128
    .name:           _Z11rank_kernelIiLj4ELb0EL18RadixRankAlgorithm2ELj128ELj32ELj10EEvPKT_Pi
    .private_segment_fixed_size: 0
    .sgpr_count:     24
    .sgpr_spill_count: 0
    .symbol:         _Z11rank_kernelIiLj4ELb0EL18RadixRankAlgorithm2ELj128ELj32ELj10EEvPKT_Pi.kd
    .uniform_work_group_size: 1
    .uses_dynamic_stack: false
    .vgpr_count:     138
    .vgpr_spill_count: 0
    .wavefront_size: 32
    .workgroup_processor_mode: 1
  - .args:
      - .address_space:  global
        .offset:         0
        .size:           8
        .value_kind:     global_buffer
      - .address_space:  global
        .offset:         8
        .size:           8
        .value_kind:     global_buffer
    .group_segment_fixed_size: 8224
    .kernarg_segment_align: 8
    .kernarg_segment_size: 16
    .language:       OpenCL C
    .language_version:
      - 2
      - 0
    .max_flat_workgroup_size: 256
    .name:           _Z11rank_kernelIiLj4ELb0EL18RadixRankAlgorithm0ELj256ELj1ELj10EEvPKT_Pi
    .private_segment_fixed_size: 0
    .sgpr_count:     24
    .sgpr_spill_count: 0
    .symbol:         _Z11rank_kernelIiLj4ELb0EL18RadixRankAlgorithm0ELj256ELj1ELj10EEvPKT_Pi.kd
    .uniform_work_group_size: 1
    .uses_dynamic_stack: false
    .vgpr_count:     18
    .vgpr_spill_count: 0
    .wavefront_size: 32
    .workgroup_processor_mode: 1
  - .args:
      - .address_space:  global
        .offset:         0
        .size:           8
        .value_kind:     global_buffer
      - .address_space:  global
        .offset:         8
        .size:           8
        .value_kind:     global_buffer
    .group_segment_fixed_size: 8224
    .kernarg_segment_align: 8
    .kernarg_segment_size: 16
    .language:       OpenCL C
    .language_version:
      - 2
      - 0
    .max_flat_workgroup_size: 256
    .name:           _Z11rank_kernelIiLj4ELb0EL18RadixRankAlgorithm1ELj256ELj1ELj10EEvPKT_Pi
    .private_segment_fixed_size: 0
    .sgpr_count:     24
    .sgpr_spill_count: 0
    .symbol:         _Z11rank_kernelIiLj4ELb0EL18RadixRankAlgorithm1ELj256ELj1ELj10EEvPKT_Pi.kd
    .uniform_work_group_size: 1
    .uses_dynamic_stack: false
    .vgpr_count:     20
    .vgpr_spill_count: 0
    .wavefront_size: 32
    .workgroup_processor_mode: 1
  - .args:
      - .address_space:  global
        .offset:         0
        .size:           8
        .value_kind:     global_buffer
      - .address_space:  global
        .offset:         8
        .size:           8
        .value_kind:     global_buffer
      - .offset:         16
        .size:           4
        .value_kind:     hidden_block_count_x
      - .offset:         20
        .size:           4
        .value_kind:     hidden_block_count_y
      - .offset:         24
        .size:           4
        .value_kind:     hidden_block_count_z
      - .offset:         28
        .size:           2
        .value_kind:     hidden_group_size_x
      - .offset:         30
        .size:           2
        .value_kind:     hidden_group_size_y
      - .offset:         32
        .size:           2
        .value_kind:     hidden_group_size_z
      - .offset:         34
        .size:           2
        .value_kind:     hidden_remainder_x
      - .offset:         36
        .size:           2
        .value_kind:     hidden_remainder_y
      - .offset:         38
        .size:           2
        .value_kind:     hidden_remainder_z
      - .offset:         56
        .size:           8
        .value_kind:     hidden_global_offset_x
      - .offset:         64
        .size:           8
        .value_kind:     hidden_global_offset_y
      - .offset:         72
        .size:           8
        .value_kind:     hidden_global_offset_z
      - .offset:         80
        .size:           2
        .value_kind:     hidden_grid_dims
    .group_segment_fixed_size: 1056
    .kernarg_segment_align: 8
    .kernarg_segment_size: 272
    .language:       OpenCL C
    .language_version:
      - 2
      - 0
    .max_flat_workgroup_size: 256
    .name:           _Z11rank_kernelIiLj4ELb0EL18RadixRankAlgorithm2ELj256ELj1ELj10EEvPKT_Pi
    .private_segment_fixed_size: 0
    .sgpr_count:     22
    .sgpr_spill_count: 0
    .symbol:         _Z11rank_kernelIiLj4ELb0EL18RadixRankAlgorithm2ELj256ELj1ELj10EEvPKT_Pi.kd
    .uniform_work_group_size: 1
    .uses_dynamic_stack: false
    .vgpr_count:     15
    .vgpr_spill_count: 0
    .wavefront_size: 32
    .workgroup_processor_mode: 1
  - .args:
      - .address_space:  global
        .offset:         0
        .size:           8
        .value_kind:     global_buffer
      - .address_space:  global
        .offset:         8
        .size:           8
        .value_kind:     global_buffer
    .group_segment_fixed_size: 8224
    .kernarg_segment_align: 8
    .kernarg_segment_size: 16
    .language:       OpenCL C
    .language_version:
      - 2
      - 0
    .max_flat_workgroup_size: 256
    .name:           _Z11rank_kernelIiLj4ELb0EL18RadixRankAlgorithm0ELj256ELj4ELj10EEvPKT_Pi
    .private_segment_fixed_size: 0
    .sgpr_count:     24
    .sgpr_spill_count: 0
    .symbol:         _Z11rank_kernelIiLj4ELb0EL18RadixRankAlgorithm0ELj256ELj4ELj10EEvPKT_Pi.kd
    .uniform_work_group_size: 1
    .uses_dynamic_stack: false
    .vgpr_count:     27
    .vgpr_spill_count: 0
    .wavefront_size: 32
    .workgroup_processor_mode: 1
  - .args:
      - .address_space:  global
        .offset:         0
        .size:           8
        .value_kind:     global_buffer
      - .address_space:  global
        .offset:         8
        .size:           8
        .value_kind:     global_buffer
    .group_segment_fixed_size: 8224
    .kernarg_segment_align: 8
    .kernarg_segment_size: 16
    .language:       OpenCL C
    .language_version:
      - 2
      - 0
    .max_flat_workgroup_size: 256
    .name:           _Z11rank_kernelIiLj4ELb0EL18RadixRankAlgorithm1ELj256ELj4ELj10EEvPKT_Pi
    .private_segment_fixed_size: 0
    .sgpr_count:     24
    .sgpr_spill_count: 0
    .symbol:         _Z11rank_kernelIiLj4ELb0EL18RadixRankAlgorithm1ELj256ELj4ELj10EEvPKT_Pi.kd
    .uniform_work_group_size: 1
    .uses_dynamic_stack: false
    .vgpr_count:     29
    .vgpr_spill_count: 0
    .wavefront_size: 32
    .workgroup_processor_mode: 1
  - .args:
      - .address_space:  global
        .offset:         0
        .size:           8
        .value_kind:     global_buffer
      - .address_space:  global
        .offset:         8
        .size:           8
        .value_kind:     global_buffer
      - .offset:         16
        .size:           4
        .value_kind:     hidden_block_count_x
      - .offset:         20
        .size:           4
        .value_kind:     hidden_block_count_y
      - .offset:         24
        .size:           4
        .value_kind:     hidden_block_count_z
      - .offset:         28
        .size:           2
        .value_kind:     hidden_group_size_x
      - .offset:         30
        .size:           2
        .value_kind:     hidden_group_size_y
      - .offset:         32
        .size:           2
        .value_kind:     hidden_group_size_z
      - .offset:         34
        .size:           2
        .value_kind:     hidden_remainder_x
      - .offset:         36
        .size:           2
        .value_kind:     hidden_remainder_y
      - .offset:         38
        .size:           2
        .value_kind:     hidden_remainder_z
      - .offset:         56
        .size:           8
        .value_kind:     hidden_global_offset_x
      - .offset:         64
        .size:           8
        .value_kind:     hidden_global_offset_y
      - .offset:         72
        .size:           8
        .value_kind:     hidden_global_offset_z
      - .offset:         80
        .size:           2
        .value_kind:     hidden_grid_dims
    .group_segment_fixed_size: 1056
    .kernarg_segment_align: 8
    .kernarg_segment_size: 272
    .language:       OpenCL C
    .language_version:
      - 2
      - 0
    .max_flat_workgroup_size: 256
    .name:           _Z11rank_kernelIiLj4ELb0EL18RadixRankAlgorithm2ELj256ELj4ELj10EEvPKT_Pi
    .private_segment_fixed_size: 0
    .sgpr_count:     22
    .sgpr_spill_count: 0
    .symbol:         _Z11rank_kernelIiLj4ELb0EL18RadixRankAlgorithm2ELj256ELj4ELj10EEvPKT_Pi.kd
    .uniform_work_group_size: 1
    .uses_dynamic_stack: false
    .vgpr_count:     25
    .vgpr_spill_count: 0
    .wavefront_size: 32
    .workgroup_processor_mode: 1
  - .args:
      - .address_space:  global
        .offset:         0
        .size:           8
        .value_kind:     global_buffer
      - .address_space:  global
        .offset:         8
        .size:           8
        .value_kind:     global_buffer
    .group_segment_fixed_size: 8224
    .kernarg_segment_align: 8
    .kernarg_segment_size: 16
    .language:       OpenCL C
    .language_version:
      - 2
      - 0
    .max_flat_workgroup_size: 256
    .name:           _Z11rank_kernelIiLj4ELb0EL18RadixRankAlgorithm0ELj256ELj8ELj10EEvPKT_Pi
    .private_segment_fixed_size: 0
    .sgpr_count:     24
    .sgpr_spill_count: 0
    .symbol:         _Z11rank_kernelIiLj4ELb0EL18RadixRankAlgorithm0ELj256ELj8ELj10EEvPKT_Pi.kd
    .uniform_work_group_size: 1
    .uses_dynamic_stack: false
    .vgpr_count:     40
    .vgpr_spill_count: 0
    .wavefront_size: 32
    .workgroup_processor_mode: 1
  - .args:
      - .address_space:  global
        .offset:         0
        .size:           8
        .value_kind:     global_buffer
      - .address_space:  global
        .offset:         8
        .size:           8
        .value_kind:     global_buffer
    .group_segment_fixed_size: 8224
    .kernarg_segment_align: 8
    .kernarg_segment_size: 16
    .language:       OpenCL C
    .language_version:
      - 2
      - 0
    .max_flat_workgroup_size: 256
    .name:           _Z11rank_kernelIiLj4ELb0EL18RadixRankAlgorithm1ELj256ELj8ELj10EEvPKT_Pi
    .private_segment_fixed_size: 0
    .sgpr_count:     24
    .sgpr_spill_count: 0
    .symbol:         _Z11rank_kernelIiLj4ELb0EL18RadixRankAlgorithm1ELj256ELj8ELj10EEvPKT_Pi.kd
    .uniform_work_group_size: 1
    .uses_dynamic_stack: false
    .vgpr_count:     42
    .vgpr_spill_count: 0
    .wavefront_size: 32
    .workgroup_processor_mode: 1
  - .args:
      - .address_space:  global
        .offset:         0
        .size:           8
        .value_kind:     global_buffer
      - .address_space:  global
        .offset:         8
        .size:           8
        .value_kind:     global_buffer
      - .offset:         16
        .size:           4
        .value_kind:     hidden_block_count_x
      - .offset:         20
        .size:           4
        .value_kind:     hidden_block_count_y
      - .offset:         24
        .size:           4
        .value_kind:     hidden_block_count_z
      - .offset:         28
        .size:           2
        .value_kind:     hidden_group_size_x
      - .offset:         30
        .size:           2
        .value_kind:     hidden_group_size_y
      - .offset:         32
        .size:           2
        .value_kind:     hidden_group_size_z
      - .offset:         34
        .size:           2
        .value_kind:     hidden_remainder_x
      - .offset:         36
        .size:           2
        .value_kind:     hidden_remainder_y
      - .offset:         38
        .size:           2
        .value_kind:     hidden_remainder_z
      - .offset:         56
        .size:           8
        .value_kind:     hidden_global_offset_x
      - .offset:         64
        .size:           8
        .value_kind:     hidden_global_offset_y
      - .offset:         72
        .size:           8
        .value_kind:     hidden_global_offset_z
      - .offset:         80
        .size:           2
        .value_kind:     hidden_grid_dims
    .group_segment_fixed_size: 1056
    .kernarg_segment_align: 8
    .kernarg_segment_size: 272
    .language:       OpenCL C
    .language_version:
      - 2
      - 0
    .max_flat_workgroup_size: 256
    .name:           _Z11rank_kernelIiLj4ELb0EL18RadixRankAlgorithm2ELj256ELj8ELj10EEvPKT_Pi
    .private_segment_fixed_size: 0
    .sgpr_count:     22
    .sgpr_spill_count: 0
    .symbol:         _Z11rank_kernelIiLj4ELb0EL18RadixRankAlgorithm2ELj256ELj8ELj10EEvPKT_Pi.kd
    .uniform_work_group_size: 1
    .uses_dynamic_stack: false
    .vgpr_count:     42
    .vgpr_spill_count: 0
    .wavefront_size: 32
    .workgroup_processor_mode: 1
  - .args:
      - .address_space:  global
        .offset:         0
        .size:           8
        .value_kind:     global_buffer
      - .address_space:  global
        .offset:         8
        .size:           8
        .value_kind:     global_buffer
    .group_segment_fixed_size: 8224
    .kernarg_segment_align: 8
    .kernarg_segment_size: 16
    .language:       OpenCL C
    .language_version:
      - 2
      - 0
    .max_flat_workgroup_size: 256
    .name:           _Z11rank_kernelIiLj4ELb0EL18RadixRankAlgorithm0ELj256ELj16ELj10EEvPKT_Pi
    .private_segment_fixed_size: 0
    .sgpr_count:     24
    .sgpr_spill_count: 0
    .symbol:         _Z11rank_kernelIiLj4ELb0EL18RadixRankAlgorithm0ELj256ELj16ELj10EEvPKT_Pi.kd
    .uniform_work_group_size: 1
    .uses_dynamic_stack: false
    .vgpr_count:     64
    .vgpr_spill_count: 0
    .wavefront_size: 32
    .workgroup_processor_mode: 1
  - .args:
      - .address_space:  global
        .offset:         0
        .size:           8
        .value_kind:     global_buffer
      - .address_space:  global
        .offset:         8
        .size:           8
        .value_kind:     global_buffer
    .group_segment_fixed_size: 8224
    .kernarg_segment_align: 8
    .kernarg_segment_size: 16
    .language:       OpenCL C
    .language_version:
      - 2
      - 0
    .max_flat_workgroup_size: 256
    .name:           _Z11rank_kernelIiLj4ELb0EL18RadixRankAlgorithm1ELj256ELj16ELj10EEvPKT_Pi
    .private_segment_fixed_size: 0
    .sgpr_count:     24
    .sgpr_spill_count: 0
    .symbol:         _Z11rank_kernelIiLj4ELb0EL18RadixRankAlgorithm1ELj256ELj16ELj10EEvPKT_Pi.kd
    .uniform_work_group_size: 1
    .uses_dynamic_stack: false
    .vgpr_count:     66
    .vgpr_spill_count: 0
    .wavefront_size: 32
    .workgroup_processor_mode: 1
  - .args:
      - .address_space:  global
        .offset:         0
        .size:           8
        .value_kind:     global_buffer
      - .address_space:  global
        .offset:         8
        .size:           8
        .value_kind:     global_buffer
      - .offset:         16
        .size:           4
        .value_kind:     hidden_block_count_x
      - .offset:         20
        .size:           4
        .value_kind:     hidden_block_count_y
      - .offset:         24
        .size:           4
        .value_kind:     hidden_block_count_z
      - .offset:         28
        .size:           2
        .value_kind:     hidden_group_size_x
      - .offset:         30
        .size:           2
        .value_kind:     hidden_group_size_y
      - .offset:         32
        .size:           2
        .value_kind:     hidden_group_size_z
      - .offset:         34
        .size:           2
        .value_kind:     hidden_remainder_x
      - .offset:         36
        .size:           2
        .value_kind:     hidden_remainder_y
      - .offset:         38
        .size:           2
        .value_kind:     hidden_remainder_z
      - .offset:         56
        .size:           8
        .value_kind:     hidden_global_offset_x
      - .offset:         64
        .size:           8
        .value_kind:     hidden_global_offset_y
      - .offset:         72
        .size:           8
        .value_kind:     hidden_global_offset_z
      - .offset:         80
        .size:           2
        .value_kind:     hidden_grid_dims
    .group_segment_fixed_size: 1056
    .kernarg_segment_align: 8
    .kernarg_segment_size: 272
    .language:       OpenCL C
    .language_version:
      - 2
      - 0
    .max_flat_workgroup_size: 256
    .name:           _Z11rank_kernelIiLj4ELb0EL18RadixRankAlgorithm2ELj256ELj16ELj10EEvPKT_Pi
    .private_segment_fixed_size: 0
    .sgpr_count:     22
    .sgpr_spill_count: 0
    .symbol:         _Z11rank_kernelIiLj4ELb0EL18RadixRankAlgorithm2ELj256ELj16ELj10EEvPKT_Pi.kd
    .uniform_work_group_size: 1
    .uses_dynamic_stack: false
    .vgpr_count:     74
    .vgpr_spill_count: 0
    .wavefront_size: 32
    .workgroup_processor_mode: 1
  - .args:
      - .address_space:  global
        .offset:         0
        .size:           8
        .value_kind:     global_buffer
      - .address_space:  global
        .offset:         8
        .size:           8
        .value_kind:     global_buffer
    .group_segment_fixed_size: 8224
    .kernarg_segment_align: 8
    .kernarg_segment_size: 16
    .language:       OpenCL C
    .language_version:
      - 2
      - 0
    .max_flat_workgroup_size: 256
    .name:           _Z11rank_kernelIiLj4ELb0EL18RadixRankAlgorithm0ELj256ELj32ELj10EEvPKT_Pi
    .private_segment_fixed_size: 0
    .sgpr_count:     24
    .sgpr_spill_count: 0
    .symbol:         _Z11rank_kernelIiLj4ELb0EL18RadixRankAlgorithm0ELj256ELj32ELj10EEvPKT_Pi.kd
    .uniform_work_group_size: 1
    .uses_dynamic_stack: false
    .vgpr_count:     111
    .vgpr_spill_count: 0
    .wavefront_size: 32
    .workgroup_processor_mode: 1
  - .args:
      - .address_space:  global
        .offset:         0
        .size:           8
        .value_kind:     global_buffer
      - .address_space:  global
        .offset:         8
        .size:           8
        .value_kind:     global_buffer
    .group_segment_fixed_size: 8224
    .kernarg_segment_align: 8
    .kernarg_segment_size: 16
    .language:       OpenCL C
    .language_version:
      - 2
      - 0
    .max_flat_workgroup_size: 256
    .name:           _Z11rank_kernelIiLj4ELb0EL18RadixRankAlgorithm1ELj256ELj32ELj10EEvPKT_Pi
    .private_segment_fixed_size: 0
    .sgpr_count:     24
    .sgpr_spill_count: 0
    .symbol:         _Z11rank_kernelIiLj4ELb0EL18RadixRankAlgorithm1ELj256ELj32ELj10EEvPKT_Pi.kd
    .uniform_work_group_size: 1
    .uses_dynamic_stack: false
    .vgpr_count:     113
    .vgpr_spill_count: 0
    .wavefront_size: 32
    .workgroup_processor_mode: 1
  - .args:
      - .address_space:  global
        .offset:         0
        .size:           8
        .value_kind:     global_buffer
      - .address_space:  global
        .offset:         8
        .size:           8
        .value_kind:     global_buffer
      - .offset:         16
        .size:           4
        .value_kind:     hidden_block_count_x
      - .offset:         20
        .size:           4
        .value_kind:     hidden_block_count_y
      - .offset:         24
        .size:           4
        .value_kind:     hidden_block_count_z
      - .offset:         28
        .size:           2
        .value_kind:     hidden_group_size_x
      - .offset:         30
        .size:           2
        .value_kind:     hidden_group_size_y
      - .offset:         32
        .size:           2
        .value_kind:     hidden_group_size_z
      - .offset:         34
        .size:           2
        .value_kind:     hidden_remainder_x
      - .offset:         36
        .size:           2
        .value_kind:     hidden_remainder_y
      - .offset:         38
        .size:           2
        .value_kind:     hidden_remainder_z
      - .offset:         56
        .size:           8
        .value_kind:     hidden_global_offset_x
      - .offset:         64
        .size:           8
        .value_kind:     hidden_global_offset_y
      - .offset:         72
        .size:           8
        .value_kind:     hidden_global_offset_z
      - .offset:         80
        .size:           2
        .value_kind:     hidden_grid_dims
    .group_segment_fixed_size: 1056
    .kernarg_segment_align: 8
    .kernarg_segment_size: 272
    .language:       OpenCL C
    .language_version:
      - 2
      - 0
    .max_flat_workgroup_size: 256
    .name:           _Z11rank_kernelIiLj4ELb0EL18RadixRankAlgorithm2ELj256ELj32ELj10EEvPKT_Pi
    .private_segment_fixed_size: 0
    .sgpr_count:     22
    .sgpr_spill_count: 0
    .symbol:         _Z11rank_kernelIiLj4ELb0EL18RadixRankAlgorithm2ELj256ELj32ELj10EEvPKT_Pi.kd
    .uniform_work_group_size: 1
    .uses_dynamic_stack: false
    .vgpr_count:     138
    .vgpr_spill_count: 0
    .wavefront_size: 32
    .workgroup_processor_mode: 1
  - .args:
      - .address_space:  global
        .offset:         0
        .size:           8
        .value_kind:     global_buffer
      - .address_space:  global
        .offset:         8
        .size:           8
        .value_kind:     global_buffer
    .group_segment_fixed_size: 16448
    .kernarg_segment_align: 8
    .kernarg_segment_size: 16
    .language:       OpenCL C
    .language_version:
      - 2
      - 0
    .max_flat_workgroup_size: 512
    .name:           _Z11rank_kernelIiLj4ELb0EL18RadixRankAlgorithm0ELj512ELj1ELj10EEvPKT_Pi
    .private_segment_fixed_size: 0
    .sgpr_count:     20
    .sgpr_spill_count: 0
    .symbol:         _Z11rank_kernelIiLj4ELb0EL18RadixRankAlgorithm0ELj512ELj1ELj10EEvPKT_Pi.kd
    .uniform_work_group_size: 1
    .uses_dynamic_stack: false
    .vgpr_count:     18
    .vgpr_spill_count: 0
    .wavefront_size: 32
    .workgroup_processor_mode: 1
  - .args:
      - .address_space:  global
        .offset:         0
        .size:           8
        .value_kind:     global_buffer
      - .address_space:  global
        .offset:         8
        .size:           8
        .value_kind:     global_buffer
    .group_segment_fixed_size: 16448
    .kernarg_segment_align: 8
    .kernarg_segment_size: 16
    .language:       OpenCL C
    .language_version:
      - 2
      - 0
    .max_flat_workgroup_size: 512
    .name:           _Z11rank_kernelIiLj4ELb0EL18RadixRankAlgorithm1ELj512ELj1ELj10EEvPKT_Pi
    .private_segment_fixed_size: 0
    .sgpr_count:     20
    .sgpr_spill_count: 0
    .symbol:         _Z11rank_kernelIiLj4ELb0EL18RadixRankAlgorithm1ELj512ELj1ELj10EEvPKT_Pi.kd
    .uniform_work_group_size: 1
    .uses_dynamic_stack: false
    .vgpr_count:     20
    .vgpr_spill_count: 0
    .wavefront_size: 32
    .workgroup_processor_mode: 1
  - .args:
      - .address_space:  global
        .offset:         0
        .size:           8
        .value_kind:     global_buffer
      - .address_space:  global
        .offset:         8
        .size:           8
        .value_kind:     global_buffer
      - .offset:         16
        .size:           4
        .value_kind:     hidden_block_count_x
      - .offset:         20
        .size:           4
        .value_kind:     hidden_block_count_y
      - .offset:         24
        .size:           4
        .value_kind:     hidden_block_count_z
      - .offset:         28
        .size:           2
        .value_kind:     hidden_group_size_x
      - .offset:         30
        .size:           2
        .value_kind:     hidden_group_size_y
      - .offset:         32
        .size:           2
        .value_kind:     hidden_group_size_z
      - .offset:         34
        .size:           2
        .value_kind:     hidden_remainder_x
      - .offset:         36
        .size:           2
        .value_kind:     hidden_remainder_y
      - .offset:         38
        .size:           2
        .value_kind:     hidden_remainder_z
      - .offset:         56
        .size:           8
        .value_kind:     hidden_global_offset_x
      - .offset:         64
        .size:           8
        .value_kind:     hidden_global_offset_y
      - .offset:         72
        .size:           8
        .value_kind:     hidden_global_offset_z
      - .offset:         80
        .size:           2
        .value_kind:     hidden_grid_dims
    .group_segment_fixed_size: 2112
    .kernarg_segment_align: 8
    .kernarg_segment_size: 272
    .language:       OpenCL C
    .language_version:
      - 2
      - 0
    .max_flat_workgroup_size: 512
    .name:           _Z11rank_kernelIiLj4ELb0EL18RadixRankAlgorithm2ELj512ELj1ELj10EEvPKT_Pi
    .private_segment_fixed_size: 0
    .sgpr_count:     20
    .sgpr_spill_count: 0
    .symbol:         _Z11rank_kernelIiLj4ELb0EL18RadixRankAlgorithm2ELj512ELj1ELj10EEvPKT_Pi.kd
    .uniform_work_group_size: 1
    .uses_dynamic_stack: false
    .vgpr_count:     15
    .vgpr_spill_count: 0
    .wavefront_size: 32
    .workgroup_processor_mode: 1
  - .args:
      - .address_space:  global
        .offset:         0
        .size:           8
        .value_kind:     global_buffer
      - .address_space:  global
        .offset:         8
        .size:           8
        .value_kind:     global_buffer
    .group_segment_fixed_size: 16448
    .kernarg_segment_align: 8
    .kernarg_segment_size: 16
    .language:       OpenCL C
    .language_version:
      - 2
      - 0
    .max_flat_workgroup_size: 512
    .name:           _Z11rank_kernelIiLj4ELb0EL18RadixRankAlgorithm0ELj512ELj4ELj10EEvPKT_Pi
    .private_segment_fixed_size: 0
    .sgpr_count:     20
    .sgpr_spill_count: 0
    .symbol:         _Z11rank_kernelIiLj4ELb0EL18RadixRankAlgorithm0ELj512ELj4ELj10EEvPKT_Pi.kd
    .uniform_work_group_size: 1
    .uses_dynamic_stack: false
    .vgpr_count:     27
    .vgpr_spill_count: 0
    .wavefront_size: 32
    .workgroup_processor_mode: 1
  - .args:
      - .address_space:  global
        .offset:         0
        .size:           8
        .value_kind:     global_buffer
      - .address_space:  global
        .offset:         8
        .size:           8
        .value_kind:     global_buffer
    .group_segment_fixed_size: 16448
    .kernarg_segment_align: 8
    .kernarg_segment_size: 16
    .language:       OpenCL C
    .language_version:
      - 2
      - 0
    .max_flat_workgroup_size: 512
    .name:           _Z11rank_kernelIiLj4ELb0EL18RadixRankAlgorithm1ELj512ELj4ELj10EEvPKT_Pi
    .private_segment_fixed_size: 0
    .sgpr_count:     20
    .sgpr_spill_count: 0
    .symbol:         _Z11rank_kernelIiLj4ELb0EL18RadixRankAlgorithm1ELj512ELj4ELj10EEvPKT_Pi.kd
    .uniform_work_group_size: 1
    .uses_dynamic_stack: false
    .vgpr_count:     29
    .vgpr_spill_count: 0
    .wavefront_size: 32
    .workgroup_processor_mode: 1
  - .args:
      - .address_space:  global
        .offset:         0
        .size:           8
        .value_kind:     global_buffer
      - .address_space:  global
        .offset:         8
        .size:           8
        .value_kind:     global_buffer
      - .offset:         16
        .size:           4
        .value_kind:     hidden_block_count_x
      - .offset:         20
        .size:           4
        .value_kind:     hidden_block_count_y
      - .offset:         24
        .size:           4
        .value_kind:     hidden_block_count_z
      - .offset:         28
        .size:           2
        .value_kind:     hidden_group_size_x
      - .offset:         30
        .size:           2
        .value_kind:     hidden_group_size_y
      - .offset:         32
        .size:           2
        .value_kind:     hidden_group_size_z
      - .offset:         34
        .size:           2
        .value_kind:     hidden_remainder_x
      - .offset:         36
        .size:           2
        .value_kind:     hidden_remainder_y
      - .offset:         38
        .size:           2
        .value_kind:     hidden_remainder_z
      - .offset:         56
        .size:           8
        .value_kind:     hidden_global_offset_x
      - .offset:         64
        .size:           8
        .value_kind:     hidden_global_offset_y
      - .offset:         72
        .size:           8
        .value_kind:     hidden_global_offset_z
      - .offset:         80
        .size:           2
        .value_kind:     hidden_grid_dims
    .group_segment_fixed_size: 2112
    .kernarg_segment_align: 8
    .kernarg_segment_size: 272
    .language:       OpenCL C
    .language_version:
      - 2
      - 0
    .max_flat_workgroup_size: 512
    .name:           _Z11rank_kernelIiLj4ELb0EL18RadixRankAlgorithm2ELj512ELj4ELj10EEvPKT_Pi
    .private_segment_fixed_size: 0
    .sgpr_count:     20
    .sgpr_spill_count: 0
    .symbol:         _Z11rank_kernelIiLj4ELb0EL18RadixRankAlgorithm2ELj512ELj4ELj10EEvPKT_Pi.kd
    .uniform_work_group_size: 1
    .uses_dynamic_stack: false
    .vgpr_count:     25
    .vgpr_spill_count: 0
    .wavefront_size: 32
    .workgroup_processor_mode: 1
  - .args:
      - .address_space:  global
        .offset:         0
        .size:           8
        .value_kind:     global_buffer
      - .address_space:  global
        .offset:         8
        .size:           8
        .value_kind:     global_buffer
    .group_segment_fixed_size: 16448
    .kernarg_segment_align: 8
    .kernarg_segment_size: 16
    .language:       OpenCL C
    .language_version:
      - 2
      - 0
    .max_flat_workgroup_size: 512
    .name:           _Z11rank_kernelIiLj4ELb0EL18RadixRankAlgorithm0ELj512ELj8ELj10EEvPKT_Pi
    .private_segment_fixed_size: 0
    .sgpr_count:     20
    .sgpr_spill_count: 0
    .symbol:         _Z11rank_kernelIiLj4ELb0EL18RadixRankAlgorithm0ELj512ELj8ELj10EEvPKT_Pi.kd
    .uniform_work_group_size: 1
    .uses_dynamic_stack: false
    .vgpr_count:     40
    .vgpr_spill_count: 0
    .wavefront_size: 32
    .workgroup_processor_mode: 1
  - .args:
      - .address_space:  global
        .offset:         0
        .size:           8
        .value_kind:     global_buffer
      - .address_space:  global
        .offset:         8
        .size:           8
        .value_kind:     global_buffer
    .group_segment_fixed_size: 16448
    .kernarg_segment_align: 8
    .kernarg_segment_size: 16
    .language:       OpenCL C
    .language_version:
      - 2
      - 0
    .max_flat_workgroup_size: 512
    .name:           _Z11rank_kernelIiLj4ELb0EL18RadixRankAlgorithm1ELj512ELj8ELj10EEvPKT_Pi
    .private_segment_fixed_size: 0
    .sgpr_count:     20
    .sgpr_spill_count: 0
    .symbol:         _Z11rank_kernelIiLj4ELb0EL18RadixRankAlgorithm1ELj512ELj8ELj10EEvPKT_Pi.kd
    .uniform_work_group_size: 1
    .uses_dynamic_stack: false
    .vgpr_count:     42
    .vgpr_spill_count: 0
    .wavefront_size: 32
    .workgroup_processor_mode: 1
  - .args:
      - .address_space:  global
        .offset:         0
        .size:           8
        .value_kind:     global_buffer
      - .address_space:  global
        .offset:         8
        .size:           8
        .value_kind:     global_buffer
      - .offset:         16
        .size:           4
        .value_kind:     hidden_block_count_x
      - .offset:         20
        .size:           4
        .value_kind:     hidden_block_count_y
      - .offset:         24
        .size:           4
        .value_kind:     hidden_block_count_z
      - .offset:         28
        .size:           2
        .value_kind:     hidden_group_size_x
      - .offset:         30
        .size:           2
        .value_kind:     hidden_group_size_y
      - .offset:         32
        .size:           2
        .value_kind:     hidden_group_size_z
      - .offset:         34
        .size:           2
        .value_kind:     hidden_remainder_x
      - .offset:         36
        .size:           2
        .value_kind:     hidden_remainder_y
      - .offset:         38
        .size:           2
        .value_kind:     hidden_remainder_z
      - .offset:         56
        .size:           8
        .value_kind:     hidden_global_offset_x
      - .offset:         64
        .size:           8
        .value_kind:     hidden_global_offset_y
      - .offset:         72
        .size:           8
        .value_kind:     hidden_global_offset_z
      - .offset:         80
        .size:           2
        .value_kind:     hidden_grid_dims
    .group_segment_fixed_size: 2112
    .kernarg_segment_align: 8
    .kernarg_segment_size: 272
    .language:       OpenCL C
    .language_version:
      - 2
      - 0
    .max_flat_workgroup_size: 512
    .name:           _Z11rank_kernelIiLj4ELb0EL18RadixRankAlgorithm2ELj512ELj8ELj10EEvPKT_Pi
    .private_segment_fixed_size: 0
    .sgpr_count:     20
    .sgpr_spill_count: 0
    .symbol:         _Z11rank_kernelIiLj4ELb0EL18RadixRankAlgorithm2ELj512ELj8ELj10EEvPKT_Pi.kd
    .uniform_work_group_size: 1
    .uses_dynamic_stack: false
    .vgpr_count:     42
    .vgpr_spill_count: 0
    .wavefront_size: 32
    .workgroup_processor_mode: 1
  - .args:
      - .address_space:  global
        .offset:         0
        .size:           8
        .value_kind:     global_buffer
      - .address_space:  global
        .offset:         8
        .size:           8
        .value_kind:     global_buffer
    .group_segment_fixed_size: 16448
    .kernarg_segment_align: 8
    .kernarg_segment_size: 16
    .language:       OpenCL C
    .language_version:
      - 2
      - 0
    .max_flat_workgroup_size: 512
    .name:           _Z11rank_kernelIiLj4ELb0EL18RadixRankAlgorithm0ELj512ELj16ELj10EEvPKT_Pi
    .private_segment_fixed_size: 0
    .sgpr_count:     20
    .sgpr_spill_count: 0
    .symbol:         _Z11rank_kernelIiLj4ELb0EL18RadixRankAlgorithm0ELj512ELj16ELj10EEvPKT_Pi.kd
    .uniform_work_group_size: 1
    .uses_dynamic_stack: false
    .vgpr_count:     64
    .vgpr_spill_count: 0
    .wavefront_size: 32
    .workgroup_processor_mode: 1
  - .args:
      - .address_space:  global
        .offset:         0
        .size:           8
        .value_kind:     global_buffer
      - .address_space:  global
        .offset:         8
        .size:           8
        .value_kind:     global_buffer
    .group_segment_fixed_size: 16448
    .kernarg_segment_align: 8
    .kernarg_segment_size: 16
    .language:       OpenCL C
    .language_version:
      - 2
      - 0
    .max_flat_workgroup_size: 512
    .name:           _Z11rank_kernelIiLj4ELb0EL18RadixRankAlgorithm1ELj512ELj16ELj10EEvPKT_Pi
    .private_segment_fixed_size: 0
    .sgpr_count:     20
    .sgpr_spill_count: 0
    .symbol:         _Z11rank_kernelIiLj4ELb0EL18RadixRankAlgorithm1ELj512ELj16ELj10EEvPKT_Pi.kd
    .uniform_work_group_size: 1
    .uses_dynamic_stack: false
    .vgpr_count:     66
    .vgpr_spill_count: 0
    .wavefront_size: 32
    .workgroup_processor_mode: 1
  - .args:
      - .address_space:  global
        .offset:         0
        .size:           8
        .value_kind:     global_buffer
      - .address_space:  global
        .offset:         8
        .size:           8
        .value_kind:     global_buffer
      - .offset:         16
        .size:           4
        .value_kind:     hidden_block_count_x
      - .offset:         20
        .size:           4
        .value_kind:     hidden_block_count_y
      - .offset:         24
        .size:           4
        .value_kind:     hidden_block_count_z
      - .offset:         28
        .size:           2
        .value_kind:     hidden_group_size_x
      - .offset:         30
        .size:           2
        .value_kind:     hidden_group_size_y
      - .offset:         32
        .size:           2
        .value_kind:     hidden_group_size_z
      - .offset:         34
        .size:           2
        .value_kind:     hidden_remainder_x
      - .offset:         36
        .size:           2
        .value_kind:     hidden_remainder_y
      - .offset:         38
        .size:           2
        .value_kind:     hidden_remainder_z
      - .offset:         56
        .size:           8
        .value_kind:     hidden_global_offset_x
      - .offset:         64
        .size:           8
        .value_kind:     hidden_global_offset_y
      - .offset:         72
        .size:           8
        .value_kind:     hidden_global_offset_z
      - .offset:         80
        .size:           2
        .value_kind:     hidden_grid_dims
    .group_segment_fixed_size: 2112
    .kernarg_segment_align: 8
    .kernarg_segment_size: 272
    .language:       OpenCL C
    .language_version:
      - 2
      - 0
    .max_flat_workgroup_size: 512
    .name:           _Z11rank_kernelIiLj4ELb0EL18RadixRankAlgorithm2ELj512ELj16ELj10EEvPKT_Pi
    .private_segment_fixed_size: 0
    .sgpr_count:     20
    .sgpr_spill_count: 0
    .symbol:         _Z11rank_kernelIiLj4ELb0EL18RadixRankAlgorithm2ELj512ELj16ELj10EEvPKT_Pi.kd
    .uniform_work_group_size: 1
    .uses_dynamic_stack: false
    .vgpr_count:     74
    .vgpr_spill_count: 0
    .wavefront_size: 32
    .workgroup_processor_mode: 1
  - .args:
      - .address_space:  global
        .offset:         0
        .size:           8
        .value_kind:     global_buffer
      - .address_space:  global
        .offset:         8
        .size:           8
        .value_kind:     global_buffer
    .group_segment_fixed_size: 16448
    .kernarg_segment_align: 8
    .kernarg_segment_size: 16
    .language:       OpenCL C
    .language_version:
      - 2
      - 0
    .max_flat_workgroup_size: 512
    .name:           _Z11rank_kernelIiLj4ELb0EL18RadixRankAlgorithm0ELj512ELj32ELj10EEvPKT_Pi
    .private_segment_fixed_size: 0
    .sgpr_count:     20
    .sgpr_spill_count: 0
    .symbol:         _Z11rank_kernelIiLj4ELb0EL18RadixRankAlgorithm0ELj512ELj32ELj10EEvPKT_Pi.kd
    .uniform_work_group_size: 1
    .uses_dynamic_stack: false
    .vgpr_count:     111
    .vgpr_spill_count: 0
    .wavefront_size: 32
    .workgroup_processor_mode: 1
  - .args:
      - .address_space:  global
        .offset:         0
        .size:           8
        .value_kind:     global_buffer
      - .address_space:  global
        .offset:         8
        .size:           8
        .value_kind:     global_buffer
    .group_segment_fixed_size: 16448
    .kernarg_segment_align: 8
    .kernarg_segment_size: 16
    .language:       OpenCL C
    .language_version:
      - 2
      - 0
    .max_flat_workgroup_size: 512
    .name:           _Z11rank_kernelIiLj4ELb0EL18RadixRankAlgorithm1ELj512ELj32ELj10EEvPKT_Pi
    .private_segment_fixed_size: 0
    .sgpr_count:     20
    .sgpr_spill_count: 0
    .symbol:         _Z11rank_kernelIiLj4ELb0EL18RadixRankAlgorithm1ELj512ELj32ELj10EEvPKT_Pi.kd
    .uniform_work_group_size: 1
    .uses_dynamic_stack: false
    .vgpr_count:     113
    .vgpr_spill_count: 0
    .wavefront_size: 32
    .workgroup_processor_mode: 1
  - .args:
      - .address_space:  global
        .offset:         0
        .size:           8
        .value_kind:     global_buffer
      - .address_space:  global
        .offset:         8
        .size:           8
        .value_kind:     global_buffer
      - .offset:         16
        .size:           4
        .value_kind:     hidden_block_count_x
      - .offset:         20
        .size:           4
        .value_kind:     hidden_block_count_y
      - .offset:         24
        .size:           4
        .value_kind:     hidden_block_count_z
      - .offset:         28
        .size:           2
        .value_kind:     hidden_group_size_x
      - .offset:         30
        .size:           2
        .value_kind:     hidden_group_size_y
      - .offset:         32
        .size:           2
        .value_kind:     hidden_group_size_z
      - .offset:         34
        .size:           2
        .value_kind:     hidden_remainder_x
      - .offset:         36
        .size:           2
        .value_kind:     hidden_remainder_y
      - .offset:         38
        .size:           2
        .value_kind:     hidden_remainder_z
      - .offset:         56
        .size:           8
        .value_kind:     hidden_global_offset_x
      - .offset:         64
        .size:           8
        .value_kind:     hidden_global_offset_y
      - .offset:         72
        .size:           8
        .value_kind:     hidden_global_offset_z
      - .offset:         80
        .size:           2
        .value_kind:     hidden_grid_dims
    .group_segment_fixed_size: 2112
    .kernarg_segment_align: 8
    .kernarg_segment_size: 272
    .language:       OpenCL C
    .language_version:
      - 2
      - 0
    .max_flat_workgroup_size: 512
    .name:           _Z11rank_kernelIiLj4ELb0EL18RadixRankAlgorithm2ELj512ELj32ELj10EEvPKT_Pi
    .private_segment_fixed_size: 0
    .sgpr_count:     20
    .sgpr_spill_count: 0
    .symbol:         _Z11rank_kernelIiLj4ELb0EL18RadixRankAlgorithm2ELj512ELj32ELj10EEvPKT_Pi.kd
    .uniform_work_group_size: 1
    .uses_dynamic_stack: false
    .vgpr_count:     138
    .vgpr_spill_count: 0
    .wavefront_size: 32
    .workgroup_processor_mode: 1
  - .args:
      - .address_space:  global
        .offset:         0
        .size:           8
        .value_kind:     global_buffer
      - .address_space:  global
        .offset:         8
        .size:           8
        .value_kind:     global_buffer
    .group_segment_fixed_size: 4112
    .kernarg_segment_align: 8
    .kernarg_segment_size: 16
    .language:       OpenCL C
    .language_version:
      - 2
      - 0
    .max_flat_workgroup_size: 128
    .name:           _Z11rank_kernelIhLj4ELb0EL18RadixRankAlgorithm0ELj128ELj1ELj10EEvPKT_Pi
    .private_segment_fixed_size: 0
    .sgpr_count:     22
    .sgpr_spill_count: 0
    .symbol:         _Z11rank_kernelIhLj4ELb0EL18RadixRankAlgorithm0ELj128ELj1ELj10EEvPKT_Pi.kd
    .uniform_work_group_size: 1
    .uses_dynamic_stack: false
    .vgpr_count:     19
    .vgpr_spill_count: 0
    .wavefront_size: 32
    .workgroup_processor_mode: 1
  - .args:
      - .address_space:  global
        .offset:         0
        .size:           8
        .value_kind:     global_buffer
      - .address_space:  global
        .offset:         8
        .size:           8
        .value_kind:     global_buffer
    .group_segment_fixed_size: 4112
    .kernarg_segment_align: 8
    .kernarg_segment_size: 16
    .language:       OpenCL C
    .language_version:
      - 2
      - 0
    .max_flat_workgroup_size: 128
    .name:           _Z11rank_kernelIhLj4ELb0EL18RadixRankAlgorithm1ELj128ELj1ELj10EEvPKT_Pi
    .private_segment_fixed_size: 0
    .sgpr_count:     22
    .sgpr_spill_count: 0
    .symbol:         _Z11rank_kernelIhLj4ELb0EL18RadixRankAlgorithm1ELj128ELj1ELj10EEvPKT_Pi.kd
    .uniform_work_group_size: 1
    .uses_dynamic_stack: false
    .vgpr_count:     20
    .vgpr_spill_count: 0
    .wavefront_size: 32
    .workgroup_processor_mode: 1
  - .args:
      - .address_space:  global
        .offset:         0
        .size:           8
        .value_kind:     global_buffer
      - .address_space:  global
        .offset:         8
        .size:           8
        .value_kind:     global_buffer
      - .offset:         16
        .size:           4
        .value_kind:     hidden_block_count_x
      - .offset:         20
        .size:           4
        .value_kind:     hidden_block_count_y
      - .offset:         24
        .size:           4
        .value_kind:     hidden_block_count_z
      - .offset:         28
        .size:           2
        .value_kind:     hidden_group_size_x
      - .offset:         30
        .size:           2
        .value_kind:     hidden_group_size_y
      - .offset:         32
        .size:           2
        .value_kind:     hidden_group_size_z
      - .offset:         34
        .size:           2
        .value_kind:     hidden_remainder_x
      - .offset:         36
        .size:           2
        .value_kind:     hidden_remainder_y
      - .offset:         38
        .size:           2
        .value_kind:     hidden_remainder_z
      - .offset:         56
        .size:           8
        .value_kind:     hidden_global_offset_x
      - .offset:         64
        .size:           8
        .value_kind:     hidden_global_offset_y
      - .offset:         72
        .size:           8
        .value_kind:     hidden_global_offset_z
      - .offset:         80
        .size:           2
        .value_kind:     hidden_grid_dims
    .group_segment_fixed_size: 528
    .kernarg_segment_align: 8
    .kernarg_segment_size: 272
    .language:       OpenCL C
    .language_version:
      - 2
      - 0
    .max_flat_workgroup_size: 128
    .name:           _Z11rank_kernelIhLj4ELb0EL18RadixRankAlgorithm2ELj128ELj1ELj10EEvPKT_Pi
    .private_segment_fixed_size: 0
    .sgpr_count:     22
    .sgpr_spill_count: 0
    .symbol:         _Z11rank_kernelIhLj4ELb0EL18RadixRankAlgorithm2ELj128ELj1ELj10EEvPKT_Pi.kd
    .uniform_work_group_size: 1
    .uses_dynamic_stack: false
    .vgpr_count:     29
    .vgpr_spill_count: 0
    .wavefront_size: 32
    .workgroup_processor_mode: 1
  - .args:
      - .address_space:  global
        .offset:         0
        .size:           8
        .value_kind:     global_buffer
      - .address_space:  global
        .offset:         8
        .size:           8
        .value_kind:     global_buffer
    .group_segment_fixed_size: 4112
    .kernarg_segment_align: 8
    .kernarg_segment_size: 16
    .language:       OpenCL C
    .language_version:
      - 2
      - 0
    .max_flat_workgroup_size: 128
    .name:           _Z11rank_kernelIhLj4ELb0EL18RadixRankAlgorithm0ELj128ELj4ELj10EEvPKT_Pi
    .private_segment_fixed_size: 0
    .sgpr_count:     22
    .sgpr_spill_count: 0
    .symbol:         _Z11rank_kernelIhLj4ELb0EL18RadixRankAlgorithm0ELj128ELj4ELj10EEvPKT_Pi.kd
    .uniform_work_group_size: 1
    .uses_dynamic_stack: false
    .vgpr_count:     26
    .vgpr_spill_count: 0
    .wavefront_size: 32
    .workgroup_processor_mode: 1
  - .args:
      - .address_space:  global
        .offset:         0
        .size:           8
        .value_kind:     global_buffer
      - .address_space:  global
        .offset:         8
        .size:           8
        .value_kind:     global_buffer
    .group_segment_fixed_size: 4112
    .kernarg_segment_align: 8
    .kernarg_segment_size: 16
    .language:       OpenCL C
    .language_version:
      - 2
      - 0
    .max_flat_workgroup_size: 128
    .name:           _Z11rank_kernelIhLj4ELb0EL18RadixRankAlgorithm1ELj128ELj4ELj10EEvPKT_Pi
    .private_segment_fixed_size: 0
    .sgpr_count:     22
    .sgpr_spill_count: 0
    .symbol:         _Z11rank_kernelIhLj4ELb0EL18RadixRankAlgorithm1ELj128ELj4ELj10EEvPKT_Pi.kd
    .uniform_work_group_size: 1
    .uses_dynamic_stack: false
    .vgpr_count:     28
    .vgpr_spill_count: 0
    .wavefront_size: 32
    .workgroup_processor_mode: 1
  - .args:
      - .address_space:  global
        .offset:         0
        .size:           8
        .value_kind:     global_buffer
      - .address_space:  global
        .offset:         8
        .size:           8
        .value_kind:     global_buffer
      - .offset:         16
        .size:           4
        .value_kind:     hidden_block_count_x
      - .offset:         20
        .size:           4
        .value_kind:     hidden_block_count_y
      - .offset:         24
        .size:           4
        .value_kind:     hidden_block_count_z
      - .offset:         28
        .size:           2
        .value_kind:     hidden_group_size_x
      - .offset:         30
        .size:           2
        .value_kind:     hidden_group_size_y
      - .offset:         32
        .size:           2
        .value_kind:     hidden_group_size_z
      - .offset:         34
        .size:           2
        .value_kind:     hidden_remainder_x
      - .offset:         36
        .size:           2
        .value_kind:     hidden_remainder_y
      - .offset:         38
        .size:           2
        .value_kind:     hidden_remainder_z
      - .offset:         56
        .size:           8
        .value_kind:     hidden_global_offset_x
      - .offset:         64
        .size:           8
        .value_kind:     hidden_global_offset_y
      - .offset:         72
        .size:           8
        .value_kind:     hidden_global_offset_z
      - .offset:         80
        .size:           2
        .value_kind:     hidden_grid_dims
    .group_segment_fixed_size: 528
    .kernarg_segment_align: 8
    .kernarg_segment_size: 272
    .language:       OpenCL C
    .language_version:
      - 2
      - 0
    .max_flat_workgroup_size: 128
    .name:           _Z11rank_kernelIhLj4ELb0EL18RadixRankAlgorithm2ELj128ELj4ELj10EEvPKT_Pi
    .private_segment_fixed_size: 0
    .sgpr_count:     44
    .sgpr_spill_count: 0
    .symbol:         _Z11rank_kernelIhLj4ELb0EL18RadixRankAlgorithm2ELj128ELj4ELj10EEvPKT_Pi.kd
    .uniform_work_group_size: 1
    .uses_dynamic_stack: false
    .vgpr_count:     63
    .vgpr_spill_count: 0
    .wavefront_size: 32
    .workgroup_processor_mode: 1
  - .args:
      - .address_space:  global
        .offset:         0
        .size:           8
        .value_kind:     global_buffer
      - .address_space:  global
        .offset:         8
        .size:           8
        .value_kind:     global_buffer
    .group_segment_fixed_size: 4112
    .kernarg_segment_align: 8
    .kernarg_segment_size: 16
    .language:       OpenCL C
    .language_version:
      - 2
      - 0
    .max_flat_workgroup_size: 128
    .name:           _Z11rank_kernelIhLj4ELb0EL18RadixRankAlgorithm0ELj128ELj8ELj10EEvPKT_Pi
    .private_segment_fixed_size: 0
    .sgpr_count:     22
    .sgpr_spill_count: 0
    .symbol:         _Z11rank_kernelIhLj4ELb0EL18RadixRankAlgorithm0ELj128ELj8ELj10EEvPKT_Pi.kd
    .uniform_work_group_size: 1
    .uses_dynamic_stack: false
    .vgpr_count:     42
    .vgpr_spill_count: 0
    .wavefront_size: 32
    .workgroup_processor_mode: 1
  - .args:
      - .address_space:  global
        .offset:         0
        .size:           8
        .value_kind:     global_buffer
      - .address_space:  global
        .offset:         8
        .size:           8
        .value_kind:     global_buffer
    .group_segment_fixed_size: 4112
    .kernarg_segment_align: 8
    .kernarg_segment_size: 16
    .language:       OpenCL C
    .language_version:
      - 2
      - 0
    .max_flat_workgroup_size: 128
    .name:           _Z11rank_kernelIhLj4ELb0EL18RadixRankAlgorithm1ELj128ELj8ELj10EEvPKT_Pi
    .private_segment_fixed_size: 0
    .sgpr_count:     22
    .sgpr_spill_count: 0
    .symbol:         _Z11rank_kernelIhLj4ELb0EL18RadixRankAlgorithm1ELj128ELj8ELj10EEvPKT_Pi.kd
    .uniform_work_group_size: 1
    .uses_dynamic_stack: false
    .vgpr_count:     48
    .vgpr_spill_count: 0
    .wavefront_size: 32
    .workgroup_processor_mode: 1
  - .args:
      - .address_space:  global
        .offset:         0
        .size:           8
        .value_kind:     global_buffer
      - .address_space:  global
        .offset:         8
        .size:           8
        .value_kind:     global_buffer
      - .offset:         16
        .size:           4
        .value_kind:     hidden_block_count_x
      - .offset:         20
        .size:           4
        .value_kind:     hidden_block_count_y
      - .offset:         24
        .size:           4
        .value_kind:     hidden_block_count_z
      - .offset:         28
        .size:           2
        .value_kind:     hidden_group_size_x
      - .offset:         30
        .size:           2
        .value_kind:     hidden_group_size_y
      - .offset:         32
        .size:           2
        .value_kind:     hidden_group_size_z
      - .offset:         34
        .size:           2
        .value_kind:     hidden_remainder_x
      - .offset:         36
        .size:           2
        .value_kind:     hidden_remainder_y
      - .offset:         38
        .size:           2
        .value_kind:     hidden_remainder_z
      - .offset:         56
        .size:           8
        .value_kind:     hidden_global_offset_x
      - .offset:         64
        .size:           8
        .value_kind:     hidden_global_offset_y
      - .offset:         72
        .size:           8
        .value_kind:     hidden_global_offset_z
      - .offset:         80
        .size:           2
        .value_kind:     hidden_grid_dims
    .group_segment_fixed_size: 528
    .kernarg_segment_align: 8
    .kernarg_segment_size: 272
    .language:       OpenCL C
    .language_version:
      - 2
      - 0
    .max_flat_workgroup_size: 128
    .name:           _Z11rank_kernelIhLj4ELb0EL18RadixRankAlgorithm2ELj128ELj8ELj10EEvPKT_Pi
    .private_segment_fixed_size: 0
    .sgpr_count:     84
    .sgpr_spill_count: 0
    .symbol:         _Z11rank_kernelIhLj4ELb0EL18RadixRankAlgorithm2ELj128ELj8ELj10EEvPKT_Pi.kd
    .uniform_work_group_size: 1
    .uses_dynamic_stack: false
    .vgpr_count:     104
    .vgpr_spill_count: 0
    .wavefront_size: 32
    .workgroup_processor_mode: 1
  - .args:
      - .address_space:  global
        .offset:         0
        .size:           8
        .value_kind:     global_buffer
      - .address_space:  global
        .offset:         8
        .size:           8
        .value_kind:     global_buffer
    .group_segment_fixed_size: 4112
    .kernarg_segment_align: 8
    .kernarg_segment_size: 16
    .language:       OpenCL C
    .language_version:
      - 2
      - 0
    .max_flat_workgroup_size: 128
    .name:           _Z11rank_kernelIhLj4ELb0EL18RadixRankAlgorithm0ELj128ELj16ELj10EEvPKT_Pi
    .private_segment_fixed_size: 0
    .sgpr_count:     22
    .sgpr_spill_count: 0
    .symbol:         _Z11rank_kernelIhLj4ELb0EL18RadixRankAlgorithm0ELj128ELj16ELj10EEvPKT_Pi.kd
    .uniform_work_group_size: 1
    .uses_dynamic_stack: false
    .vgpr_count:     64
    .vgpr_spill_count: 0
    .wavefront_size: 32
    .workgroup_processor_mode: 1
  - .args:
      - .address_space:  global
        .offset:         0
        .size:           8
        .value_kind:     global_buffer
      - .address_space:  global
        .offset:         8
        .size:           8
        .value_kind:     global_buffer
    .group_segment_fixed_size: 4112
    .kernarg_segment_align: 8
    .kernarg_segment_size: 16
    .language:       OpenCL C
    .language_version:
      - 2
      - 0
    .max_flat_workgroup_size: 128
    .name:           _Z11rank_kernelIhLj4ELb0EL18RadixRankAlgorithm1ELj128ELj16ELj10EEvPKT_Pi
    .private_segment_fixed_size: 0
    .sgpr_count:     22
    .sgpr_spill_count: 0
    .symbol:         _Z11rank_kernelIhLj4ELb0EL18RadixRankAlgorithm1ELj128ELj16ELj10EEvPKT_Pi.kd
    .uniform_work_group_size: 1
    .uses_dynamic_stack: false
    .vgpr_count:     66
    .vgpr_spill_count: 0
    .wavefront_size: 32
    .workgroup_processor_mode: 1
  - .args:
      - .address_space:  global
        .offset:         0
        .size:           8
        .value_kind:     global_buffer
      - .address_space:  global
        .offset:         8
        .size:           8
        .value_kind:     global_buffer
      - .offset:         16
        .size:           4
        .value_kind:     hidden_block_count_x
      - .offset:         20
        .size:           4
        .value_kind:     hidden_block_count_y
      - .offset:         24
        .size:           4
        .value_kind:     hidden_block_count_z
      - .offset:         28
        .size:           2
        .value_kind:     hidden_group_size_x
      - .offset:         30
        .size:           2
        .value_kind:     hidden_group_size_y
      - .offset:         32
        .size:           2
        .value_kind:     hidden_group_size_z
      - .offset:         34
        .size:           2
        .value_kind:     hidden_remainder_x
      - .offset:         36
        .size:           2
        .value_kind:     hidden_remainder_y
      - .offset:         38
        .size:           2
        .value_kind:     hidden_remainder_z
      - .offset:         56
        .size:           8
        .value_kind:     hidden_global_offset_x
      - .offset:         64
        .size:           8
        .value_kind:     hidden_global_offset_y
      - .offset:         72
        .size:           8
        .value_kind:     hidden_global_offset_z
      - .offset:         80
        .size:           2
        .value_kind:     hidden_grid_dims
    .group_segment_fixed_size: 528
    .kernarg_segment_align: 8
    .kernarg_segment_size: 272
    .language:       OpenCL C
    .language_version:
      - 2
      - 0
    .max_flat_workgroup_size: 128
    .name:           _Z11rank_kernelIhLj4ELb0EL18RadixRankAlgorithm2ELj128ELj16ELj10EEvPKT_Pi
    .private_segment_fixed_size: 0
    .sgpr_count:     107
    .sgpr_spill_count: 42
    .symbol:         _Z11rank_kernelIhLj4ELb0EL18RadixRankAlgorithm2ELj128ELj16ELj10EEvPKT_Pi.kd
    .uniform_work_group_size: 1
    .uses_dynamic_stack: false
    .vgpr_count:     202
    .vgpr_spill_count: 0
    .wavefront_size: 32
    .workgroup_processor_mode: 1
  - .args:
      - .address_space:  global
        .offset:         0
        .size:           8
        .value_kind:     global_buffer
      - .address_space:  global
        .offset:         8
        .size:           8
        .value_kind:     global_buffer
    .group_segment_fixed_size: 4112
    .kernarg_segment_align: 8
    .kernarg_segment_size: 16
    .language:       OpenCL C
    .language_version:
      - 2
      - 0
    .max_flat_workgroup_size: 128
    .name:           _Z11rank_kernelIhLj4ELb0EL18RadixRankAlgorithm0ELj128ELj32ELj10EEvPKT_Pi
    .private_segment_fixed_size: 0
    .sgpr_count:     22
    .sgpr_spill_count: 0
    .symbol:         _Z11rank_kernelIhLj4ELb0EL18RadixRankAlgorithm0ELj128ELj32ELj10EEvPKT_Pi.kd
    .uniform_work_group_size: 1
    .uses_dynamic_stack: false
    .vgpr_count:     111
    .vgpr_spill_count: 0
    .wavefront_size: 32
    .workgroup_processor_mode: 1
  - .args:
      - .address_space:  global
        .offset:         0
        .size:           8
        .value_kind:     global_buffer
      - .address_space:  global
        .offset:         8
        .size:           8
        .value_kind:     global_buffer
    .group_segment_fixed_size: 4112
    .kernarg_segment_align: 8
    .kernarg_segment_size: 16
    .language:       OpenCL C
    .language_version:
      - 2
      - 0
    .max_flat_workgroup_size: 128
    .name:           _Z11rank_kernelIhLj4ELb0EL18RadixRankAlgorithm1ELj128ELj32ELj10EEvPKT_Pi
    .private_segment_fixed_size: 0
    .sgpr_count:     22
    .sgpr_spill_count: 0
    .symbol:         _Z11rank_kernelIhLj4ELb0EL18RadixRankAlgorithm1ELj128ELj32ELj10EEvPKT_Pi.kd
    .uniform_work_group_size: 1
    .uses_dynamic_stack: false
    .vgpr_count:     113
    .vgpr_spill_count: 0
    .wavefront_size: 32
    .workgroup_processor_mode: 1
  - .args:
      - .address_space:  global
        .offset:         0
        .size:           8
        .value_kind:     global_buffer
      - .address_space:  global
        .offset:         8
        .size:           8
        .value_kind:     global_buffer
      - .offset:         16
        .size:           4
        .value_kind:     hidden_block_count_x
      - .offset:         20
        .size:           4
        .value_kind:     hidden_block_count_y
      - .offset:         24
        .size:           4
        .value_kind:     hidden_block_count_z
      - .offset:         28
        .size:           2
        .value_kind:     hidden_group_size_x
      - .offset:         30
        .size:           2
        .value_kind:     hidden_group_size_y
      - .offset:         32
        .size:           2
        .value_kind:     hidden_group_size_z
      - .offset:         34
        .size:           2
        .value_kind:     hidden_remainder_x
      - .offset:         36
        .size:           2
        .value_kind:     hidden_remainder_y
      - .offset:         38
        .size:           2
        .value_kind:     hidden_remainder_z
      - .offset:         56
        .size:           8
        .value_kind:     hidden_global_offset_x
      - .offset:         64
        .size:           8
        .value_kind:     hidden_global_offset_y
      - .offset:         72
        .size:           8
        .value_kind:     hidden_global_offset_z
      - .offset:         80
        .size:           2
        .value_kind:     hidden_grid_dims
    .group_segment_fixed_size: 528
    .kernarg_segment_align: 8
    .kernarg_segment_size: 272
    .language:       OpenCL C
    .language_version:
      - 2
      - 0
    .max_flat_workgroup_size: 128
    .name:           _Z11rank_kernelIhLj4ELb0EL18RadixRankAlgorithm2ELj128ELj32ELj10EEvPKT_Pi
    .private_segment_fixed_size: 0
    .sgpr_count:     22
    .sgpr_spill_count: 0
    .symbol:         _Z11rank_kernelIhLj4ELb0EL18RadixRankAlgorithm2ELj128ELj32ELj10EEvPKT_Pi.kd
    .uniform_work_group_size: 1
    .uses_dynamic_stack: false
    .vgpr_count:     138
    .vgpr_spill_count: 0
    .wavefront_size: 32
    .workgroup_processor_mode: 1
  - .args:
      - .address_space:  global
        .offset:         0
        .size:           8
        .value_kind:     global_buffer
      - .address_space:  global
        .offset:         8
        .size:           8
        .value_kind:     global_buffer
    .group_segment_fixed_size: 8224
    .kernarg_segment_align: 8
    .kernarg_segment_size: 16
    .language:       OpenCL C
    .language_version:
      - 2
      - 0
    .max_flat_workgroup_size: 256
    .name:           _Z11rank_kernelIhLj4ELb0EL18RadixRankAlgorithm0ELj256ELj1ELj10EEvPKT_Pi
    .private_segment_fixed_size: 0
    .sgpr_count:     22
    .sgpr_spill_count: 0
    .symbol:         _Z11rank_kernelIhLj4ELb0EL18RadixRankAlgorithm0ELj256ELj1ELj10EEvPKT_Pi.kd
    .uniform_work_group_size: 1
    .uses_dynamic_stack: false
    .vgpr_count:     19
    .vgpr_spill_count: 0
    .wavefront_size: 32
    .workgroup_processor_mode: 1
  - .args:
      - .address_space:  global
        .offset:         0
        .size:           8
        .value_kind:     global_buffer
      - .address_space:  global
        .offset:         8
        .size:           8
        .value_kind:     global_buffer
    .group_segment_fixed_size: 8224
    .kernarg_segment_align: 8
    .kernarg_segment_size: 16
    .language:       OpenCL C
    .language_version:
      - 2
      - 0
    .max_flat_workgroup_size: 256
    .name:           _Z11rank_kernelIhLj4ELb0EL18RadixRankAlgorithm1ELj256ELj1ELj10EEvPKT_Pi
    .private_segment_fixed_size: 0
    .sgpr_count:     22
    .sgpr_spill_count: 0
    .symbol:         _Z11rank_kernelIhLj4ELb0EL18RadixRankAlgorithm1ELj256ELj1ELj10EEvPKT_Pi.kd
    .uniform_work_group_size: 1
    .uses_dynamic_stack: false
    .vgpr_count:     20
    .vgpr_spill_count: 0
    .wavefront_size: 32
    .workgroup_processor_mode: 1
  - .args:
      - .address_space:  global
        .offset:         0
        .size:           8
        .value_kind:     global_buffer
      - .address_space:  global
        .offset:         8
        .size:           8
        .value_kind:     global_buffer
      - .offset:         16
        .size:           4
        .value_kind:     hidden_block_count_x
      - .offset:         20
        .size:           4
        .value_kind:     hidden_block_count_y
      - .offset:         24
        .size:           4
        .value_kind:     hidden_block_count_z
      - .offset:         28
        .size:           2
        .value_kind:     hidden_group_size_x
      - .offset:         30
        .size:           2
        .value_kind:     hidden_group_size_y
      - .offset:         32
        .size:           2
        .value_kind:     hidden_group_size_z
      - .offset:         34
        .size:           2
        .value_kind:     hidden_remainder_x
      - .offset:         36
        .size:           2
        .value_kind:     hidden_remainder_y
      - .offset:         38
        .size:           2
        .value_kind:     hidden_remainder_z
      - .offset:         56
        .size:           8
        .value_kind:     hidden_global_offset_x
      - .offset:         64
        .size:           8
        .value_kind:     hidden_global_offset_y
      - .offset:         72
        .size:           8
        .value_kind:     hidden_global_offset_z
      - .offset:         80
        .size:           2
        .value_kind:     hidden_grid_dims
    .group_segment_fixed_size: 1056
    .kernarg_segment_align: 8
    .kernarg_segment_size: 272
    .language:       OpenCL C
    .language_version:
      - 2
      - 0
    .max_flat_workgroup_size: 256
    .name:           _Z11rank_kernelIhLj4ELb0EL18RadixRankAlgorithm2ELj256ELj1ELj10EEvPKT_Pi
    .private_segment_fixed_size: 0
    .sgpr_count:     22
    .sgpr_spill_count: 0
    .symbol:         _Z11rank_kernelIhLj4ELb0EL18RadixRankAlgorithm2ELj256ELj1ELj10EEvPKT_Pi.kd
    .uniform_work_group_size: 1
    .uses_dynamic_stack: false
    .vgpr_count:     29
    .vgpr_spill_count: 0
    .wavefront_size: 32
    .workgroup_processor_mode: 1
  - .args:
      - .address_space:  global
        .offset:         0
        .size:           8
        .value_kind:     global_buffer
      - .address_space:  global
        .offset:         8
        .size:           8
        .value_kind:     global_buffer
    .group_segment_fixed_size: 8224
    .kernarg_segment_align: 8
    .kernarg_segment_size: 16
    .language:       OpenCL C
    .language_version:
      - 2
      - 0
    .max_flat_workgroup_size: 256
    .name:           _Z11rank_kernelIhLj4ELb0EL18RadixRankAlgorithm0ELj256ELj4ELj10EEvPKT_Pi
    .private_segment_fixed_size: 0
    .sgpr_count:     22
    .sgpr_spill_count: 0
    .symbol:         _Z11rank_kernelIhLj4ELb0EL18RadixRankAlgorithm0ELj256ELj4ELj10EEvPKT_Pi.kd
    .uniform_work_group_size: 1
    .uses_dynamic_stack: false
    .vgpr_count:     26
    .vgpr_spill_count: 0
    .wavefront_size: 32
    .workgroup_processor_mode: 1
  - .args:
      - .address_space:  global
        .offset:         0
        .size:           8
        .value_kind:     global_buffer
      - .address_space:  global
        .offset:         8
        .size:           8
        .value_kind:     global_buffer
    .group_segment_fixed_size: 8224
    .kernarg_segment_align: 8
    .kernarg_segment_size: 16
    .language:       OpenCL C
    .language_version:
      - 2
      - 0
    .max_flat_workgroup_size: 256
    .name:           _Z11rank_kernelIhLj4ELb0EL18RadixRankAlgorithm1ELj256ELj4ELj10EEvPKT_Pi
    .private_segment_fixed_size: 0
    .sgpr_count:     22
    .sgpr_spill_count: 0
    .symbol:         _Z11rank_kernelIhLj4ELb0EL18RadixRankAlgorithm1ELj256ELj4ELj10EEvPKT_Pi.kd
    .uniform_work_group_size: 1
    .uses_dynamic_stack: false
    .vgpr_count:     28
    .vgpr_spill_count: 0
    .wavefront_size: 32
    .workgroup_processor_mode: 1
  - .args:
      - .address_space:  global
        .offset:         0
        .size:           8
        .value_kind:     global_buffer
      - .address_space:  global
        .offset:         8
        .size:           8
        .value_kind:     global_buffer
      - .offset:         16
        .size:           4
        .value_kind:     hidden_block_count_x
      - .offset:         20
        .size:           4
        .value_kind:     hidden_block_count_y
      - .offset:         24
        .size:           4
        .value_kind:     hidden_block_count_z
      - .offset:         28
        .size:           2
        .value_kind:     hidden_group_size_x
      - .offset:         30
        .size:           2
        .value_kind:     hidden_group_size_y
      - .offset:         32
        .size:           2
        .value_kind:     hidden_group_size_z
      - .offset:         34
        .size:           2
        .value_kind:     hidden_remainder_x
      - .offset:         36
        .size:           2
        .value_kind:     hidden_remainder_y
      - .offset:         38
        .size:           2
        .value_kind:     hidden_remainder_z
      - .offset:         56
        .size:           8
        .value_kind:     hidden_global_offset_x
      - .offset:         64
        .size:           8
        .value_kind:     hidden_global_offset_y
      - .offset:         72
        .size:           8
        .value_kind:     hidden_global_offset_z
      - .offset:         80
        .size:           2
        .value_kind:     hidden_grid_dims
    .group_segment_fixed_size: 1056
    .kernarg_segment_align: 8
    .kernarg_segment_size: 272
    .language:       OpenCL C
    .language_version:
      - 2
      - 0
    .max_flat_workgroup_size: 256
    .name:           _Z11rank_kernelIhLj4ELb0EL18RadixRankAlgorithm2ELj256ELj4ELj10EEvPKT_Pi
    .private_segment_fixed_size: 0
    .sgpr_count:     45
    .sgpr_spill_count: 0
    .symbol:         _Z11rank_kernelIhLj4ELb0EL18RadixRankAlgorithm2ELj256ELj4ELj10EEvPKT_Pi.kd
    .uniform_work_group_size: 1
    .uses_dynamic_stack: false
    .vgpr_count:     63
    .vgpr_spill_count: 0
    .wavefront_size: 32
    .workgroup_processor_mode: 1
  - .args:
      - .address_space:  global
        .offset:         0
        .size:           8
        .value_kind:     global_buffer
      - .address_space:  global
        .offset:         8
        .size:           8
        .value_kind:     global_buffer
    .group_segment_fixed_size: 8224
    .kernarg_segment_align: 8
    .kernarg_segment_size: 16
    .language:       OpenCL C
    .language_version:
      - 2
      - 0
    .max_flat_workgroup_size: 256
    .name:           _Z11rank_kernelIhLj4ELb0EL18RadixRankAlgorithm0ELj256ELj8ELj10EEvPKT_Pi
    .private_segment_fixed_size: 0
    .sgpr_count:     22
    .sgpr_spill_count: 0
    .symbol:         _Z11rank_kernelIhLj4ELb0EL18RadixRankAlgorithm0ELj256ELj8ELj10EEvPKT_Pi.kd
    .uniform_work_group_size: 1
    .uses_dynamic_stack: false
    .vgpr_count:     41
    .vgpr_spill_count: 0
    .wavefront_size: 32
    .workgroup_processor_mode: 1
  - .args:
      - .address_space:  global
        .offset:         0
        .size:           8
        .value_kind:     global_buffer
      - .address_space:  global
        .offset:         8
        .size:           8
        .value_kind:     global_buffer
    .group_segment_fixed_size: 8224
    .kernarg_segment_align: 8
    .kernarg_segment_size: 16
    .language:       OpenCL C
    .language_version:
      - 2
      - 0
    .max_flat_workgroup_size: 256
    .name:           _Z11rank_kernelIhLj4ELb0EL18RadixRankAlgorithm1ELj256ELj8ELj10EEvPKT_Pi
    .private_segment_fixed_size: 0
    .sgpr_count:     22
    .sgpr_spill_count: 0
    .symbol:         _Z11rank_kernelIhLj4ELb0EL18RadixRankAlgorithm1ELj256ELj8ELj10EEvPKT_Pi.kd
    .uniform_work_group_size: 1
    .uses_dynamic_stack: false
    .vgpr_count:     47
    .vgpr_spill_count: 0
    .wavefront_size: 32
    .workgroup_processor_mode: 1
  - .args:
      - .address_space:  global
        .offset:         0
        .size:           8
        .value_kind:     global_buffer
      - .address_space:  global
        .offset:         8
        .size:           8
        .value_kind:     global_buffer
      - .offset:         16
        .size:           4
        .value_kind:     hidden_block_count_x
      - .offset:         20
        .size:           4
        .value_kind:     hidden_block_count_y
      - .offset:         24
        .size:           4
        .value_kind:     hidden_block_count_z
      - .offset:         28
        .size:           2
        .value_kind:     hidden_group_size_x
      - .offset:         30
        .size:           2
        .value_kind:     hidden_group_size_y
      - .offset:         32
        .size:           2
        .value_kind:     hidden_group_size_z
      - .offset:         34
        .size:           2
        .value_kind:     hidden_remainder_x
      - .offset:         36
        .size:           2
        .value_kind:     hidden_remainder_y
      - .offset:         38
        .size:           2
        .value_kind:     hidden_remainder_z
      - .offset:         56
        .size:           8
        .value_kind:     hidden_global_offset_x
      - .offset:         64
        .size:           8
        .value_kind:     hidden_global_offset_y
      - .offset:         72
        .size:           8
        .value_kind:     hidden_global_offset_z
      - .offset:         80
        .size:           2
        .value_kind:     hidden_grid_dims
    .group_segment_fixed_size: 1056
    .kernarg_segment_align: 8
    .kernarg_segment_size: 272
    .language:       OpenCL C
    .language_version:
      - 2
      - 0
    .max_flat_workgroup_size: 256
    .name:           _Z11rank_kernelIhLj4ELb0EL18RadixRankAlgorithm2ELj256ELj8ELj10EEvPKT_Pi
    .private_segment_fixed_size: 0
    .sgpr_count:     85
    .sgpr_spill_count: 0
    .symbol:         _Z11rank_kernelIhLj4ELb0EL18RadixRankAlgorithm2ELj256ELj8ELj10EEvPKT_Pi.kd
    .uniform_work_group_size: 1
    .uses_dynamic_stack: false
    .vgpr_count:     104
    .vgpr_spill_count: 0
    .wavefront_size: 32
    .workgroup_processor_mode: 1
  - .args:
      - .address_space:  global
        .offset:         0
        .size:           8
        .value_kind:     global_buffer
      - .address_space:  global
        .offset:         8
        .size:           8
        .value_kind:     global_buffer
    .group_segment_fixed_size: 8224
    .kernarg_segment_align: 8
    .kernarg_segment_size: 16
    .language:       OpenCL C
    .language_version:
      - 2
      - 0
    .max_flat_workgroup_size: 256
    .name:           _Z11rank_kernelIhLj4ELb0EL18RadixRankAlgorithm0ELj256ELj16ELj10EEvPKT_Pi
    .private_segment_fixed_size: 0
    .sgpr_count:     22
    .sgpr_spill_count: 0
    .symbol:         _Z11rank_kernelIhLj4ELb0EL18RadixRankAlgorithm0ELj256ELj16ELj10EEvPKT_Pi.kd
    .uniform_work_group_size: 1
    .uses_dynamic_stack: false
    .vgpr_count:     64
    .vgpr_spill_count: 0
    .wavefront_size: 32
    .workgroup_processor_mode: 1
  - .args:
      - .address_space:  global
        .offset:         0
        .size:           8
        .value_kind:     global_buffer
      - .address_space:  global
        .offset:         8
        .size:           8
        .value_kind:     global_buffer
    .group_segment_fixed_size: 8224
    .kernarg_segment_align: 8
    .kernarg_segment_size: 16
    .language:       OpenCL C
    .language_version:
      - 2
      - 0
    .max_flat_workgroup_size: 256
    .name:           _Z11rank_kernelIhLj4ELb0EL18RadixRankAlgorithm1ELj256ELj16ELj10EEvPKT_Pi
    .private_segment_fixed_size: 0
    .sgpr_count:     22
    .sgpr_spill_count: 0
    .symbol:         _Z11rank_kernelIhLj4ELb0EL18RadixRankAlgorithm1ELj256ELj16ELj10EEvPKT_Pi.kd
    .uniform_work_group_size: 1
    .uses_dynamic_stack: false
    .vgpr_count:     66
    .vgpr_spill_count: 0
    .wavefront_size: 32
    .workgroup_processor_mode: 1
  - .args:
      - .address_space:  global
        .offset:         0
        .size:           8
        .value_kind:     global_buffer
      - .address_space:  global
        .offset:         8
        .size:           8
        .value_kind:     global_buffer
      - .offset:         16
        .size:           4
        .value_kind:     hidden_block_count_x
      - .offset:         20
        .size:           4
        .value_kind:     hidden_block_count_y
      - .offset:         24
        .size:           4
        .value_kind:     hidden_block_count_z
      - .offset:         28
        .size:           2
        .value_kind:     hidden_group_size_x
      - .offset:         30
        .size:           2
        .value_kind:     hidden_group_size_y
      - .offset:         32
        .size:           2
        .value_kind:     hidden_group_size_z
      - .offset:         34
        .size:           2
        .value_kind:     hidden_remainder_x
      - .offset:         36
        .size:           2
        .value_kind:     hidden_remainder_y
      - .offset:         38
        .size:           2
        .value_kind:     hidden_remainder_z
      - .offset:         56
        .size:           8
        .value_kind:     hidden_global_offset_x
      - .offset:         64
        .size:           8
        .value_kind:     hidden_global_offset_y
      - .offset:         72
        .size:           8
        .value_kind:     hidden_global_offset_z
      - .offset:         80
        .size:           2
        .value_kind:     hidden_grid_dims
    .group_segment_fixed_size: 1056
    .kernarg_segment_align: 8
    .kernarg_segment_size: 272
    .language:       OpenCL C
    .language_version:
      - 2
      - 0
    .max_flat_workgroup_size: 256
    .name:           _Z11rank_kernelIhLj4ELb0EL18RadixRankAlgorithm2ELj256ELj16ELj10EEvPKT_Pi
    .private_segment_fixed_size: 0
    .sgpr_count:     107
    .sgpr_spill_count: 43
    .symbol:         _Z11rank_kernelIhLj4ELb0EL18RadixRankAlgorithm2ELj256ELj16ELj10EEvPKT_Pi.kd
    .uniform_work_group_size: 1
    .uses_dynamic_stack: false
    .vgpr_count:     202
    .vgpr_spill_count: 0
    .wavefront_size: 32
    .workgroup_processor_mode: 1
  - .args:
      - .address_space:  global
        .offset:         0
        .size:           8
        .value_kind:     global_buffer
      - .address_space:  global
        .offset:         8
        .size:           8
        .value_kind:     global_buffer
    .group_segment_fixed_size: 8224
    .kernarg_segment_align: 8
    .kernarg_segment_size: 16
    .language:       OpenCL C
    .language_version:
      - 2
      - 0
    .max_flat_workgroup_size: 256
    .name:           _Z11rank_kernelIhLj4ELb0EL18RadixRankAlgorithm0ELj256ELj32ELj10EEvPKT_Pi
    .private_segment_fixed_size: 0
    .sgpr_count:     22
    .sgpr_spill_count: 0
    .symbol:         _Z11rank_kernelIhLj4ELb0EL18RadixRankAlgorithm0ELj256ELj32ELj10EEvPKT_Pi.kd
    .uniform_work_group_size: 1
    .uses_dynamic_stack: false
    .vgpr_count:     111
    .vgpr_spill_count: 0
    .wavefront_size: 32
    .workgroup_processor_mode: 1
  - .args:
      - .address_space:  global
        .offset:         0
        .size:           8
        .value_kind:     global_buffer
      - .address_space:  global
        .offset:         8
        .size:           8
        .value_kind:     global_buffer
    .group_segment_fixed_size: 8224
    .kernarg_segment_align: 8
    .kernarg_segment_size: 16
    .language:       OpenCL C
    .language_version:
      - 2
      - 0
    .max_flat_workgroup_size: 256
    .name:           _Z11rank_kernelIhLj4ELb0EL18RadixRankAlgorithm1ELj256ELj32ELj10EEvPKT_Pi
    .private_segment_fixed_size: 0
    .sgpr_count:     22
    .sgpr_spill_count: 0
    .symbol:         _Z11rank_kernelIhLj4ELb0EL18RadixRankAlgorithm1ELj256ELj32ELj10EEvPKT_Pi.kd
    .uniform_work_group_size: 1
    .uses_dynamic_stack: false
    .vgpr_count:     113
    .vgpr_spill_count: 0
    .wavefront_size: 32
    .workgroup_processor_mode: 1
  - .args:
      - .address_space:  global
        .offset:         0
        .size:           8
        .value_kind:     global_buffer
      - .address_space:  global
        .offset:         8
        .size:           8
        .value_kind:     global_buffer
      - .offset:         16
        .size:           4
        .value_kind:     hidden_block_count_x
      - .offset:         20
        .size:           4
        .value_kind:     hidden_block_count_y
      - .offset:         24
        .size:           4
        .value_kind:     hidden_block_count_z
      - .offset:         28
        .size:           2
        .value_kind:     hidden_group_size_x
      - .offset:         30
        .size:           2
        .value_kind:     hidden_group_size_y
      - .offset:         32
        .size:           2
        .value_kind:     hidden_group_size_z
      - .offset:         34
        .size:           2
        .value_kind:     hidden_remainder_x
      - .offset:         36
        .size:           2
        .value_kind:     hidden_remainder_y
      - .offset:         38
        .size:           2
        .value_kind:     hidden_remainder_z
      - .offset:         56
        .size:           8
        .value_kind:     hidden_global_offset_x
      - .offset:         64
        .size:           8
        .value_kind:     hidden_global_offset_y
      - .offset:         72
        .size:           8
        .value_kind:     hidden_global_offset_z
      - .offset:         80
        .size:           2
        .value_kind:     hidden_grid_dims
    .group_segment_fixed_size: 1056
    .kernarg_segment_align: 8
    .kernarg_segment_size: 272
    .language:       OpenCL C
    .language_version:
      - 2
      - 0
    .max_flat_workgroup_size: 256
    .name:           _Z11rank_kernelIhLj4ELb0EL18RadixRankAlgorithm2ELj256ELj32ELj10EEvPKT_Pi
    .private_segment_fixed_size: 0
    .sgpr_count:     23
    .sgpr_spill_count: 0
    .symbol:         _Z11rank_kernelIhLj4ELb0EL18RadixRankAlgorithm2ELj256ELj32ELj10EEvPKT_Pi.kd
    .uniform_work_group_size: 1
    .uses_dynamic_stack: false
    .vgpr_count:     138
    .vgpr_spill_count: 0
    .wavefront_size: 32
    .workgroup_processor_mode: 1
  - .args:
      - .address_space:  global
        .offset:         0
        .size:           8
        .value_kind:     global_buffer
      - .address_space:  global
        .offset:         8
        .size:           8
        .value_kind:     global_buffer
    .group_segment_fixed_size: 16448
    .kernarg_segment_align: 8
    .kernarg_segment_size: 16
    .language:       OpenCL C
    .language_version:
      - 2
      - 0
    .max_flat_workgroup_size: 512
    .name:           _Z11rank_kernelIhLj4ELb0EL18RadixRankAlgorithm0ELj512ELj1ELj10EEvPKT_Pi
    .private_segment_fixed_size: 0
    .sgpr_count:     18
    .sgpr_spill_count: 0
    .symbol:         _Z11rank_kernelIhLj4ELb0EL18RadixRankAlgorithm0ELj512ELj1ELj10EEvPKT_Pi.kd
    .uniform_work_group_size: 1
    .uses_dynamic_stack: false
    .vgpr_count:     19
    .vgpr_spill_count: 0
    .wavefront_size: 32
    .workgroup_processor_mode: 1
  - .args:
      - .address_space:  global
        .offset:         0
        .size:           8
        .value_kind:     global_buffer
      - .address_space:  global
        .offset:         8
        .size:           8
        .value_kind:     global_buffer
    .group_segment_fixed_size: 16448
    .kernarg_segment_align: 8
    .kernarg_segment_size: 16
    .language:       OpenCL C
    .language_version:
      - 2
      - 0
    .max_flat_workgroup_size: 512
    .name:           _Z11rank_kernelIhLj4ELb0EL18RadixRankAlgorithm1ELj512ELj1ELj10EEvPKT_Pi
    .private_segment_fixed_size: 0
    .sgpr_count:     18
    .sgpr_spill_count: 0
    .symbol:         _Z11rank_kernelIhLj4ELb0EL18RadixRankAlgorithm1ELj512ELj1ELj10EEvPKT_Pi.kd
    .uniform_work_group_size: 1
    .uses_dynamic_stack: false
    .vgpr_count:     20
    .vgpr_spill_count: 0
    .wavefront_size: 32
    .workgroup_processor_mode: 1
  - .args:
      - .address_space:  global
        .offset:         0
        .size:           8
        .value_kind:     global_buffer
      - .address_space:  global
        .offset:         8
        .size:           8
        .value_kind:     global_buffer
      - .offset:         16
        .size:           4
        .value_kind:     hidden_block_count_x
      - .offset:         20
        .size:           4
        .value_kind:     hidden_block_count_y
      - .offset:         24
        .size:           4
        .value_kind:     hidden_block_count_z
      - .offset:         28
        .size:           2
        .value_kind:     hidden_group_size_x
      - .offset:         30
        .size:           2
        .value_kind:     hidden_group_size_y
      - .offset:         32
        .size:           2
        .value_kind:     hidden_group_size_z
      - .offset:         34
        .size:           2
        .value_kind:     hidden_remainder_x
      - .offset:         36
        .size:           2
        .value_kind:     hidden_remainder_y
      - .offset:         38
        .size:           2
        .value_kind:     hidden_remainder_z
      - .offset:         56
        .size:           8
        .value_kind:     hidden_global_offset_x
      - .offset:         64
        .size:           8
        .value_kind:     hidden_global_offset_y
      - .offset:         72
        .size:           8
        .value_kind:     hidden_global_offset_z
      - .offset:         80
        .size:           2
        .value_kind:     hidden_grid_dims
    .group_segment_fixed_size: 2112
    .kernarg_segment_align: 8
    .kernarg_segment_size: 272
    .language:       OpenCL C
    .language_version:
      - 2
      - 0
    .max_flat_workgroup_size: 512
    .name:           _Z11rank_kernelIhLj4ELb0EL18RadixRankAlgorithm2ELj512ELj1ELj10EEvPKT_Pi
    .private_segment_fixed_size: 0
    .sgpr_count:     18
    .sgpr_spill_count: 0
    .symbol:         _Z11rank_kernelIhLj4ELb0EL18RadixRankAlgorithm2ELj512ELj1ELj10EEvPKT_Pi.kd
    .uniform_work_group_size: 1
    .uses_dynamic_stack: false
    .vgpr_count:     29
    .vgpr_spill_count: 0
    .wavefront_size: 32
    .workgroup_processor_mode: 1
  - .args:
      - .address_space:  global
        .offset:         0
        .size:           8
        .value_kind:     global_buffer
      - .address_space:  global
        .offset:         8
        .size:           8
        .value_kind:     global_buffer
    .group_segment_fixed_size: 16448
    .kernarg_segment_align: 8
    .kernarg_segment_size: 16
    .language:       OpenCL C
    .language_version:
      - 2
      - 0
    .max_flat_workgroup_size: 512
    .name:           _Z11rank_kernelIhLj4ELb0EL18RadixRankAlgorithm0ELj512ELj4ELj10EEvPKT_Pi
    .private_segment_fixed_size: 0
    .sgpr_count:     18
    .sgpr_spill_count: 0
    .symbol:         _Z11rank_kernelIhLj4ELb0EL18RadixRankAlgorithm0ELj512ELj4ELj10EEvPKT_Pi.kd
    .uniform_work_group_size: 1
    .uses_dynamic_stack: false
    .vgpr_count:     26
    .vgpr_spill_count: 0
    .wavefront_size: 32
    .workgroup_processor_mode: 1
  - .args:
      - .address_space:  global
        .offset:         0
        .size:           8
        .value_kind:     global_buffer
      - .address_space:  global
        .offset:         8
        .size:           8
        .value_kind:     global_buffer
    .group_segment_fixed_size: 16448
    .kernarg_segment_align: 8
    .kernarg_segment_size: 16
    .language:       OpenCL C
    .language_version:
      - 2
      - 0
    .max_flat_workgroup_size: 512
    .name:           _Z11rank_kernelIhLj4ELb0EL18RadixRankAlgorithm1ELj512ELj4ELj10EEvPKT_Pi
    .private_segment_fixed_size: 0
    .sgpr_count:     18
    .sgpr_spill_count: 0
    .symbol:         _Z11rank_kernelIhLj4ELb0EL18RadixRankAlgorithm1ELj512ELj4ELj10EEvPKT_Pi.kd
    .uniform_work_group_size: 1
    .uses_dynamic_stack: false
    .vgpr_count:     28
    .vgpr_spill_count: 0
    .wavefront_size: 32
    .workgroup_processor_mode: 1
  - .args:
      - .address_space:  global
        .offset:         0
        .size:           8
        .value_kind:     global_buffer
      - .address_space:  global
        .offset:         8
        .size:           8
        .value_kind:     global_buffer
      - .offset:         16
        .size:           4
        .value_kind:     hidden_block_count_x
      - .offset:         20
        .size:           4
        .value_kind:     hidden_block_count_y
      - .offset:         24
        .size:           4
        .value_kind:     hidden_block_count_z
      - .offset:         28
        .size:           2
        .value_kind:     hidden_group_size_x
      - .offset:         30
        .size:           2
        .value_kind:     hidden_group_size_y
      - .offset:         32
        .size:           2
        .value_kind:     hidden_group_size_z
      - .offset:         34
        .size:           2
        .value_kind:     hidden_remainder_x
      - .offset:         36
        .size:           2
        .value_kind:     hidden_remainder_y
      - .offset:         38
        .size:           2
        .value_kind:     hidden_remainder_z
      - .offset:         56
        .size:           8
        .value_kind:     hidden_global_offset_x
      - .offset:         64
        .size:           8
        .value_kind:     hidden_global_offset_y
      - .offset:         72
        .size:           8
        .value_kind:     hidden_global_offset_z
      - .offset:         80
        .size:           2
        .value_kind:     hidden_grid_dims
    .group_segment_fixed_size: 2112
    .kernarg_segment_align: 8
    .kernarg_segment_size: 272
    .language:       OpenCL C
    .language_version:
      - 2
      - 0
    .max_flat_workgroup_size: 512
    .name:           _Z11rank_kernelIhLj4ELb0EL18RadixRankAlgorithm2ELj512ELj4ELj10EEvPKT_Pi
    .private_segment_fixed_size: 0
    .sgpr_count:     41
    .sgpr_spill_count: 0
    .symbol:         _Z11rank_kernelIhLj4ELb0EL18RadixRankAlgorithm2ELj512ELj4ELj10EEvPKT_Pi.kd
    .uniform_work_group_size: 1
    .uses_dynamic_stack: false
    .vgpr_count:     64
    .vgpr_spill_count: 0
    .wavefront_size: 32
    .workgroup_processor_mode: 1
  - .args:
      - .address_space:  global
        .offset:         0
        .size:           8
        .value_kind:     global_buffer
      - .address_space:  global
        .offset:         8
        .size:           8
        .value_kind:     global_buffer
    .group_segment_fixed_size: 16448
    .kernarg_segment_align: 8
    .kernarg_segment_size: 16
    .language:       OpenCL C
    .language_version:
      - 2
      - 0
    .max_flat_workgroup_size: 512
    .name:           _Z11rank_kernelIhLj4ELb0EL18RadixRankAlgorithm0ELj512ELj8ELj10EEvPKT_Pi
    .private_segment_fixed_size: 0
    .sgpr_count:     18
    .sgpr_spill_count: 0
    .symbol:         _Z11rank_kernelIhLj4ELb0EL18RadixRankAlgorithm0ELj512ELj8ELj10EEvPKT_Pi.kd
    .uniform_work_group_size: 1
    .uses_dynamic_stack: false
    .vgpr_count:     42
    .vgpr_spill_count: 0
    .wavefront_size: 32
    .workgroup_processor_mode: 1
  - .args:
      - .address_space:  global
        .offset:         0
        .size:           8
        .value_kind:     global_buffer
      - .address_space:  global
        .offset:         8
        .size:           8
        .value_kind:     global_buffer
    .group_segment_fixed_size: 16448
    .kernarg_segment_align: 8
    .kernarg_segment_size: 16
    .language:       OpenCL C
    .language_version:
      - 2
      - 0
    .max_flat_workgroup_size: 512
    .name:           _Z11rank_kernelIhLj4ELb0EL18RadixRankAlgorithm1ELj512ELj8ELj10EEvPKT_Pi
    .private_segment_fixed_size: 0
    .sgpr_count:     18
    .sgpr_spill_count: 0
    .symbol:         _Z11rank_kernelIhLj4ELb0EL18RadixRankAlgorithm1ELj512ELj8ELj10EEvPKT_Pi.kd
    .uniform_work_group_size: 1
    .uses_dynamic_stack: false
    .vgpr_count:     48
    .vgpr_spill_count: 0
    .wavefront_size: 32
    .workgroup_processor_mode: 1
  - .args:
      - .address_space:  global
        .offset:         0
        .size:           8
        .value_kind:     global_buffer
      - .address_space:  global
        .offset:         8
        .size:           8
        .value_kind:     global_buffer
      - .offset:         16
        .size:           4
        .value_kind:     hidden_block_count_x
      - .offset:         20
        .size:           4
        .value_kind:     hidden_block_count_y
      - .offset:         24
        .size:           4
        .value_kind:     hidden_block_count_z
      - .offset:         28
        .size:           2
        .value_kind:     hidden_group_size_x
      - .offset:         30
        .size:           2
        .value_kind:     hidden_group_size_y
      - .offset:         32
        .size:           2
        .value_kind:     hidden_group_size_z
      - .offset:         34
        .size:           2
        .value_kind:     hidden_remainder_x
      - .offset:         36
        .size:           2
        .value_kind:     hidden_remainder_y
      - .offset:         38
        .size:           2
        .value_kind:     hidden_remainder_z
      - .offset:         56
        .size:           8
        .value_kind:     hidden_global_offset_x
      - .offset:         64
        .size:           8
        .value_kind:     hidden_global_offset_y
      - .offset:         72
        .size:           8
        .value_kind:     hidden_global_offset_z
      - .offset:         80
        .size:           2
        .value_kind:     hidden_grid_dims
    .group_segment_fixed_size: 2112
    .kernarg_segment_align: 8
    .kernarg_segment_size: 272
    .language:       OpenCL C
    .language_version:
      - 2
      - 0
    .max_flat_workgroup_size: 512
    .name:           _Z11rank_kernelIhLj4ELb0EL18RadixRankAlgorithm2ELj512ELj8ELj10EEvPKT_Pi
    .private_segment_fixed_size: 0
    .sgpr_count:     82
    .sgpr_spill_count: 0
    .symbol:         _Z11rank_kernelIhLj4ELb0EL18RadixRankAlgorithm2ELj512ELj8ELj10EEvPKT_Pi.kd
    .uniform_work_group_size: 1
    .uses_dynamic_stack: false
    .vgpr_count:     104
    .vgpr_spill_count: 0
    .wavefront_size: 32
    .workgroup_processor_mode: 1
  - .args:
      - .address_space:  global
        .offset:         0
        .size:           8
        .value_kind:     global_buffer
      - .address_space:  global
        .offset:         8
        .size:           8
        .value_kind:     global_buffer
    .group_segment_fixed_size: 16448
    .kernarg_segment_align: 8
    .kernarg_segment_size: 16
    .language:       OpenCL C
    .language_version:
      - 2
      - 0
    .max_flat_workgroup_size: 512
    .name:           _Z11rank_kernelIhLj4ELb0EL18RadixRankAlgorithm0ELj512ELj16ELj10EEvPKT_Pi
    .private_segment_fixed_size: 0
    .sgpr_count:     19
    .sgpr_spill_count: 0
    .symbol:         _Z11rank_kernelIhLj4ELb0EL18RadixRankAlgorithm0ELj512ELj16ELj10EEvPKT_Pi.kd
    .uniform_work_group_size: 1
    .uses_dynamic_stack: false
    .vgpr_count:     64
    .vgpr_spill_count: 0
    .wavefront_size: 32
    .workgroup_processor_mode: 1
  - .args:
      - .address_space:  global
        .offset:         0
        .size:           8
        .value_kind:     global_buffer
      - .address_space:  global
        .offset:         8
        .size:           8
        .value_kind:     global_buffer
    .group_segment_fixed_size: 16448
    .kernarg_segment_align: 8
    .kernarg_segment_size: 16
    .language:       OpenCL C
    .language_version:
      - 2
      - 0
    .max_flat_workgroup_size: 512
    .name:           _Z11rank_kernelIhLj4ELb0EL18RadixRankAlgorithm1ELj512ELj16ELj10EEvPKT_Pi
    .private_segment_fixed_size: 0
    .sgpr_count:     19
    .sgpr_spill_count: 0
    .symbol:         _Z11rank_kernelIhLj4ELb0EL18RadixRankAlgorithm1ELj512ELj16ELj10EEvPKT_Pi.kd
    .uniform_work_group_size: 1
    .uses_dynamic_stack: false
    .vgpr_count:     66
    .vgpr_spill_count: 0
    .wavefront_size: 32
    .workgroup_processor_mode: 1
  - .args:
      - .address_space:  global
        .offset:         0
        .size:           8
        .value_kind:     global_buffer
      - .address_space:  global
        .offset:         8
        .size:           8
        .value_kind:     global_buffer
      - .offset:         16
        .size:           4
        .value_kind:     hidden_block_count_x
      - .offset:         20
        .size:           4
        .value_kind:     hidden_block_count_y
      - .offset:         24
        .size:           4
        .value_kind:     hidden_block_count_z
      - .offset:         28
        .size:           2
        .value_kind:     hidden_group_size_x
      - .offset:         30
        .size:           2
        .value_kind:     hidden_group_size_y
      - .offset:         32
        .size:           2
        .value_kind:     hidden_group_size_z
      - .offset:         34
        .size:           2
        .value_kind:     hidden_remainder_x
      - .offset:         36
        .size:           2
        .value_kind:     hidden_remainder_y
      - .offset:         38
        .size:           2
        .value_kind:     hidden_remainder_z
      - .offset:         56
        .size:           8
        .value_kind:     hidden_global_offset_x
      - .offset:         64
        .size:           8
        .value_kind:     hidden_global_offset_y
      - .offset:         72
        .size:           8
        .value_kind:     hidden_global_offset_z
      - .offset:         80
        .size:           2
        .value_kind:     hidden_grid_dims
    .group_segment_fixed_size: 2112
    .kernarg_segment_align: 8
    .kernarg_segment_size: 272
    .language:       OpenCL C
    .language_version:
      - 2
      - 0
    .max_flat_workgroup_size: 512
    .name:           _Z11rank_kernelIhLj4ELb0EL18RadixRankAlgorithm2ELj512ELj16ELj10EEvPKT_Pi
    .private_segment_fixed_size: 0
    .sgpr_count:     107
    .sgpr_spill_count: 40
    .symbol:         _Z11rank_kernelIhLj4ELb0EL18RadixRankAlgorithm2ELj512ELj16ELj10EEvPKT_Pi.kd
    .uniform_work_group_size: 1
    .uses_dynamic_stack: false
    .vgpr_count:     202
    .vgpr_spill_count: 0
    .wavefront_size: 32
    .workgroup_processor_mode: 1
  - .args:
      - .address_space:  global
        .offset:         0
        .size:           8
        .value_kind:     global_buffer
      - .address_space:  global
        .offset:         8
        .size:           8
        .value_kind:     global_buffer
    .group_segment_fixed_size: 16448
    .kernarg_segment_align: 8
    .kernarg_segment_size: 16
    .language:       OpenCL C
    .language_version:
      - 2
      - 0
    .max_flat_workgroup_size: 512
    .name:           _Z11rank_kernelIhLj4ELb0EL18RadixRankAlgorithm0ELj512ELj32ELj10EEvPKT_Pi
    .private_segment_fixed_size: 0
    .sgpr_count:     19
    .sgpr_spill_count: 0
    .symbol:         _Z11rank_kernelIhLj4ELb0EL18RadixRankAlgorithm0ELj512ELj32ELj10EEvPKT_Pi.kd
    .uniform_work_group_size: 1
    .uses_dynamic_stack: false
    .vgpr_count:     111
    .vgpr_spill_count: 0
    .wavefront_size: 32
    .workgroup_processor_mode: 1
  - .args:
      - .address_space:  global
        .offset:         0
        .size:           8
        .value_kind:     global_buffer
      - .address_space:  global
        .offset:         8
        .size:           8
        .value_kind:     global_buffer
    .group_segment_fixed_size: 16448
    .kernarg_segment_align: 8
    .kernarg_segment_size: 16
    .language:       OpenCL C
    .language_version:
      - 2
      - 0
    .max_flat_workgroup_size: 512
    .name:           _Z11rank_kernelIhLj4ELb0EL18RadixRankAlgorithm1ELj512ELj32ELj10EEvPKT_Pi
    .private_segment_fixed_size: 0
    .sgpr_count:     19
    .sgpr_spill_count: 0
    .symbol:         _Z11rank_kernelIhLj4ELb0EL18RadixRankAlgorithm1ELj512ELj32ELj10EEvPKT_Pi.kd
    .uniform_work_group_size: 1
    .uses_dynamic_stack: false
    .vgpr_count:     113
    .vgpr_spill_count: 0
    .wavefront_size: 32
    .workgroup_processor_mode: 1
  - .args:
      - .address_space:  global
        .offset:         0
        .size:           8
        .value_kind:     global_buffer
      - .address_space:  global
        .offset:         8
        .size:           8
        .value_kind:     global_buffer
      - .offset:         16
        .size:           4
        .value_kind:     hidden_block_count_x
      - .offset:         20
        .size:           4
        .value_kind:     hidden_block_count_y
      - .offset:         24
        .size:           4
        .value_kind:     hidden_block_count_z
      - .offset:         28
        .size:           2
        .value_kind:     hidden_group_size_x
      - .offset:         30
        .size:           2
        .value_kind:     hidden_group_size_y
      - .offset:         32
        .size:           2
        .value_kind:     hidden_group_size_z
      - .offset:         34
        .size:           2
        .value_kind:     hidden_remainder_x
      - .offset:         36
        .size:           2
        .value_kind:     hidden_remainder_y
      - .offset:         38
        .size:           2
        .value_kind:     hidden_remainder_z
      - .offset:         56
        .size:           8
        .value_kind:     hidden_global_offset_x
      - .offset:         64
        .size:           8
        .value_kind:     hidden_global_offset_y
      - .offset:         72
        .size:           8
        .value_kind:     hidden_global_offset_z
      - .offset:         80
        .size:           2
        .value_kind:     hidden_grid_dims
    .group_segment_fixed_size: 2112
    .kernarg_segment_align: 8
    .kernarg_segment_size: 272
    .language:       OpenCL C
    .language_version:
      - 2
      - 0
    .max_flat_workgroup_size: 512
    .name:           _Z11rank_kernelIhLj4ELb0EL18RadixRankAlgorithm2ELj512ELj32ELj10EEvPKT_Pi
    .private_segment_fixed_size: 0
    .sgpr_count:     20
    .sgpr_spill_count: 0
    .symbol:         _Z11rank_kernelIhLj4ELb0EL18RadixRankAlgorithm2ELj512ELj32ELj10EEvPKT_Pi.kd
    .uniform_work_group_size: 1
    .uses_dynamic_stack: false
    .vgpr_count:     138
    .vgpr_spill_count: 0
    .wavefront_size: 32
    .workgroup_processor_mode: 1
  - .args:
      - .address_space:  global
        .offset:         0
        .size:           8
        .value_kind:     global_buffer
      - .address_space:  global
        .offset:         8
        .size:           8
        .value_kind:     global_buffer
    .group_segment_fixed_size: 4112
    .kernarg_segment_align: 8
    .kernarg_segment_size: 16
    .language:       OpenCL C
    .language_version:
      - 2
      - 0
    .max_flat_workgroup_size: 128
    .name:           _Z11rank_kernelIxLj4ELb0EL18RadixRankAlgorithm0ELj128ELj1ELj10EEvPKT_Pi
    .private_segment_fixed_size: 0
    .sgpr_count:     22
    .sgpr_spill_count: 0
    .symbol:         _Z11rank_kernelIxLj4ELb0EL18RadixRankAlgorithm0ELj128ELj1ELj10EEvPKT_Pi.kd
    .uniform_work_group_size: 1
    .uses_dynamic_stack: false
    .vgpr_count:     19
    .vgpr_spill_count: 0
    .wavefront_size: 32
    .workgroup_processor_mode: 1
  - .args:
      - .address_space:  global
        .offset:         0
        .size:           8
        .value_kind:     global_buffer
      - .address_space:  global
        .offset:         8
        .size:           8
        .value_kind:     global_buffer
    .group_segment_fixed_size: 4112
    .kernarg_segment_align: 8
    .kernarg_segment_size: 16
    .language:       OpenCL C
    .language_version:
      - 2
      - 0
    .max_flat_workgroup_size: 128
    .name:           _Z11rank_kernelIxLj4ELb0EL18RadixRankAlgorithm1ELj128ELj1ELj10EEvPKT_Pi
    .private_segment_fixed_size: 0
    .sgpr_count:     22
    .sgpr_spill_count: 0
    .symbol:         _Z11rank_kernelIxLj4ELb0EL18RadixRankAlgorithm1ELj128ELj1ELj10EEvPKT_Pi.kd
    .uniform_work_group_size: 1
    .uses_dynamic_stack: false
    .vgpr_count:     21
    .vgpr_spill_count: 0
    .wavefront_size: 32
    .workgroup_processor_mode: 1
  - .args:
      - .address_space:  global
        .offset:         0
        .size:           8
        .value_kind:     global_buffer
      - .address_space:  global
        .offset:         8
        .size:           8
        .value_kind:     global_buffer
      - .offset:         16
        .size:           4
        .value_kind:     hidden_block_count_x
      - .offset:         20
        .size:           4
        .value_kind:     hidden_block_count_y
      - .offset:         24
        .size:           4
        .value_kind:     hidden_block_count_z
      - .offset:         28
        .size:           2
        .value_kind:     hidden_group_size_x
      - .offset:         30
        .size:           2
        .value_kind:     hidden_group_size_y
      - .offset:         32
        .size:           2
        .value_kind:     hidden_group_size_z
      - .offset:         34
        .size:           2
        .value_kind:     hidden_remainder_x
      - .offset:         36
        .size:           2
        .value_kind:     hidden_remainder_y
      - .offset:         38
        .size:           2
        .value_kind:     hidden_remainder_z
      - .offset:         56
        .size:           8
        .value_kind:     hidden_global_offset_x
      - .offset:         64
        .size:           8
        .value_kind:     hidden_global_offset_y
      - .offset:         72
        .size:           8
        .value_kind:     hidden_global_offset_z
      - .offset:         80
        .size:           2
        .value_kind:     hidden_grid_dims
    .group_segment_fixed_size: 528
    .kernarg_segment_align: 8
    .kernarg_segment_size: 272
    .language:       OpenCL C
    .language_version:
      - 2
      - 0
    .max_flat_workgroup_size: 128
    .name:           _Z11rank_kernelIxLj4ELb0EL18RadixRankAlgorithm2ELj128ELj1ELj10EEvPKT_Pi
    .private_segment_fixed_size: 0
    .sgpr_count:     22
    .sgpr_spill_count: 0
    .symbol:         _Z11rank_kernelIxLj4ELb0EL18RadixRankAlgorithm2ELj128ELj1ELj10EEvPKT_Pi.kd
    .uniform_work_group_size: 1
    .uses_dynamic_stack: false
    .vgpr_count:     16
    .vgpr_spill_count: 0
    .wavefront_size: 32
    .workgroup_processor_mode: 1
  - .args:
      - .address_space:  global
        .offset:         0
        .size:           8
        .value_kind:     global_buffer
      - .address_space:  global
        .offset:         8
        .size:           8
        .value_kind:     global_buffer
    .group_segment_fixed_size: 4112
    .kernarg_segment_align: 8
    .kernarg_segment_size: 16
    .language:       OpenCL C
    .language_version:
      - 2
      - 0
    .max_flat_workgroup_size: 128
    .name:           _Z11rank_kernelIxLj4ELb0EL18RadixRankAlgorithm0ELj128ELj4ELj10EEvPKT_Pi
    .private_segment_fixed_size: 0
    .sgpr_count:     22
    .sgpr_spill_count: 0
    .symbol:         _Z11rank_kernelIxLj4ELb0EL18RadixRankAlgorithm0ELj128ELj4ELj10EEvPKT_Pi.kd
    .uniform_work_group_size: 1
    .uses_dynamic_stack: false
    .vgpr_count:     31
    .vgpr_spill_count: 0
    .wavefront_size: 32
    .workgroup_processor_mode: 1
  - .args:
      - .address_space:  global
        .offset:         0
        .size:           8
        .value_kind:     global_buffer
      - .address_space:  global
        .offset:         8
        .size:           8
        .value_kind:     global_buffer
    .group_segment_fixed_size: 4112
    .kernarg_segment_align: 8
    .kernarg_segment_size: 16
    .language:       OpenCL C
    .language_version:
      - 2
      - 0
    .max_flat_workgroup_size: 128
    .name:           _Z11rank_kernelIxLj4ELb0EL18RadixRankAlgorithm1ELj128ELj4ELj10EEvPKT_Pi
    .private_segment_fixed_size: 0
    .sgpr_count:     22
    .sgpr_spill_count: 0
    .symbol:         _Z11rank_kernelIxLj4ELb0EL18RadixRankAlgorithm1ELj128ELj4ELj10EEvPKT_Pi.kd
    .uniform_work_group_size: 1
    .uses_dynamic_stack: false
    .vgpr_count:     33
    .vgpr_spill_count: 0
    .wavefront_size: 32
    .workgroup_processor_mode: 1
  - .args:
      - .address_space:  global
        .offset:         0
        .size:           8
        .value_kind:     global_buffer
      - .address_space:  global
        .offset:         8
        .size:           8
        .value_kind:     global_buffer
      - .offset:         16
        .size:           4
        .value_kind:     hidden_block_count_x
      - .offset:         20
        .size:           4
        .value_kind:     hidden_block_count_y
      - .offset:         24
        .size:           4
        .value_kind:     hidden_block_count_z
      - .offset:         28
        .size:           2
        .value_kind:     hidden_group_size_x
      - .offset:         30
        .size:           2
        .value_kind:     hidden_group_size_y
      - .offset:         32
        .size:           2
        .value_kind:     hidden_group_size_z
      - .offset:         34
        .size:           2
        .value_kind:     hidden_remainder_x
      - .offset:         36
        .size:           2
        .value_kind:     hidden_remainder_y
      - .offset:         38
        .size:           2
        .value_kind:     hidden_remainder_z
      - .offset:         56
        .size:           8
        .value_kind:     hidden_global_offset_x
      - .offset:         64
        .size:           8
        .value_kind:     hidden_global_offset_y
      - .offset:         72
        .size:           8
        .value_kind:     hidden_global_offset_z
      - .offset:         80
        .size:           2
        .value_kind:     hidden_grid_dims
    .group_segment_fixed_size: 528
    .kernarg_segment_align: 8
    .kernarg_segment_size: 272
    .language:       OpenCL C
    .language_version:
      - 2
      - 0
    .max_flat_workgroup_size: 128
    .name:           _Z11rank_kernelIxLj4ELb0EL18RadixRankAlgorithm2ELj128ELj4ELj10EEvPKT_Pi
    .private_segment_fixed_size: 0
    .sgpr_count:     22
    .sgpr_spill_count: 0
    .symbol:         _Z11rank_kernelIxLj4ELb0EL18RadixRankAlgorithm2ELj128ELj4ELj10EEvPKT_Pi.kd
    .uniform_work_group_size: 1
    .uses_dynamic_stack: false
    .vgpr_count:     29
    .vgpr_spill_count: 0
    .wavefront_size: 32
    .workgroup_processor_mode: 1
  - .args:
      - .address_space:  global
        .offset:         0
        .size:           8
        .value_kind:     global_buffer
      - .address_space:  global
        .offset:         8
        .size:           8
        .value_kind:     global_buffer
    .group_segment_fixed_size: 4112
    .kernarg_segment_align: 8
    .kernarg_segment_size: 16
    .language:       OpenCL C
    .language_version:
      - 2
      - 0
    .max_flat_workgroup_size: 128
    .name:           _Z11rank_kernelIxLj4ELb0EL18RadixRankAlgorithm0ELj128ELj8ELj10EEvPKT_Pi
    .private_segment_fixed_size: 0
    .sgpr_count:     22
    .sgpr_spill_count: 0
    .symbol:         _Z11rank_kernelIxLj4ELb0EL18RadixRankAlgorithm0ELj128ELj8ELj10EEvPKT_Pi.kd
    .uniform_work_group_size: 1
    .uses_dynamic_stack: false
    .vgpr_count:     48
    .vgpr_spill_count: 0
    .wavefront_size: 32
    .workgroup_processor_mode: 1
  - .args:
      - .address_space:  global
        .offset:         0
        .size:           8
        .value_kind:     global_buffer
      - .address_space:  global
        .offset:         8
        .size:           8
        .value_kind:     global_buffer
    .group_segment_fixed_size: 4112
    .kernarg_segment_align: 8
    .kernarg_segment_size: 16
    .language:       OpenCL C
    .language_version:
      - 2
      - 0
    .max_flat_workgroup_size: 128
    .name:           _Z11rank_kernelIxLj4ELb0EL18RadixRankAlgorithm1ELj128ELj8ELj10EEvPKT_Pi
    .private_segment_fixed_size: 0
    .sgpr_count:     22
    .sgpr_spill_count: 0
    .symbol:         _Z11rank_kernelIxLj4ELb0EL18RadixRankAlgorithm1ELj128ELj8ELj10EEvPKT_Pi.kd
    .uniform_work_group_size: 1
    .uses_dynamic_stack: false
    .vgpr_count:     50
    .vgpr_spill_count: 0
    .wavefront_size: 32
    .workgroup_processor_mode: 1
  - .args:
      - .address_space:  global
        .offset:         0
        .size:           8
        .value_kind:     global_buffer
      - .address_space:  global
        .offset:         8
        .size:           8
        .value_kind:     global_buffer
      - .offset:         16
        .size:           4
        .value_kind:     hidden_block_count_x
      - .offset:         20
        .size:           4
        .value_kind:     hidden_block_count_y
      - .offset:         24
        .size:           4
        .value_kind:     hidden_block_count_z
      - .offset:         28
        .size:           2
        .value_kind:     hidden_group_size_x
      - .offset:         30
        .size:           2
        .value_kind:     hidden_group_size_y
      - .offset:         32
        .size:           2
        .value_kind:     hidden_group_size_z
      - .offset:         34
        .size:           2
        .value_kind:     hidden_remainder_x
      - .offset:         36
        .size:           2
        .value_kind:     hidden_remainder_y
      - .offset:         38
        .size:           2
        .value_kind:     hidden_remainder_z
      - .offset:         56
        .size:           8
        .value_kind:     hidden_global_offset_x
      - .offset:         64
        .size:           8
        .value_kind:     hidden_global_offset_y
      - .offset:         72
        .size:           8
        .value_kind:     hidden_global_offset_z
      - .offset:         80
        .size:           2
        .value_kind:     hidden_grid_dims
    .group_segment_fixed_size: 528
    .kernarg_segment_align: 8
    .kernarg_segment_size: 272
    .language:       OpenCL C
    .language_version:
      - 2
      - 0
    .max_flat_workgroup_size: 128
    .name:           _Z11rank_kernelIxLj4ELb0EL18RadixRankAlgorithm2ELj128ELj8ELj10EEvPKT_Pi
    .private_segment_fixed_size: 0
    .sgpr_count:     22
    .sgpr_spill_count: 0
    .symbol:         _Z11rank_kernelIxLj4ELb0EL18RadixRankAlgorithm2ELj128ELj8ELj10EEvPKT_Pi.kd
    .uniform_work_group_size: 1
    .uses_dynamic_stack: false
    .vgpr_count:     50
    .vgpr_spill_count: 0
    .wavefront_size: 32
    .workgroup_processor_mode: 1
  - .args:
      - .address_space:  global
        .offset:         0
        .size:           8
        .value_kind:     global_buffer
      - .address_space:  global
        .offset:         8
        .size:           8
        .value_kind:     global_buffer
    .group_segment_fixed_size: 4112
    .kernarg_segment_align: 8
    .kernarg_segment_size: 16
    .language:       OpenCL C
    .language_version:
      - 2
      - 0
    .max_flat_workgroup_size: 128
    .name:           _Z11rank_kernelIxLj4ELb0EL18RadixRankAlgorithm0ELj128ELj16ELj10EEvPKT_Pi
    .private_segment_fixed_size: 0
    .sgpr_count:     22
    .sgpr_spill_count: 0
    .symbol:         _Z11rank_kernelIxLj4ELb0EL18RadixRankAlgorithm0ELj128ELj16ELj10EEvPKT_Pi.kd
    .uniform_work_group_size: 1
    .uses_dynamic_stack: false
    .vgpr_count:     80
    .vgpr_spill_count: 0
    .wavefront_size: 32
    .workgroup_processor_mode: 1
  - .args:
      - .address_space:  global
        .offset:         0
        .size:           8
        .value_kind:     global_buffer
      - .address_space:  global
        .offset:         8
        .size:           8
        .value_kind:     global_buffer
    .group_segment_fixed_size: 4112
    .kernarg_segment_align: 8
    .kernarg_segment_size: 16
    .language:       OpenCL C
    .language_version:
      - 2
      - 0
    .max_flat_workgroup_size: 128
    .name:           _Z11rank_kernelIxLj4ELb0EL18RadixRankAlgorithm1ELj128ELj16ELj10EEvPKT_Pi
    .private_segment_fixed_size: 0
    .sgpr_count:     22
    .sgpr_spill_count: 0
    .symbol:         _Z11rank_kernelIxLj4ELb0EL18RadixRankAlgorithm1ELj128ELj16ELj10EEvPKT_Pi.kd
    .uniform_work_group_size: 1
    .uses_dynamic_stack: false
    .vgpr_count:     82
    .vgpr_spill_count: 0
    .wavefront_size: 32
    .workgroup_processor_mode: 1
  - .args:
      - .address_space:  global
        .offset:         0
        .size:           8
        .value_kind:     global_buffer
      - .address_space:  global
        .offset:         8
        .size:           8
        .value_kind:     global_buffer
      - .offset:         16
        .size:           4
        .value_kind:     hidden_block_count_x
      - .offset:         20
        .size:           4
        .value_kind:     hidden_block_count_y
      - .offset:         24
        .size:           4
        .value_kind:     hidden_block_count_z
      - .offset:         28
        .size:           2
        .value_kind:     hidden_group_size_x
      - .offset:         30
        .size:           2
        .value_kind:     hidden_group_size_y
      - .offset:         32
        .size:           2
        .value_kind:     hidden_group_size_z
      - .offset:         34
        .size:           2
        .value_kind:     hidden_remainder_x
      - .offset:         36
        .size:           2
        .value_kind:     hidden_remainder_y
      - .offset:         38
        .size:           2
        .value_kind:     hidden_remainder_z
      - .offset:         56
        .size:           8
        .value_kind:     hidden_global_offset_x
      - .offset:         64
        .size:           8
        .value_kind:     hidden_global_offset_y
      - .offset:         72
        .size:           8
        .value_kind:     hidden_global_offset_z
      - .offset:         80
        .size:           2
        .value_kind:     hidden_grid_dims
    .group_segment_fixed_size: 528
    .kernarg_segment_align: 8
    .kernarg_segment_size: 272
    .language:       OpenCL C
    .language_version:
      - 2
      - 0
    .max_flat_workgroup_size: 128
    .name:           _Z11rank_kernelIxLj4ELb0EL18RadixRankAlgorithm2ELj128ELj16ELj10EEvPKT_Pi
    .private_segment_fixed_size: 0
    .sgpr_count:     22
    .sgpr_spill_count: 0
    .symbol:         _Z11rank_kernelIxLj4ELb0EL18RadixRankAlgorithm2ELj128ELj16ELj10EEvPKT_Pi.kd
    .uniform_work_group_size: 1
    .uses_dynamic_stack: false
    .vgpr_count:     90
    .vgpr_spill_count: 0
    .wavefront_size: 32
    .workgroup_processor_mode: 1
  - .args:
      - .address_space:  global
        .offset:         0
        .size:           8
        .value_kind:     global_buffer
      - .address_space:  global
        .offset:         8
        .size:           8
        .value_kind:     global_buffer
    .group_segment_fixed_size: 4112
    .kernarg_segment_align: 8
    .kernarg_segment_size: 16
    .language:       OpenCL C
    .language_version:
      - 2
      - 0
    .max_flat_workgroup_size: 128
    .name:           _Z11rank_kernelIxLj4ELb0EL18RadixRankAlgorithm0ELj128ELj32ELj10EEvPKT_Pi
    .private_segment_fixed_size: 0
    .sgpr_count:     22
    .sgpr_spill_count: 0
    .symbol:         _Z11rank_kernelIxLj4ELb0EL18RadixRankAlgorithm0ELj128ELj32ELj10EEvPKT_Pi.kd
    .uniform_work_group_size: 1
    .uses_dynamic_stack: false
    .vgpr_count:     143
    .vgpr_spill_count: 0
    .wavefront_size: 32
    .workgroup_processor_mode: 1
  - .args:
      - .address_space:  global
        .offset:         0
        .size:           8
        .value_kind:     global_buffer
      - .address_space:  global
        .offset:         8
        .size:           8
        .value_kind:     global_buffer
    .group_segment_fixed_size: 4112
    .kernarg_segment_align: 8
    .kernarg_segment_size: 16
    .language:       OpenCL C
    .language_version:
      - 2
      - 0
    .max_flat_workgroup_size: 128
    .name:           _Z11rank_kernelIxLj4ELb0EL18RadixRankAlgorithm1ELj128ELj32ELj10EEvPKT_Pi
    .private_segment_fixed_size: 0
    .sgpr_count:     22
    .sgpr_spill_count: 0
    .symbol:         _Z11rank_kernelIxLj4ELb0EL18RadixRankAlgorithm1ELj128ELj32ELj10EEvPKT_Pi.kd
    .uniform_work_group_size: 1
    .uses_dynamic_stack: false
    .vgpr_count:     145
    .vgpr_spill_count: 0
    .wavefront_size: 32
    .workgroup_processor_mode: 1
  - .args:
      - .address_space:  global
        .offset:         0
        .size:           8
        .value_kind:     global_buffer
      - .address_space:  global
        .offset:         8
        .size:           8
        .value_kind:     global_buffer
      - .offset:         16
        .size:           4
        .value_kind:     hidden_block_count_x
      - .offset:         20
        .size:           4
        .value_kind:     hidden_block_count_y
      - .offset:         24
        .size:           4
        .value_kind:     hidden_block_count_z
      - .offset:         28
        .size:           2
        .value_kind:     hidden_group_size_x
      - .offset:         30
        .size:           2
        .value_kind:     hidden_group_size_y
      - .offset:         32
        .size:           2
        .value_kind:     hidden_group_size_z
      - .offset:         34
        .size:           2
        .value_kind:     hidden_remainder_x
      - .offset:         36
        .size:           2
        .value_kind:     hidden_remainder_y
      - .offset:         38
        .size:           2
        .value_kind:     hidden_remainder_z
      - .offset:         56
        .size:           8
        .value_kind:     hidden_global_offset_x
      - .offset:         64
        .size:           8
        .value_kind:     hidden_global_offset_y
      - .offset:         72
        .size:           8
        .value_kind:     hidden_global_offset_z
      - .offset:         80
        .size:           2
        .value_kind:     hidden_grid_dims
    .group_segment_fixed_size: 528
    .kernarg_segment_align: 8
    .kernarg_segment_size: 272
    .language:       OpenCL C
    .language_version:
      - 2
      - 0
    .max_flat_workgroup_size: 128
    .name:           _Z11rank_kernelIxLj4ELb0EL18RadixRankAlgorithm2ELj128ELj32ELj10EEvPKT_Pi
    .private_segment_fixed_size: 0
    .sgpr_count:     22
    .sgpr_spill_count: 0
    .symbol:         _Z11rank_kernelIxLj4ELb0EL18RadixRankAlgorithm2ELj128ELj32ELj10EEvPKT_Pi.kd
    .uniform_work_group_size: 1
    .uses_dynamic_stack: false
    .vgpr_count:     170
    .vgpr_spill_count: 0
    .wavefront_size: 32
    .workgroup_processor_mode: 1
  - .args:
      - .address_space:  global
        .offset:         0
        .size:           8
        .value_kind:     global_buffer
      - .address_space:  global
        .offset:         8
        .size:           8
        .value_kind:     global_buffer
    .group_segment_fixed_size: 8224
    .kernarg_segment_align: 8
    .kernarg_segment_size: 16
    .language:       OpenCL C
    .language_version:
      - 2
      - 0
    .max_flat_workgroup_size: 256
    .name:           _Z11rank_kernelIxLj4ELb0EL18RadixRankAlgorithm0ELj256ELj1ELj10EEvPKT_Pi
    .private_segment_fixed_size: 0
    .sgpr_count:     22
    .sgpr_spill_count: 0
    .symbol:         _Z11rank_kernelIxLj4ELb0EL18RadixRankAlgorithm0ELj256ELj1ELj10EEvPKT_Pi.kd
    .uniform_work_group_size: 1
    .uses_dynamic_stack: false
    .vgpr_count:     19
    .vgpr_spill_count: 0
    .wavefront_size: 32
    .workgroup_processor_mode: 1
  - .args:
      - .address_space:  global
        .offset:         0
        .size:           8
        .value_kind:     global_buffer
      - .address_space:  global
        .offset:         8
        .size:           8
        .value_kind:     global_buffer
    .group_segment_fixed_size: 8224
    .kernarg_segment_align: 8
    .kernarg_segment_size: 16
    .language:       OpenCL C
    .language_version:
      - 2
      - 0
    .max_flat_workgroup_size: 256
    .name:           _Z11rank_kernelIxLj4ELb0EL18RadixRankAlgorithm1ELj256ELj1ELj10EEvPKT_Pi
    .private_segment_fixed_size: 0
    .sgpr_count:     22
    .sgpr_spill_count: 0
    .symbol:         _Z11rank_kernelIxLj4ELb0EL18RadixRankAlgorithm1ELj256ELj1ELj10EEvPKT_Pi.kd
    .uniform_work_group_size: 1
    .uses_dynamic_stack: false
    .vgpr_count:     21
    .vgpr_spill_count: 0
    .wavefront_size: 32
    .workgroup_processor_mode: 1
  - .args:
      - .address_space:  global
        .offset:         0
        .size:           8
        .value_kind:     global_buffer
      - .address_space:  global
        .offset:         8
        .size:           8
        .value_kind:     global_buffer
      - .offset:         16
        .size:           4
        .value_kind:     hidden_block_count_x
      - .offset:         20
        .size:           4
        .value_kind:     hidden_block_count_y
      - .offset:         24
        .size:           4
        .value_kind:     hidden_block_count_z
      - .offset:         28
        .size:           2
        .value_kind:     hidden_group_size_x
      - .offset:         30
        .size:           2
        .value_kind:     hidden_group_size_y
      - .offset:         32
        .size:           2
        .value_kind:     hidden_group_size_z
      - .offset:         34
        .size:           2
        .value_kind:     hidden_remainder_x
      - .offset:         36
        .size:           2
        .value_kind:     hidden_remainder_y
      - .offset:         38
        .size:           2
        .value_kind:     hidden_remainder_z
      - .offset:         56
        .size:           8
        .value_kind:     hidden_global_offset_x
      - .offset:         64
        .size:           8
        .value_kind:     hidden_global_offset_y
      - .offset:         72
        .size:           8
        .value_kind:     hidden_global_offset_z
      - .offset:         80
        .size:           2
        .value_kind:     hidden_grid_dims
    .group_segment_fixed_size: 1056
    .kernarg_segment_align: 8
    .kernarg_segment_size: 272
    .language:       OpenCL C
    .language_version:
      - 2
      - 0
    .max_flat_workgroup_size: 256
    .name:           _Z11rank_kernelIxLj4ELb0EL18RadixRankAlgorithm2ELj256ELj1ELj10EEvPKT_Pi
    .private_segment_fixed_size: 0
    .sgpr_count:     24
    .sgpr_spill_count: 0
    .symbol:         _Z11rank_kernelIxLj4ELb0EL18RadixRankAlgorithm2ELj256ELj1ELj10EEvPKT_Pi.kd
    .uniform_work_group_size: 1
    .uses_dynamic_stack: false
    .vgpr_count:     16
    .vgpr_spill_count: 0
    .wavefront_size: 32
    .workgroup_processor_mode: 1
  - .args:
      - .address_space:  global
        .offset:         0
        .size:           8
        .value_kind:     global_buffer
      - .address_space:  global
        .offset:         8
        .size:           8
        .value_kind:     global_buffer
    .group_segment_fixed_size: 8224
    .kernarg_segment_align: 8
    .kernarg_segment_size: 16
    .language:       OpenCL C
    .language_version:
      - 2
      - 0
    .max_flat_workgroup_size: 256
    .name:           _Z11rank_kernelIxLj4ELb0EL18RadixRankAlgorithm0ELj256ELj4ELj10EEvPKT_Pi
    .private_segment_fixed_size: 0
    .sgpr_count:     22
    .sgpr_spill_count: 0
    .symbol:         _Z11rank_kernelIxLj4ELb0EL18RadixRankAlgorithm0ELj256ELj4ELj10EEvPKT_Pi.kd
    .uniform_work_group_size: 1
    .uses_dynamic_stack: false
    .vgpr_count:     31
    .vgpr_spill_count: 0
    .wavefront_size: 32
    .workgroup_processor_mode: 1
  - .args:
      - .address_space:  global
        .offset:         0
        .size:           8
        .value_kind:     global_buffer
      - .address_space:  global
        .offset:         8
        .size:           8
        .value_kind:     global_buffer
    .group_segment_fixed_size: 8224
    .kernarg_segment_align: 8
    .kernarg_segment_size: 16
    .language:       OpenCL C
    .language_version:
      - 2
      - 0
    .max_flat_workgroup_size: 256
    .name:           _Z11rank_kernelIxLj4ELb0EL18RadixRankAlgorithm1ELj256ELj4ELj10EEvPKT_Pi
    .private_segment_fixed_size: 0
    .sgpr_count:     22
    .sgpr_spill_count: 0
    .symbol:         _Z11rank_kernelIxLj4ELb0EL18RadixRankAlgorithm1ELj256ELj4ELj10EEvPKT_Pi.kd
    .uniform_work_group_size: 1
    .uses_dynamic_stack: false
    .vgpr_count:     33
    .vgpr_spill_count: 0
    .wavefront_size: 32
    .workgroup_processor_mode: 1
  - .args:
      - .address_space:  global
        .offset:         0
        .size:           8
        .value_kind:     global_buffer
      - .address_space:  global
        .offset:         8
        .size:           8
        .value_kind:     global_buffer
      - .offset:         16
        .size:           4
        .value_kind:     hidden_block_count_x
      - .offset:         20
        .size:           4
        .value_kind:     hidden_block_count_y
      - .offset:         24
        .size:           4
        .value_kind:     hidden_block_count_z
      - .offset:         28
        .size:           2
        .value_kind:     hidden_group_size_x
      - .offset:         30
        .size:           2
        .value_kind:     hidden_group_size_y
      - .offset:         32
        .size:           2
        .value_kind:     hidden_group_size_z
      - .offset:         34
        .size:           2
        .value_kind:     hidden_remainder_x
      - .offset:         36
        .size:           2
        .value_kind:     hidden_remainder_y
      - .offset:         38
        .size:           2
        .value_kind:     hidden_remainder_z
      - .offset:         56
        .size:           8
        .value_kind:     hidden_global_offset_x
      - .offset:         64
        .size:           8
        .value_kind:     hidden_global_offset_y
      - .offset:         72
        .size:           8
        .value_kind:     hidden_global_offset_z
      - .offset:         80
        .size:           2
        .value_kind:     hidden_grid_dims
    .group_segment_fixed_size: 1056
    .kernarg_segment_align: 8
    .kernarg_segment_size: 272
    .language:       OpenCL C
    .language_version:
      - 2
      - 0
    .max_flat_workgroup_size: 256
    .name:           _Z11rank_kernelIxLj4ELb0EL18RadixRankAlgorithm2ELj256ELj4ELj10EEvPKT_Pi
    .private_segment_fixed_size: 0
    .sgpr_count:     24
    .sgpr_spill_count: 0
    .symbol:         _Z11rank_kernelIxLj4ELb0EL18RadixRankAlgorithm2ELj256ELj4ELj10EEvPKT_Pi.kd
    .uniform_work_group_size: 1
    .uses_dynamic_stack: false
    .vgpr_count:     29
    .vgpr_spill_count: 0
    .wavefront_size: 32
    .workgroup_processor_mode: 1
  - .args:
      - .address_space:  global
        .offset:         0
        .size:           8
        .value_kind:     global_buffer
      - .address_space:  global
        .offset:         8
        .size:           8
        .value_kind:     global_buffer
    .group_segment_fixed_size: 8224
    .kernarg_segment_align: 8
    .kernarg_segment_size: 16
    .language:       OpenCL C
    .language_version:
      - 2
      - 0
    .max_flat_workgroup_size: 256
    .name:           _Z11rank_kernelIxLj4ELb0EL18RadixRankAlgorithm0ELj256ELj8ELj10EEvPKT_Pi
    .private_segment_fixed_size: 0
    .sgpr_count:     22
    .sgpr_spill_count: 0
    .symbol:         _Z11rank_kernelIxLj4ELb0EL18RadixRankAlgorithm0ELj256ELj8ELj10EEvPKT_Pi.kd
    .uniform_work_group_size: 1
    .uses_dynamic_stack: false
    .vgpr_count:     48
    .vgpr_spill_count: 0
    .wavefront_size: 32
    .workgroup_processor_mode: 1
  - .args:
      - .address_space:  global
        .offset:         0
        .size:           8
        .value_kind:     global_buffer
      - .address_space:  global
        .offset:         8
        .size:           8
        .value_kind:     global_buffer
    .group_segment_fixed_size: 8224
    .kernarg_segment_align: 8
    .kernarg_segment_size: 16
    .language:       OpenCL C
    .language_version:
      - 2
      - 0
    .max_flat_workgroup_size: 256
    .name:           _Z11rank_kernelIxLj4ELb0EL18RadixRankAlgorithm1ELj256ELj8ELj10EEvPKT_Pi
    .private_segment_fixed_size: 0
    .sgpr_count:     22
    .sgpr_spill_count: 0
    .symbol:         _Z11rank_kernelIxLj4ELb0EL18RadixRankAlgorithm1ELj256ELj8ELj10EEvPKT_Pi.kd
    .uniform_work_group_size: 1
    .uses_dynamic_stack: false
    .vgpr_count:     50
    .vgpr_spill_count: 0
    .wavefront_size: 32
    .workgroup_processor_mode: 1
  - .args:
      - .address_space:  global
        .offset:         0
        .size:           8
        .value_kind:     global_buffer
      - .address_space:  global
        .offset:         8
        .size:           8
        .value_kind:     global_buffer
      - .offset:         16
        .size:           4
        .value_kind:     hidden_block_count_x
      - .offset:         20
        .size:           4
        .value_kind:     hidden_block_count_y
      - .offset:         24
        .size:           4
        .value_kind:     hidden_block_count_z
      - .offset:         28
        .size:           2
        .value_kind:     hidden_group_size_x
      - .offset:         30
        .size:           2
        .value_kind:     hidden_group_size_y
      - .offset:         32
        .size:           2
        .value_kind:     hidden_group_size_z
      - .offset:         34
        .size:           2
        .value_kind:     hidden_remainder_x
      - .offset:         36
        .size:           2
        .value_kind:     hidden_remainder_y
      - .offset:         38
        .size:           2
        .value_kind:     hidden_remainder_z
      - .offset:         56
        .size:           8
        .value_kind:     hidden_global_offset_x
      - .offset:         64
        .size:           8
        .value_kind:     hidden_global_offset_y
      - .offset:         72
        .size:           8
        .value_kind:     hidden_global_offset_z
      - .offset:         80
        .size:           2
        .value_kind:     hidden_grid_dims
    .group_segment_fixed_size: 1056
    .kernarg_segment_align: 8
    .kernarg_segment_size: 272
    .language:       OpenCL C
    .language_version:
      - 2
      - 0
    .max_flat_workgroup_size: 256
    .name:           _Z11rank_kernelIxLj4ELb0EL18RadixRankAlgorithm2ELj256ELj8ELj10EEvPKT_Pi
    .private_segment_fixed_size: 0
    .sgpr_count:     24
    .sgpr_spill_count: 0
    .symbol:         _Z11rank_kernelIxLj4ELb0EL18RadixRankAlgorithm2ELj256ELj8ELj10EEvPKT_Pi.kd
    .uniform_work_group_size: 1
    .uses_dynamic_stack: false
    .vgpr_count:     50
    .vgpr_spill_count: 0
    .wavefront_size: 32
    .workgroup_processor_mode: 1
  - .args:
      - .address_space:  global
        .offset:         0
        .size:           8
        .value_kind:     global_buffer
      - .address_space:  global
        .offset:         8
        .size:           8
        .value_kind:     global_buffer
    .group_segment_fixed_size: 8224
    .kernarg_segment_align: 8
    .kernarg_segment_size: 16
    .language:       OpenCL C
    .language_version:
      - 2
      - 0
    .max_flat_workgroup_size: 256
    .name:           _Z11rank_kernelIxLj4ELb0EL18RadixRankAlgorithm0ELj256ELj16ELj10EEvPKT_Pi
    .private_segment_fixed_size: 0
    .sgpr_count:     22
    .sgpr_spill_count: 0
    .symbol:         _Z11rank_kernelIxLj4ELb0EL18RadixRankAlgorithm0ELj256ELj16ELj10EEvPKT_Pi.kd
    .uniform_work_group_size: 1
    .uses_dynamic_stack: false
    .vgpr_count:     80
    .vgpr_spill_count: 0
    .wavefront_size: 32
    .workgroup_processor_mode: 1
  - .args:
      - .address_space:  global
        .offset:         0
        .size:           8
        .value_kind:     global_buffer
      - .address_space:  global
        .offset:         8
        .size:           8
        .value_kind:     global_buffer
    .group_segment_fixed_size: 8224
    .kernarg_segment_align: 8
    .kernarg_segment_size: 16
    .language:       OpenCL C
    .language_version:
      - 2
      - 0
    .max_flat_workgroup_size: 256
    .name:           _Z11rank_kernelIxLj4ELb0EL18RadixRankAlgorithm1ELj256ELj16ELj10EEvPKT_Pi
    .private_segment_fixed_size: 0
    .sgpr_count:     22
    .sgpr_spill_count: 0
    .symbol:         _Z11rank_kernelIxLj4ELb0EL18RadixRankAlgorithm1ELj256ELj16ELj10EEvPKT_Pi.kd
    .uniform_work_group_size: 1
    .uses_dynamic_stack: false
    .vgpr_count:     82
    .vgpr_spill_count: 0
    .wavefront_size: 32
    .workgroup_processor_mode: 1
  - .args:
      - .address_space:  global
        .offset:         0
        .size:           8
        .value_kind:     global_buffer
      - .address_space:  global
        .offset:         8
        .size:           8
        .value_kind:     global_buffer
      - .offset:         16
        .size:           4
        .value_kind:     hidden_block_count_x
      - .offset:         20
        .size:           4
        .value_kind:     hidden_block_count_y
      - .offset:         24
        .size:           4
        .value_kind:     hidden_block_count_z
      - .offset:         28
        .size:           2
        .value_kind:     hidden_group_size_x
      - .offset:         30
        .size:           2
        .value_kind:     hidden_group_size_y
      - .offset:         32
        .size:           2
        .value_kind:     hidden_group_size_z
      - .offset:         34
        .size:           2
        .value_kind:     hidden_remainder_x
      - .offset:         36
        .size:           2
        .value_kind:     hidden_remainder_y
      - .offset:         38
        .size:           2
        .value_kind:     hidden_remainder_z
      - .offset:         56
        .size:           8
        .value_kind:     hidden_global_offset_x
      - .offset:         64
        .size:           8
        .value_kind:     hidden_global_offset_y
      - .offset:         72
        .size:           8
        .value_kind:     hidden_global_offset_z
      - .offset:         80
        .size:           2
        .value_kind:     hidden_grid_dims
    .group_segment_fixed_size: 1056
    .kernarg_segment_align: 8
    .kernarg_segment_size: 272
    .language:       OpenCL C
    .language_version:
      - 2
      - 0
    .max_flat_workgroup_size: 256
    .name:           _Z11rank_kernelIxLj4ELb0EL18RadixRankAlgorithm2ELj256ELj16ELj10EEvPKT_Pi
    .private_segment_fixed_size: 0
    .sgpr_count:     24
    .sgpr_spill_count: 0
    .symbol:         _Z11rank_kernelIxLj4ELb0EL18RadixRankAlgorithm2ELj256ELj16ELj10EEvPKT_Pi.kd
    .uniform_work_group_size: 1
    .uses_dynamic_stack: false
    .vgpr_count:     90
    .vgpr_spill_count: 0
    .wavefront_size: 32
    .workgroup_processor_mode: 1
  - .args:
      - .address_space:  global
        .offset:         0
        .size:           8
        .value_kind:     global_buffer
      - .address_space:  global
        .offset:         8
        .size:           8
        .value_kind:     global_buffer
    .group_segment_fixed_size: 8224
    .kernarg_segment_align: 8
    .kernarg_segment_size: 16
    .language:       OpenCL C
    .language_version:
      - 2
      - 0
    .max_flat_workgroup_size: 256
    .name:           _Z11rank_kernelIxLj4ELb0EL18RadixRankAlgorithm0ELj256ELj32ELj10EEvPKT_Pi
    .private_segment_fixed_size: 0
    .sgpr_count:     22
    .sgpr_spill_count: 0
    .symbol:         _Z11rank_kernelIxLj4ELb0EL18RadixRankAlgorithm0ELj256ELj32ELj10EEvPKT_Pi.kd
    .uniform_work_group_size: 1
    .uses_dynamic_stack: false
    .vgpr_count:     143
    .vgpr_spill_count: 0
    .wavefront_size: 32
    .workgroup_processor_mode: 1
  - .args:
      - .address_space:  global
        .offset:         0
        .size:           8
        .value_kind:     global_buffer
      - .address_space:  global
        .offset:         8
        .size:           8
        .value_kind:     global_buffer
    .group_segment_fixed_size: 8224
    .kernarg_segment_align: 8
    .kernarg_segment_size: 16
    .language:       OpenCL C
    .language_version:
      - 2
      - 0
    .max_flat_workgroup_size: 256
    .name:           _Z11rank_kernelIxLj4ELb0EL18RadixRankAlgorithm1ELj256ELj32ELj10EEvPKT_Pi
    .private_segment_fixed_size: 0
    .sgpr_count:     22
    .sgpr_spill_count: 0
    .symbol:         _Z11rank_kernelIxLj4ELb0EL18RadixRankAlgorithm1ELj256ELj32ELj10EEvPKT_Pi.kd
    .uniform_work_group_size: 1
    .uses_dynamic_stack: false
    .vgpr_count:     145
    .vgpr_spill_count: 0
    .wavefront_size: 32
    .workgroup_processor_mode: 1
  - .args:
      - .address_space:  global
        .offset:         0
        .size:           8
        .value_kind:     global_buffer
      - .address_space:  global
        .offset:         8
        .size:           8
        .value_kind:     global_buffer
      - .offset:         16
        .size:           4
        .value_kind:     hidden_block_count_x
      - .offset:         20
        .size:           4
        .value_kind:     hidden_block_count_y
      - .offset:         24
        .size:           4
        .value_kind:     hidden_block_count_z
      - .offset:         28
        .size:           2
        .value_kind:     hidden_group_size_x
      - .offset:         30
        .size:           2
        .value_kind:     hidden_group_size_y
      - .offset:         32
        .size:           2
        .value_kind:     hidden_group_size_z
      - .offset:         34
        .size:           2
        .value_kind:     hidden_remainder_x
      - .offset:         36
        .size:           2
        .value_kind:     hidden_remainder_y
      - .offset:         38
        .size:           2
        .value_kind:     hidden_remainder_z
      - .offset:         56
        .size:           8
        .value_kind:     hidden_global_offset_x
      - .offset:         64
        .size:           8
        .value_kind:     hidden_global_offset_y
      - .offset:         72
        .size:           8
        .value_kind:     hidden_global_offset_z
      - .offset:         80
        .size:           2
        .value_kind:     hidden_grid_dims
    .group_segment_fixed_size: 1056
    .kernarg_segment_align: 8
    .kernarg_segment_size: 272
    .language:       OpenCL C
    .language_version:
      - 2
      - 0
    .max_flat_workgroup_size: 256
    .name:           _Z11rank_kernelIxLj4ELb0EL18RadixRankAlgorithm2ELj256ELj32ELj10EEvPKT_Pi
    .private_segment_fixed_size: 0
    .sgpr_count:     24
    .sgpr_spill_count: 0
    .symbol:         _Z11rank_kernelIxLj4ELb0EL18RadixRankAlgorithm2ELj256ELj32ELj10EEvPKT_Pi.kd
    .uniform_work_group_size: 1
    .uses_dynamic_stack: false
    .vgpr_count:     170
    .vgpr_spill_count: 0
    .wavefront_size: 32
    .workgroup_processor_mode: 1
  - .args:
      - .address_space:  global
        .offset:         0
        .size:           8
        .value_kind:     global_buffer
      - .address_space:  global
        .offset:         8
        .size:           8
        .value_kind:     global_buffer
    .group_segment_fixed_size: 16448
    .kernarg_segment_align: 8
    .kernarg_segment_size: 16
    .language:       OpenCL C
    .language_version:
      - 2
      - 0
    .max_flat_workgroup_size: 512
    .name:           _Z11rank_kernelIxLj4ELb0EL18RadixRankAlgorithm0ELj512ELj1ELj10EEvPKT_Pi
    .private_segment_fixed_size: 0
    .sgpr_count:     18
    .sgpr_spill_count: 0
    .symbol:         _Z11rank_kernelIxLj4ELb0EL18RadixRankAlgorithm0ELj512ELj1ELj10EEvPKT_Pi.kd
    .uniform_work_group_size: 1
    .uses_dynamic_stack: false
    .vgpr_count:     19
    .vgpr_spill_count: 0
    .wavefront_size: 32
    .workgroup_processor_mode: 1
  - .args:
      - .address_space:  global
        .offset:         0
        .size:           8
        .value_kind:     global_buffer
      - .address_space:  global
        .offset:         8
        .size:           8
        .value_kind:     global_buffer
    .group_segment_fixed_size: 16448
    .kernarg_segment_align: 8
    .kernarg_segment_size: 16
    .language:       OpenCL C
    .language_version:
      - 2
      - 0
    .max_flat_workgroup_size: 512
    .name:           _Z11rank_kernelIxLj4ELb0EL18RadixRankAlgorithm1ELj512ELj1ELj10EEvPKT_Pi
    .private_segment_fixed_size: 0
    .sgpr_count:     18
    .sgpr_spill_count: 0
    .symbol:         _Z11rank_kernelIxLj4ELb0EL18RadixRankAlgorithm1ELj512ELj1ELj10EEvPKT_Pi.kd
    .uniform_work_group_size: 1
    .uses_dynamic_stack: false
    .vgpr_count:     21
    .vgpr_spill_count: 0
    .wavefront_size: 32
    .workgroup_processor_mode: 1
  - .args:
      - .address_space:  global
        .offset:         0
        .size:           8
        .value_kind:     global_buffer
      - .address_space:  global
        .offset:         8
        .size:           8
        .value_kind:     global_buffer
      - .offset:         16
        .size:           4
        .value_kind:     hidden_block_count_x
      - .offset:         20
        .size:           4
        .value_kind:     hidden_block_count_y
      - .offset:         24
        .size:           4
        .value_kind:     hidden_block_count_z
      - .offset:         28
        .size:           2
        .value_kind:     hidden_group_size_x
      - .offset:         30
        .size:           2
        .value_kind:     hidden_group_size_y
      - .offset:         32
        .size:           2
        .value_kind:     hidden_group_size_z
      - .offset:         34
        .size:           2
        .value_kind:     hidden_remainder_x
      - .offset:         36
        .size:           2
        .value_kind:     hidden_remainder_y
      - .offset:         38
        .size:           2
        .value_kind:     hidden_remainder_z
      - .offset:         56
        .size:           8
        .value_kind:     hidden_global_offset_x
      - .offset:         64
        .size:           8
        .value_kind:     hidden_global_offset_y
      - .offset:         72
        .size:           8
        .value_kind:     hidden_global_offset_z
      - .offset:         80
        .size:           2
        .value_kind:     hidden_grid_dims
    .group_segment_fixed_size: 2112
    .kernarg_segment_align: 8
    .kernarg_segment_size: 272
    .language:       OpenCL C
    .language_version:
      - 2
      - 0
    .max_flat_workgroup_size: 512
    .name:           _Z11rank_kernelIxLj4ELb0EL18RadixRankAlgorithm2ELj512ELj1ELj10EEvPKT_Pi
    .private_segment_fixed_size: 0
    .sgpr_count:     20
    .sgpr_spill_count: 0
    .symbol:         _Z11rank_kernelIxLj4ELb0EL18RadixRankAlgorithm2ELj512ELj1ELj10EEvPKT_Pi.kd
    .uniform_work_group_size: 1
    .uses_dynamic_stack: false
    .vgpr_count:     16
    .vgpr_spill_count: 0
    .wavefront_size: 32
    .workgroup_processor_mode: 1
  - .args:
      - .address_space:  global
        .offset:         0
        .size:           8
        .value_kind:     global_buffer
      - .address_space:  global
        .offset:         8
        .size:           8
        .value_kind:     global_buffer
    .group_segment_fixed_size: 16448
    .kernarg_segment_align: 8
    .kernarg_segment_size: 16
    .language:       OpenCL C
    .language_version:
      - 2
      - 0
    .max_flat_workgroup_size: 512
    .name:           _Z11rank_kernelIxLj4ELb0EL18RadixRankAlgorithm0ELj512ELj4ELj10EEvPKT_Pi
    .private_segment_fixed_size: 0
    .sgpr_count:     18
    .sgpr_spill_count: 0
    .symbol:         _Z11rank_kernelIxLj4ELb0EL18RadixRankAlgorithm0ELj512ELj4ELj10EEvPKT_Pi.kd
    .uniform_work_group_size: 1
    .uses_dynamic_stack: false
    .vgpr_count:     31
    .vgpr_spill_count: 0
    .wavefront_size: 32
    .workgroup_processor_mode: 1
  - .args:
      - .address_space:  global
        .offset:         0
        .size:           8
        .value_kind:     global_buffer
      - .address_space:  global
        .offset:         8
        .size:           8
        .value_kind:     global_buffer
    .group_segment_fixed_size: 16448
    .kernarg_segment_align: 8
    .kernarg_segment_size: 16
    .language:       OpenCL C
    .language_version:
      - 2
      - 0
    .max_flat_workgroup_size: 512
    .name:           _Z11rank_kernelIxLj4ELb0EL18RadixRankAlgorithm1ELj512ELj4ELj10EEvPKT_Pi
    .private_segment_fixed_size: 0
    .sgpr_count:     18
    .sgpr_spill_count: 0
    .symbol:         _Z11rank_kernelIxLj4ELb0EL18RadixRankAlgorithm1ELj512ELj4ELj10EEvPKT_Pi.kd
    .uniform_work_group_size: 1
    .uses_dynamic_stack: false
    .vgpr_count:     33
    .vgpr_spill_count: 0
    .wavefront_size: 32
    .workgroup_processor_mode: 1
  - .args:
      - .address_space:  global
        .offset:         0
        .size:           8
        .value_kind:     global_buffer
      - .address_space:  global
        .offset:         8
        .size:           8
        .value_kind:     global_buffer
      - .offset:         16
        .size:           4
        .value_kind:     hidden_block_count_x
      - .offset:         20
        .size:           4
        .value_kind:     hidden_block_count_y
      - .offset:         24
        .size:           4
        .value_kind:     hidden_block_count_z
      - .offset:         28
        .size:           2
        .value_kind:     hidden_group_size_x
      - .offset:         30
        .size:           2
        .value_kind:     hidden_group_size_y
      - .offset:         32
        .size:           2
        .value_kind:     hidden_group_size_z
      - .offset:         34
        .size:           2
        .value_kind:     hidden_remainder_x
      - .offset:         36
        .size:           2
        .value_kind:     hidden_remainder_y
      - .offset:         38
        .size:           2
        .value_kind:     hidden_remainder_z
      - .offset:         56
        .size:           8
        .value_kind:     hidden_global_offset_x
      - .offset:         64
        .size:           8
        .value_kind:     hidden_global_offset_y
      - .offset:         72
        .size:           8
        .value_kind:     hidden_global_offset_z
      - .offset:         80
        .size:           2
        .value_kind:     hidden_grid_dims
    .group_segment_fixed_size: 2112
    .kernarg_segment_align: 8
    .kernarg_segment_size: 272
    .language:       OpenCL C
    .language_version:
      - 2
      - 0
    .max_flat_workgroup_size: 512
    .name:           _Z11rank_kernelIxLj4ELb0EL18RadixRankAlgorithm2ELj512ELj4ELj10EEvPKT_Pi
    .private_segment_fixed_size: 0
    .sgpr_count:     20
    .sgpr_spill_count: 0
    .symbol:         _Z11rank_kernelIxLj4ELb0EL18RadixRankAlgorithm2ELj512ELj4ELj10EEvPKT_Pi.kd
    .uniform_work_group_size: 1
    .uses_dynamic_stack: false
    .vgpr_count:     29
    .vgpr_spill_count: 0
    .wavefront_size: 32
    .workgroup_processor_mode: 1
  - .args:
      - .address_space:  global
        .offset:         0
        .size:           8
        .value_kind:     global_buffer
      - .address_space:  global
        .offset:         8
        .size:           8
        .value_kind:     global_buffer
    .group_segment_fixed_size: 16448
    .kernarg_segment_align: 8
    .kernarg_segment_size: 16
    .language:       OpenCL C
    .language_version:
      - 2
      - 0
    .max_flat_workgroup_size: 512
    .name:           _Z11rank_kernelIxLj4ELb0EL18RadixRankAlgorithm0ELj512ELj8ELj10EEvPKT_Pi
    .private_segment_fixed_size: 0
    .sgpr_count:     18
    .sgpr_spill_count: 0
    .symbol:         _Z11rank_kernelIxLj4ELb0EL18RadixRankAlgorithm0ELj512ELj8ELj10EEvPKT_Pi.kd
    .uniform_work_group_size: 1
    .uses_dynamic_stack: false
    .vgpr_count:     48
    .vgpr_spill_count: 0
    .wavefront_size: 32
    .workgroup_processor_mode: 1
  - .args:
      - .address_space:  global
        .offset:         0
        .size:           8
        .value_kind:     global_buffer
      - .address_space:  global
        .offset:         8
        .size:           8
        .value_kind:     global_buffer
    .group_segment_fixed_size: 16448
    .kernarg_segment_align: 8
    .kernarg_segment_size: 16
    .language:       OpenCL C
    .language_version:
      - 2
      - 0
    .max_flat_workgroup_size: 512
    .name:           _Z11rank_kernelIxLj4ELb0EL18RadixRankAlgorithm1ELj512ELj8ELj10EEvPKT_Pi
    .private_segment_fixed_size: 0
    .sgpr_count:     18
    .sgpr_spill_count: 0
    .symbol:         _Z11rank_kernelIxLj4ELb0EL18RadixRankAlgorithm1ELj512ELj8ELj10EEvPKT_Pi.kd
    .uniform_work_group_size: 1
    .uses_dynamic_stack: false
    .vgpr_count:     50
    .vgpr_spill_count: 0
    .wavefront_size: 32
    .workgroup_processor_mode: 1
  - .args:
      - .address_space:  global
        .offset:         0
        .size:           8
        .value_kind:     global_buffer
      - .address_space:  global
        .offset:         8
        .size:           8
        .value_kind:     global_buffer
      - .offset:         16
        .size:           4
        .value_kind:     hidden_block_count_x
      - .offset:         20
        .size:           4
        .value_kind:     hidden_block_count_y
      - .offset:         24
        .size:           4
        .value_kind:     hidden_block_count_z
      - .offset:         28
        .size:           2
        .value_kind:     hidden_group_size_x
      - .offset:         30
        .size:           2
        .value_kind:     hidden_group_size_y
      - .offset:         32
        .size:           2
        .value_kind:     hidden_group_size_z
      - .offset:         34
        .size:           2
        .value_kind:     hidden_remainder_x
      - .offset:         36
        .size:           2
        .value_kind:     hidden_remainder_y
      - .offset:         38
        .size:           2
        .value_kind:     hidden_remainder_z
      - .offset:         56
        .size:           8
        .value_kind:     hidden_global_offset_x
      - .offset:         64
        .size:           8
        .value_kind:     hidden_global_offset_y
      - .offset:         72
        .size:           8
        .value_kind:     hidden_global_offset_z
      - .offset:         80
        .size:           2
        .value_kind:     hidden_grid_dims
    .group_segment_fixed_size: 2112
    .kernarg_segment_align: 8
    .kernarg_segment_size: 272
    .language:       OpenCL C
    .language_version:
      - 2
      - 0
    .max_flat_workgroup_size: 512
    .name:           _Z11rank_kernelIxLj4ELb0EL18RadixRankAlgorithm2ELj512ELj8ELj10EEvPKT_Pi
    .private_segment_fixed_size: 0
    .sgpr_count:     20
    .sgpr_spill_count: 0
    .symbol:         _Z11rank_kernelIxLj4ELb0EL18RadixRankAlgorithm2ELj512ELj8ELj10EEvPKT_Pi.kd
    .uniform_work_group_size: 1
    .uses_dynamic_stack: false
    .vgpr_count:     50
    .vgpr_spill_count: 0
    .wavefront_size: 32
    .workgroup_processor_mode: 1
  - .args:
      - .address_space:  global
        .offset:         0
        .size:           8
        .value_kind:     global_buffer
      - .address_space:  global
        .offset:         8
        .size:           8
        .value_kind:     global_buffer
    .group_segment_fixed_size: 16448
    .kernarg_segment_align: 8
    .kernarg_segment_size: 16
    .language:       OpenCL C
    .language_version:
      - 2
      - 0
    .max_flat_workgroup_size: 512
    .name:           _Z11rank_kernelIxLj4ELb0EL18RadixRankAlgorithm0ELj512ELj16ELj10EEvPKT_Pi
    .private_segment_fixed_size: 0
    .sgpr_count:     18
    .sgpr_spill_count: 0
    .symbol:         _Z11rank_kernelIxLj4ELb0EL18RadixRankAlgorithm0ELj512ELj16ELj10EEvPKT_Pi.kd
    .uniform_work_group_size: 1
    .uses_dynamic_stack: false
    .vgpr_count:     80
    .vgpr_spill_count: 0
    .wavefront_size: 32
    .workgroup_processor_mode: 1
  - .args:
      - .address_space:  global
        .offset:         0
        .size:           8
        .value_kind:     global_buffer
      - .address_space:  global
        .offset:         8
        .size:           8
        .value_kind:     global_buffer
    .group_segment_fixed_size: 16448
    .kernarg_segment_align: 8
    .kernarg_segment_size: 16
    .language:       OpenCL C
    .language_version:
      - 2
      - 0
    .max_flat_workgroup_size: 512
    .name:           _Z11rank_kernelIxLj4ELb0EL18RadixRankAlgorithm1ELj512ELj16ELj10EEvPKT_Pi
    .private_segment_fixed_size: 0
    .sgpr_count:     18
    .sgpr_spill_count: 0
    .symbol:         _Z11rank_kernelIxLj4ELb0EL18RadixRankAlgorithm1ELj512ELj16ELj10EEvPKT_Pi.kd
    .uniform_work_group_size: 1
    .uses_dynamic_stack: false
    .vgpr_count:     82
    .vgpr_spill_count: 0
    .wavefront_size: 32
    .workgroup_processor_mode: 1
  - .args:
      - .address_space:  global
        .offset:         0
        .size:           8
        .value_kind:     global_buffer
      - .address_space:  global
        .offset:         8
        .size:           8
        .value_kind:     global_buffer
      - .offset:         16
        .size:           4
        .value_kind:     hidden_block_count_x
      - .offset:         20
        .size:           4
        .value_kind:     hidden_block_count_y
      - .offset:         24
        .size:           4
        .value_kind:     hidden_block_count_z
      - .offset:         28
        .size:           2
        .value_kind:     hidden_group_size_x
      - .offset:         30
        .size:           2
        .value_kind:     hidden_group_size_y
      - .offset:         32
        .size:           2
        .value_kind:     hidden_group_size_z
      - .offset:         34
        .size:           2
        .value_kind:     hidden_remainder_x
      - .offset:         36
        .size:           2
        .value_kind:     hidden_remainder_y
      - .offset:         38
        .size:           2
        .value_kind:     hidden_remainder_z
      - .offset:         56
        .size:           8
        .value_kind:     hidden_global_offset_x
      - .offset:         64
        .size:           8
        .value_kind:     hidden_global_offset_y
      - .offset:         72
        .size:           8
        .value_kind:     hidden_global_offset_z
      - .offset:         80
        .size:           2
        .value_kind:     hidden_grid_dims
    .group_segment_fixed_size: 2112
    .kernarg_segment_align: 8
    .kernarg_segment_size: 272
    .language:       OpenCL C
    .language_version:
      - 2
      - 0
    .max_flat_workgroup_size: 512
    .name:           _Z11rank_kernelIxLj4ELb0EL18RadixRankAlgorithm2ELj512ELj16ELj10EEvPKT_Pi
    .private_segment_fixed_size: 0
    .sgpr_count:     20
    .sgpr_spill_count: 0
    .symbol:         _Z11rank_kernelIxLj4ELb0EL18RadixRankAlgorithm2ELj512ELj16ELj10EEvPKT_Pi.kd
    .uniform_work_group_size: 1
    .uses_dynamic_stack: false
    .vgpr_count:     90
    .vgpr_spill_count: 0
    .wavefront_size: 32
    .workgroup_processor_mode: 1
  - .args:
      - .address_space:  global
        .offset:         0
        .size:           8
        .value_kind:     global_buffer
      - .address_space:  global
        .offset:         8
        .size:           8
        .value_kind:     global_buffer
    .group_segment_fixed_size: 16448
    .kernarg_segment_align: 8
    .kernarg_segment_size: 16
    .language:       OpenCL C
    .language_version:
      - 2
      - 0
    .max_flat_workgroup_size: 512
    .name:           _Z11rank_kernelIxLj4ELb0EL18RadixRankAlgorithm0ELj512ELj32ELj10EEvPKT_Pi
    .private_segment_fixed_size: 0
    .sgpr_count:     18
    .sgpr_spill_count: 0
    .symbol:         _Z11rank_kernelIxLj4ELb0EL18RadixRankAlgorithm0ELj512ELj32ELj10EEvPKT_Pi.kd
    .uniform_work_group_size: 1
    .uses_dynamic_stack: false
    .vgpr_count:     143
    .vgpr_spill_count: 0
    .wavefront_size: 32
    .workgroup_processor_mode: 1
  - .args:
      - .address_space:  global
        .offset:         0
        .size:           8
        .value_kind:     global_buffer
      - .address_space:  global
        .offset:         8
        .size:           8
        .value_kind:     global_buffer
    .group_segment_fixed_size: 16448
    .kernarg_segment_align: 8
    .kernarg_segment_size: 16
    .language:       OpenCL C
    .language_version:
      - 2
      - 0
    .max_flat_workgroup_size: 512
    .name:           _Z11rank_kernelIxLj4ELb0EL18RadixRankAlgorithm1ELj512ELj32ELj10EEvPKT_Pi
    .private_segment_fixed_size: 0
    .sgpr_count:     18
    .sgpr_spill_count: 0
    .symbol:         _Z11rank_kernelIxLj4ELb0EL18RadixRankAlgorithm1ELj512ELj32ELj10EEvPKT_Pi.kd
    .uniform_work_group_size: 1
    .uses_dynamic_stack: false
    .vgpr_count:     145
    .vgpr_spill_count: 0
    .wavefront_size: 32
    .workgroup_processor_mode: 1
  - .args:
      - .address_space:  global
        .offset:         0
        .size:           8
        .value_kind:     global_buffer
      - .address_space:  global
        .offset:         8
        .size:           8
        .value_kind:     global_buffer
      - .offset:         16
        .size:           4
        .value_kind:     hidden_block_count_x
      - .offset:         20
        .size:           4
        .value_kind:     hidden_block_count_y
      - .offset:         24
        .size:           4
        .value_kind:     hidden_block_count_z
      - .offset:         28
        .size:           2
        .value_kind:     hidden_group_size_x
      - .offset:         30
        .size:           2
        .value_kind:     hidden_group_size_y
      - .offset:         32
        .size:           2
        .value_kind:     hidden_group_size_z
      - .offset:         34
        .size:           2
        .value_kind:     hidden_remainder_x
      - .offset:         36
        .size:           2
        .value_kind:     hidden_remainder_y
      - .offset:         38
        .size:           2
        .value_kind:     hidden_remainder_z
      - .offset:         56
        .size:           8
        .value_kind:     hidden_global_offset_x
      - .offset:         64
        .size:           8
        .value_kind:     hidden_global_offset_y
      - .offset:         72
        .size:           8
        .value_kind:     hidden_global_offset_z
      - .offset:         80
        .size:           2
        .value_kind:     hidden_grid_dims
    .group_segment_fixed_size: 2112
    .kernarg_segment_align: 8
    .kernarg_segment_size: 272
    .language:       OpenCL C
    .language_version:
      - 2
      - 0
    .max_flat_workgroup_size: 512
    .name:           _Z11rank_kernelIxLj4ELb0EL18RadixRankAlgorithm2ELj512ELj32ELj10EEvPKT_Pi
    .private_segment_fixed_size: 0
    .sgpr_count:     20
    .sgpr_spill_count: 0
    .symbol:         _Z11rank_kernelIxLj4ELb0EL18RadixRankAlgorithm2ELj512ELj32ELj10EEvPKT_Pi.kd
    .uniform_work_group_size: 1
    .uses_dynamic_stack: false
    .vgpr_count:     170
    .vgpr_spill_count: 0
    .wavefront_size: 32
    .workgroup_processor_mode: 1
amdhsa.target:   amdgcn-amd-amdhsa--gfx1100
amdhsa.version:
  - 1
  - 2
...

	.end_amdgpu_metadata
